;; amdgpu-corpus repo=pytorch/pytorch kind=compiled arch=gfx1250 opt=O3
	.amdgcn_target "amdgcn-amd-amdhsa--gfx1250"
	.amdhsa_code_object_version 6
	.text
	.p2align	2                               ; -- Begin function _ZN2at6native25elementwise_kernel_helperILb0EZZZNS0_12_GLOBAL__N_121bessel_y1_kernel_cudaERNS_18TensorIteratorBaseEENKUlvE_clEvENKUlvE_clEvEUldE_NS0_6memory8policies11unroll_baseILi256ESt5arrayIPcLm2EE23TrivialOffsetCalculatorILi1EjESF_NS8_15LoadWithoutCastENS8_16StoreWithoutCastELi4ELi1EEEEEvT0_T1_
	.type	_ZN2at6native25elementwise_kernel_helperILb0EZZZNS0_12_GLOBAL__N_121bessel_y1_kernel_cudaERNS_18TensorIteratorBaseEENKUlvE_clEvENKUlvE_clEvEUldE_NS0_6memory8policies11unroll_baseILi256ESt5arrayIPcLm2EE23TrivialOffsetCalculatorILi1EjESF_NS8_15LoadWithoutCastENS8_16StoreWithoutCastELi4ELi1EEEEEvT0_T1_,@function
_ZN2at6native25elementwise_kernel_helperILb0EZZZNS0_12_GLOBAL__N_121bessel_y1_kernel_cudaERNS_18TensorIteratorBaseEENKUlvE_clEvENKUlvE_clEvEUldE_NS0_6memory8policies11unroll_baseILi256ESt5arrayIPcLm2EE23TrivialOffsetCalculatorILi1EjESF_NS8_15LoadWithoutCastENS8_16StoreWithoutCastELi4ELi1EEEEEvT0_T1_: ; @_ZN2at6native25elementwise_kernel_helperILb0EZZZNS0_12_GLOBAL__N_121bessel_y1_kernel_cudaERNS_18TensorIteratorBaseEENKUlvE_clEvENKUlvE_clEvEUldE_NS0_6memory8policies11unroll_baseILi256ESt5arrayIPcLm2EE23TrivialOffsetCalculatorILi1EjESF_NS8_15LoadWithoutCastENS8_16StoreWithoutCastELi4ELi1EEEEEvT0_T1_
; %bb.0:
	s_wait_loadcnt_dscnt 0x0
	s_wait_kmcnt 0x0
	s_bfe_u32 s0, ttmp6, 0x4000c
	s_and_b32 s1, ttmp6, 15
	s_add_co_i32 s0, s0, 1
	s_getreg_b32 s2, hwreg(HW_REG_IB_STS2, 6, 4)
	s_mul_i32 s0, ttmp9, s0
	v_and_b32_e32 v5, 0x3ff, v31
	s_add_co_i32 s1, s1, s0
	s_cmp_eq_u32 s2, 0
	v_mov_b64_e32 v[16:17], 0
	s_cselect_b32 s0, ttmp9, s1
	v_mov_b64_e32 v[20:21], 0
	s_lshl_b32 s3, s0, 10
	v_cmp_lt_i32_e64 s0, v5, v4
	v_dual_mov_b32 v7, v5 :: v_dual_bitop2_b32 v6, s3, v5 bitop3:0x54
	v_add_nc_u32_e32 v36, 0x100, v5
	s_and_saveexec_b32 s1, s0
	s_cbranch_execz .LBB0_2
; %bb.1:
	v_mov_b32_e32 v7, 0
	s_delay_alu instid0(VALU_DEP_1)
	v_lshl_add_u64 v[8:9], v[6:7], 3, v[2:3]
	v_add_nc_u32_e32 v7, 0x100, v5
	flat_load_b64 v[20:21], v[8:9]
.LBB0_2:
	s_wait_xcnt 0x0
	s_or_b32 exec_lo, exec_lo, s1
	s_delay_alu instid0(SALU_CYCLE_1)
	s_mov_b32 s1, exec_lo
	v_cmpx_lt_i32_e64 v7, v4
	s_cbranch_execz .LBB0_4
; %bb.3:
	v_dual_mov_b32 v9, 0 :: v_dual_add_nc_u32 v8, s3, v7
	v_add_nc_u32_e32 v7, 0x100, v7
	s_delay_alu instid0(VALU_DEP_2)
	v_lshl_add_u64 v[8:9], v[8:9], 3, v[2:3]
	flat_load_b64 v[16:17], v[8:9]
.LBB0_4:
	s_wait_xcnt 0x0
	s_or_b32 exec_lo, exec_lo, s1
	v_mov_b64_e32 v[8:9], 0
	v_mov_b64_e32 v[10:11], 0
	s_mov_b32 s1, exec_lo
	v_cmpx_lt_i32_e64 v7, v4
	s_cbranch_execz .LBB0_6
; %bb.5:
	v_dual_mov_b32 v11, 0 :: v_dual_add_nc_u32 v10, s3, v7
	v_add_nc_u32_e32 v7, 0x100, v7
	s_delay_alu instid0(VALU_DEP_2)
	v_lshl_add_u64 v[10:11], v[10:11], 3, v[2:3]
	flat_load_b64 v[10:11], v[10:11]
.LBB0_6:
	s_wait_xcnt 0x0
	s_or_b32 exec_lo, exec_lo, s1
	s_delay_alu instid0(SALU_CYCLE_1)
	s_mov_b32 s1, exec_lo
	v_cmpx_lt_i32_e64 v7, v4
	s_cbranch_execz .LBB0_8
; %bb.7:
	v_dual_mov_b32 v9, 0 :: v_dual_add_nc_u32 v8, s3, v7
	s_delay_alu instid0(VALU_DEP_1)
	v_lshl_add_u64 v[2:3], v[8:9], 3, v[2:3]
	flat_load_b64 v[8:9], v[2:3]
.LBB0_8:
	s_wait_xcnt 0x0
	s_or_b32 exec_lo, exec_lo, s1
	v_mov_b32_e32 v2, 0
	s_delay_alu instid0(VALU_DEP_1)
	v_dual_mov_b32 v3, v2 :: v_dual_mov_b32 v18, v2
	v_dual_mov_b32 v19, v2 :: v_dual_mov_b32 v14, v2
	v_dual_mov_b32 v15, v2 :: v_dual_mov_b32 v12, v2
	v_mov_b32_e32 v13, v2
	s_and_saveexec_b32 s2, s0
	s_cbranch_execz .LBB0_26
; %bb.9:
                                        ; implicit-def: $vgpr2_vgpr3
	s_mov_b32 s1, exec_lo
	s_wait_loadcnt_dscnt 0x0
	v_cmpx_ge_f64_e32 0x40140000, v[20:21]
	s_xor_b32 s4, exec_lo, s1
	s_cbranch_execz .LBB0_15
; %bb.10:
	v_mov_b64_e32 v[2:3], 0xfff0000000000000
	s_mov_b32 s5, exec_lo
	v_cmpx_neq_f64_e32 0, v[20:21]
	s_cbranch_execz .LBB0_14
; %bb.11:
	v_mov_b64_e32 v[2:3], 0x7ff8000000000000
	s_mov_b32 s6, exec_lo
	v_cmpx_nge_f64_e32 0, v[20:21]
	s_cbranch_execz .LBB0_13
; %bb.12:
	v_frexp_mant_f64_e32 v[2:3], v[20:21]
	s_mov_b64 s[8:9], 0x3fe5555555555555
	s_delay_alu instid0(VALU_DEP_1) | instid1(SALU_CYCLE_1)
	v_cmp_gt_f64_e32 vcc_lo, s[8:9], v[2:3]
	s_mov_b64 s[8:9], 0x3fc3ab76bf559e2b
	v_cndmask_b32_e64 v7, 0, 1, vcc_lo
	s_delay_alu instid0(VALU_DEP_1) | instskip(SKIP_1) | instid1(VALU_DEP_2)
	v_ldexp_f64 v[2:3], v[2:3], v7
	v_frexp_exp_i32_f64_e32 v7, v[20:21]
	v_add_f64_e32 v[12:13], 1.0, v[2:3]
	v_add_f64_e32 v[22:23], -1.0, v[2:3]
	s_delay_alu instid0(VALU_DEP_3) | instskip(NEXT) | instid1(VALU_DEP_3)
	v_subrev_co_ci_u32_e64 v7, null, 0, v7, vcc_lo
	v_rcp_f64_e32 v[14:15], v[12:13]
	v_add_f64_e32 v[24:25], -1.0, v[12:13]
	s_delay_alu instid0(VALU_DEP_1) | instskip(NEXT) | instid1(TRANS32_DEP_1)
	v_add_f64_e64 v[2:3], v[2:3], -v[24:25]
	v_fma_f64 v[18:19], -v[12:13], v[14:15], 1.0
	s_delay_alu instid0(VALU_DEP_1) | instskip(NEXT) | instid1(VALU_DEP_1)
	v_fmac_f64_e32 v[14:15], v[18:19], v[14:15]
	v_fma_f64 v[18:19], -v[12:13], v[14:15], 1.0
	s_delay_alu instid0(VALU_DEP_1) | instskip(NEXT) | instid1(VALU_DEP_1)
	v_fmac_f64_e32 v[14:15], v[18:19], v[14:15]
	v_mul_f64_e32 v[18:19], v[22:23], v[14:15]
	s_delay_alu instid0(VALU_DEP_1) | instskip(NEXT) | instid1(VALU_DEP_1)
	v_mul_f64_e32 v[26:27], v[12:13], v[18:19]
	v_fma_f64 v[12:13], v[18:19], v[12:13], -v[26:27]
	s_delay_alu instid0(VALU_DEP_1) | instskip(NEXT) | instid1(VALU_DEP_1)
	v_fmac_f64_e32 v[12:13], v[18:19], v[2:3]
	v_add_f64_e32 v[2:3], v[26:27], v[12:13]
	s_delay_alu instid0(VALU_DEP_1) | instskip(SKIP_1) | instid1(VALU_DEP_2)
	v_add_f64_e64 v[24:25], v[22:23], -v[2:3]
	v_add_f64_e64 v[26:27], v[2:3], -v[26:27]
	;; [unrolled: 1-line block ×3, first 2 shown]
	s_delay_alu instid0(VALU_DEP_2) | instskip(SKIP_1) | instid1(VALU_DEP_3)
	v_add_f64_e64 v[12:13], v[26:27], -v[12:13]
	v_cvt_f64_i32_e32 v[26:27], v7
	v_add_f64_e64 v[2:3], v[22:23], -v[2:3]
	s_delay_alu instid0(VALU_DEP_2) | instskip(NEXT) | instid1(VALU_DEP_2)
	v_mul_f64_e32 v[32:33], 0x3fe62e42fefa39ef, v[26:27]
	v_add_f64_e32 v[2:3], v[12:13], v[2:3]
	s_delay_alu instid0(VALU_DEP_1) | instskip(NEXT) | instid1(VALU_DEP_1)
	v_add_f64_e32 v[2:3], v[24:25], v[2:3]
	v_mul_f64_e32 v[2:3], v[14:15], v[2:3]
	s_delay_alu instid0(VALU_DEP_1) | instskip(NEXT) | instid1(VALU_DEP_1)
	v_add_f64_e32 v[12:13], v[18:19], v[2:3]
	v_mul_f64_e32 v[14:15], v[12:13], v[12:13]
	s_delay_alu instid0(VALU_DEP_1) | instskip(SKIP_2) | instid1(SALU_CYCLE_1)
	v_fmaak_f64 v[22:23], s[8:9], v[14:15], 0x3fc385386b47b09a
	v_mul_f64_e32 v[24:25], v[12:13], v[14:15]
	s_mov_b64 s[8:9], 0x3fe62e42fefa39ef
	v_fma_f64 v[38:39], v[26:27], s[8:9], -v[32:33]
	s_delay_alu instid0(VALU_DEP_3) | instskip(NEXT) | instid1(VALU_DEP_1)
	v_fmaak_f64 v[22:23], v[14:15], v[22:23], 0x3fc7474dd7f4df2e
	v_fmaak_f64 v[22:23], v[14:15], v[22:23], 0x3fcc71c016291751
	s_delay_alu instid0(VALU_DEP_1) | instskip(NEXT) | instid1(VALU_DEP_1)
	v_fmaak_f64 v[22:23], v[14:15], v[22:23], 0x3fd249249b27acf1
	v_fmaak_f64 v[22:23], v[14:15], v[22:23], 0x3fd99999998ef7b6
	s_delay_alu instid0(VALU_DEP_1) | instskip(SKIP_3) | instid1(VALU_DEP_4)
	v_fmaak_f64 v[14:15], v[14:15], v[22:23], 0x3fe5555555555780
	v_ldexp_f64 v[22:23], v[12:13], 1
	v_add_f64_e64 v[12:13], v[12:13], -v[18:19]
	v_fmamk_f64 v[26:27], v[26:27], 0x3c7abc9e3b39803f, v[38:39]
	v_mul_f64_e32 v[14:15], v[24:25], v[14:15]
	v_mul_f64_e32 v[24:25], v[20:21], v[20:21]
	s_delay_alu instid0(VALU_DEP_3) | instskip(SKIP_1) | instid1(VALU_DEP_4)
	v_add_f64_e32 v[38:39], v[32:33], v[26:27]
	v_add_f64_e64 v[2:3], v[2:3], -v[12:13]
	v_add_f64_e32 v[18:19], v[22:23], v[14:15]
	s_delay_alu instid0(VALU_DEP_4)
	v_fmaak_f64 v[28:29], 0, v[24:25], 0x40829269a93f7ac2
	v_fmaak_f64 v[30:31], 0, v[24:25], 0x408366b11b7086e7
	v_fmaak_f64 v[34:35], 0, v[24:25], 0xc1cad23c4cda4fc5
	v_add_f64_e64 v[32:33], v[38:39], -v[32:33]
	v_ldexp_f64 v[2:3], v[2:3], 1
	v_add_f64_e64 v[12:13], v[18:19], -v[22:23]
	v_fmaak_f64 v[22:23], v[24:25], v[28:29], 0x410cc160be58ef7f
	v_fmaak_f64 v[28:29], v[24:25], v[30:31], 0x410f5eda0dd701b2
	;; [unrolled: 1-line block ×3, first 2 shown]
	v_add_f64_e64 v[26:27], v[26:27], -v[32:33]
	s_delay_alu instid0(VALU_DEP_4) | instskip(NEXT) | instid1(VALU_DEP_4)
	v_fmaak_f64 v[22:23], v[24:25], v[22:23], 0x419184efa9c8acee
	v_fmaak_f64 v[28:29], v[24:25], v[28:29], 0x4193e954dc92a1b1
	s_delay_alu instid0(VALU_DEP_4) | instskip(NEXT) | instid1(VALU_DEP_3)
	v_fmaak_f64 v[30:31], v[24:25], v[30:31], 0xc262d72d58836521
	v_fmaak_f64 v[22:23], v[24:25], v[22:23], 0x421178c3906b7b83
	s_delay_alu instid0(VALU_DEP_3) | instskip(NEXT) | instid1(VALU_DEP_3)
	v_fmaak_f64 v[28:29], v[24:25], v[28:29], 0x4214a13f7befeac1
	v_fmaak_f64 v[30:31], v[24:25], v[30:31], 0x42da0954b0910fef
	s_delay_alu instid0(VALU_DEP_3) | instskip(NEXT) | instid1(VALU_DEP_3)
	;; [unrolled: 3-line block ×4, first 2 shown]
	v_fmaak_f64 v[28:29], v[24:25], v[28:29], 0x43064b0a3eccf45f
	v_fmaak_f64 v[30:31], v[24:25], v[30:31], 0x438679ad0b7366b1
	v_add_f64_e64 v[12:13], v[14:15], -v[12:13]
	v_fmaak_f64 v[14:15], v[24:25], v[34:35], 0x425a52ba0d438c6b
	v_fmaak_f64 v[22:23], v[24:25], v[22:23], 0x436e83e3c547a488
	;; [unrolled: 1-line block ×4, first 2 shown]
	s_delay_alu instid0(VALU_DEP_4) | instskip(NEXT) | instid1(VALU_DEP_4)
	v_fmaak_f64 v[14:15], v[24:25], v[14:15], 0xc2d08a92e6ccf175
	v_fmaak_f64 v[22:23], v[24:25], v[22:23], 0x43cb90f190f6747f
	s_delay_alu instid0(VALU_DEP_2) | instskip(SKIP_1) | instid1(VALU_DEP_3)
	v_fmaak_f64 v[14:15], v[24:25], v[14:15], 0x432a2b42a697c482
	v_fmaak_f64 v[24:25], v[24:25], v[28:29], 0x43d2779576702939
	v_div_scale_f64 v[28:29], null, v[22:23], v[22:23], v[30:31]
	v_div_scale_f64 v[82:83], vcc_lo, v[30:31], v[22:23], v[30:31]
	s_delay_alu instid0(VALU_DEP_3) | instskip(SKIP_1) | instid1(VALU_DEP_4)
	v_div_scale_f64 v[34:35], null, v[24:25], v[24:25], v[14:15]
	v_add_f64_e32 v[2:3], v[2:3], v[12:13]
	v_rcp_f64_e32 v[12:13], v[28:29]
	s_delay_alu instid0(VALU_DEP_2) | instskip(NEXT) | instid1(VALU_DEP_1)
	v_rcp_f64_e32 v[48:49], v[34:35]
	v_add_f64_e32 v[50:51], v[18:19], v[2:3]
	s_delay_alu instid0(TRANS32_DEP_2) | instskip(NEXT) | instid1(TRANS32_DEP_1)
	v_fma_f64 v[52:53], -v[28:29], v[12:13], 1.0
	v_fma_f64 v[54:55], -v[34:35], v[48:49], 1.0
	s_delay_alu instid0(VALU_DEP_3) | instskip(SKIP_1) | instid1(VALU_DEP_4)
	v_add_f64_e32 v[64:65], v[38:39], v[50:51]
	v_add_f64_e64 v[18:19], v[50:51], -v[18:19]
	v_fmac_f64_e32 v[12:13], v[12:13], v[52:53]
	v_div_scale_f64 v[52:53], null, v[20:21], v[20:21], -1.0
	v_fmac_f64_e32 v[48:49], v[48:49], v[54:55]
	v_add_f64_e64 v[54:55], v[64:65], -v[38:39]
	v_add_f64_e64 v[2:3], v[2:3], -v[18:19]
	v_fma_f64 v[66:67], -v[28:29], v[12:13], 1.0
	v_rcp_f64_e32 v[68:69], v[52:53]
	s_delay_alu instid0(VALU_DEP_4) | instskip(NEXT) | instid1(VALU_DEP_4)
	v_fma_f64 v[70:71], -v[34:35], v[48:49], 1.0
	v_add_f64_e64 v[80:81], v[64:65], -v[54:55]
	v_add_f64_e64 v[18:19], v[50:51], -v[54:55]
	s_delay_alu instid0(VALU_DEP_4) | instskip(SKIP_4) | instid1(TRANS32_DEP_1)
	v_fmac_f64_e32 v[12:13], v[12:13], v[66:67]
	v_div_scale_f64 v[66:67], s1, v[14:15], v[24:25], v[14:15]
	v_fmac_f64_e32 v[48:49], v[48:49], v[70:71]
	v_add_f64_e32 v[70:71], v[26:27], v[2:3]
	v_add_f64_e64 v[32:33], v[38:39], -v[80:81]
	v_fma_f64 v[38:39], -v[52:53], v[68:69], 1.0
	v_mul_f64_e32 v[50:51], v[82:83], v[12:13]
	v_mul_f64_e32 v[54:55], v[66:67], v[48:49]
	s_delay_alu instid0(VALU_DEP_4) | instskip(NEXT) | instid1(VALU_DEP_4)
	v_add_f64_e32 v[18:19], v[18:19], v[32:33]
	v_fmac_f64_e32 v[68:69], v[68:69], v[38:39]
	s_delay_alu instid0(VALU_DEP_4) | instskip(NEXT) | instid1(VALU_DEP_4)
	v_fma_f64 v[28:29], -v[28:29], v[50:51], v[82:83]
	v_fma_f64 v[32:33], -v[34:35], v[54:55], v[66:67]
	v_add_f64_e64 v[34:35], v[70:71], -v[26:27]
	v_add_f64_e32 v[18:19], v[70:71], v[18:19]
	v_fma_f64 v[38:39], -v[52:53], v[68:69], 1.0
	v_div_fmas_f64 v[12:13], v[28:29], v[12:13], v[50:51]
	s_mov_b32 vcc_lo, s1
	v_div_fmas_f64 v[28:29], v[32:33], v[48:49], v[54:55]
	v_add_f64_e64 v[32:33], v[70:71], -v[34:35]
	v_div_scale_f64 v[50:51], vcc_lo, -1.0, v[20:21], -1.0
	v_add_f64_e32 v[48:49], v[64:65], v[18:19]
	v_fmac_f64_e32 v[68:69], v[68:69], v[38:39]
	v_add_f64_e64 v[2:3], v[2:3], -v[34:35]
	v_div_fixup_f64 v[12:13], v[12:13], v[22:23], v[30:31]
	v_div_fixup_f64 v[14:15], v[28:29], v[24:25], v[14:15]
	v_add_f64_e64 v[24:25], v[26:27], -v[32:33]
	v_add_f64_e64 v[26:27], v[48:49], -v[64:65]
	v_mul_f64_e32 v[28:29], v[50:51], v[68:69]
	s_delay_alu instid0(VALU_DEP_4) | instskip(NEXT) | instid1(VALU_DEP_4)
	v_mul_f64_e32 v[14:15], v[20:21], v[14:15]
	v_add_f64_e32 v[2:3], v[2:3], v[24:25]
	s_delay_alu instid0(VALU_DEP_4) | instskip(NEXT) | instid1(VALU_DEP_4)
	v_add_f64_e64 v[18:19], v[18:19], -v[26:27]
	v_fma_f64 v[24:25], -v[52:53], v[28:29], v[50:51]
	v_fmaak_f64 v[26:27], v[20:21], v[20:21], 0xc02d5d2b4189822c
	s_delay_alu instid0(VALU_DEP_1) | instskip(NEXT) | instid1(VALU_DEP_4)
	v_mul_f64_e32 v[14:15], v[26:27], v[14:15]
	v_add_f64_e32 v[2:3], v[2:3], v[18:19]
	s_delay_alu instid0(VALU_DEP_4) | instskip(SKIP_1) | instid1(VALU_DEP_1)
	v_div_fmas_f64 v[18:19], v[24:25], v[68:69], v[28:29]
	v_fmaak_f64 v[24:25], v[20:21], v[20:21], 0xc0489bf66072a432
	v_mul_f64_e32 v[14:15], v[24:25], v[14:15]
	s_delay_alu instid0(VALU_DEP_4) | instskip(NEXT) | instid1(VALU_DEP_4)
	v_add_f64_e32 v[2:3], v[48:49], v[2:3]
	v_div_fixup_f64 v[18:19], v[18:19], v[20:21], -1.0
	s_delay_alu instid0(VALU_DEP_1) | instskip(NEXT) | instid1(VALU_DEP_1)
	v_fmac_f64_e32 v[18:19], v[14:15], v[2:3]
	v_mul_f64_e32 v[2:3], 0x3fe45f306dc9c883, v[18:19]
	s_delay_alu instid0(VALU_DEP_1)
	v_fmac_f64_e32 v[2:3], v[20:21], v[12:13]
.LBB0_13:
	s_or_b32 exec_lo, exec_lo, s6
.LBB0_14:
	s_delay_alu instid0(SALU_CYCLE_1)
	s_or_b32 exec_lo, exec_lo, s5
                                        ; implicit-def: $vgpr20_vgpr21
.LBB0_15:
	s_and_not1_saveexec_b32 s4, s4
	s_cbranch_execz .LBB0_25
; %bb.16:
	v_add_f64_e32 v[2:3], 0xc002d97c7f3321d2, v[20:21]
                                        ; implicit-def: $vgpr32
                                        ; implicit-def: $vgpr18_vgpr19
                                        ; implicit-def: $vgpr22_vgpr23
	s_delay_alu instid0(VALU_DEP_1)
	v_cmp_ngt_f64_e64 s1, 0x41d00000, |v[2:3]|
	v_trig_preop_f64 v[28:29], |v[2:3]|, 0
	v_trig_preop_f64 v[26:27], |v[2:3]|, 1
	v_ldexp_f64 v[30:31], |v[2:3]|, 0xffffff80
	v_trig_preop_f64 v[24:25], |v[2:3]|, 2
	v_and_b32_e32 v33, 0x7fffffff, v3
	s_and_saveexec_b32 s5, s1
	s_delay_alu instid0(SALU_CYCLE_1)
	s_xor_b32 s5, exec_lo, s5
	s_cbranch_execz .LBB0_18
; %bb.17:
	v_cmp_le_f64_e64 vcc_lo, 0x7b000000, |v[2:3]|
	s_mov_b64 s[6:7], 0x3ff921fb54442d18
	v_dual_mov_b32 v64, 0 :: v_dual_cndmask_b32 v13, v33, v31
	v_cndmask_b32_e32 v12, v2, v30, vcc_lo
	s_delay_alu instid0(VALU_DEP_1) | instskip(SKIP_2) | instid1(VALU_DEP_3)
	v_mul_f64_e32 v[14:15], v[28:29], v[12:13]
	v_mul_f64_e32 v[18:19], v[26:27], v[12:13]
	;; [unrolled: 1-line block ×3, first 2 shown]
	v_fma_f64 v[22:23], v[28:29], v[12:13], -v[14:15]
	s_delay_alu instid0(VALU_DEP_3) | instskip(NEXT) | instid1(VALU_DEP_3)
	v_fma_f64 v[54:55], v[26:27], v[12:13], -v[18:19]
	v_fma_f64 v[12:13], v[24:25], v[12:13], -v[52:53]
	s_delay_alu instid0(VALU_DEP_3) | instskip(NEXT) | instid1(VALU_DEP_1)
	v_add_f64_e32 v[34:35], v[18:19], v[22:23]
	v_add_f64_e64 v[38:39], v[34:35], -v[18:19]
	v_add_f64_e32 v[50:51], v[14:15], v[34:35]
	s_delay_alu instid0(VALU_DEP_2) | instskip(SKIP_1) | instid1(VALU_DEP_3)
	v_add_f64_e64 v[48:49], v[34:35], -v[38:39]
	v_add_f64_e64 v[22:23], v[22:23], -v[38:39]
	v_ldexp_f64 v[38:39], v[50:51], -2
	s_delay_alu instid0(VALU_DEP_3) | instskip(SKIP_1) | instid1(VALU_DEP_3)
	v_add_f64_e64 v[18:19], v[18:19], -v[48:49]
	v_add_f64_e32 v[48:49], v[52:53], v[54:55]
	v_cmp_neq_f64_e64 vcc_lo, 0x7ff00000, |v[38:39]|
	s_delay_alu instid0(VALU_DEP_3) | instskip(SKIP_1) | instid1(VALU_DEP_1)
	v_add_f64_e32 v[18:19], v[22:23], v[18:19]
	v_fract_f64_e32 v[22:23], v[38:39]
	v_ldexp_f64 v[22:23], v[22:23], 2
	s_delay_alu instid0(VALU_DEP_1) | instskip(SKIP_1) | instid1(VALU_DEP_3)
	v_cndmask_b32_e32 v23, 0, v23, vcc_lo
	v_add_f64_e64 v[14:15], v[50:51], -v[14:15]
	v_cndmask_b32_e32 v22, 0, v22, vcc_lo
	s_delay_alu instid0(VALU_DEP_2) | instskip(SKIP_1) | instid1(VALU_DEP_1)
	v_add_f64_e64 v[14:15], v[34:35], -v[14:15]
	v_add_f64_e32 v[34:35], v[48:49], v[18:19]
	v_add_f64_e32 v[38:39], v[14:15], v[34:35]
	v_add_f64_e64 v[66:67], v[34:35], -v[48:49]
	s_delay_alu instid0(VALU_DEP_2) | instskip(NEXT) | instid1(VALU_DEP_2)
	v_add_f64_e32 v[50:51], v[38:39], v[22:23]
	v_add_f64_e64 v[80:81], v[34:35], -v[66:67]
	v_add_f64_e64 v[18:19], v[18:19], -v[66:67]
	;; [unrolled: 1-line block ×3, first 2 shown]
	s_delay_alu instid0(VALU_DEP_4) | instskip(SKIP_1) | instid1(VALU_DEP_3)
	v_cmp_gt_f64_e32 vcc_lo, 0, v[50:51]
	v_add_f64_e64 v[50:51], v[48:49], -v[52:53]
	v_add_f64_e64 v[14:15], v[34:35], -v[14:15]
	v_cndmask_b32_e64 v65, 0, 0x40100000, vcc_lo
	s_delay_alu instid0(VALU_DEP_3) | instskip(SKIP_2) | instid1(VALU_DEP_4)
	v_add_f64_e64 v[70:71], v[48:49], -v[50:51]
	v_add_f64_e64 v[50:51], v[54:55], -v[50:51]
	;; [unrolled: 1-line block ×3, first 2 shown]
	v_add_f64_e32 v[22:23], v[22:23], v[64:65]
	s_delay_alu instid0(VALU_DEP_4) | instskip(NEXT) | instid1(VALU_DEP_3)
	v_add_f64_e64 v[54:55], v[52:53], -v[70:71]
	v_add_f64_e32 v[18:19], v[18:19], v[48:49]
	s_delay_alu instid0(VALU_DEP_3) | instskip(NEXT) | instid1(VALU_DEP_3)
	v_add_f64_e32 v[68:69], v[38:39], v[22:23]
	v_add_f64_e32 v[50:51], v[50:51], v[54:55]
	s_delay_alu instid0(VALU_DEP_2) | instskip(NEXT) | instid1(VALU_DEP_2)
	v_cvt_i32_f64_e32 v7, v[68:69]
	v_add_f64_e32 v[18:19], v[50:51], v[18:19]
	s_delay_alu instid0(VALU_DEP_2) | instskip(NEXT) | instid1(VALU_DEP_2)
	v_cvt_f64_i32_e32 v[66:67], v7
	v_add_f64_e32 v[12:13], v[12:13], v[18:19]
	s_delay_alu instid0(VALU_DEP_2) | instskip(NEXT) | instid1(VALU_DEP_2)
	v_add_f64_e64 v[22:23], v[22:23], -v[66:67]
	v_add_f64_e32 v[12:13], v[14:15], v[12:13]
	s_delay_alu instid0(VALU_DEP_2) | instskip(NEXT) | instid1(VALU_DEP_1)
	v_add_f64_e32 v[48:49], v[38:39], v[22:23]
	v_add_f64_e64 v[18:19], v[48:49], -v[22:23]
	v_cmp_le_f64_e32 vcc_lo, 0.5, v[48:49]
	s_delay_alu instid0(VALU_DEP_2) | instskip(SKIP_2) | instid1(VALU_DEP_3)
	v_add_f64_e64 v[14:15], v[38:39], -v[18:19]
	v_cndmask_b32_e64 v65, 0, 0x3ff00000, vcc_lo
	v_add_co_ci_u32_e64 v32, null, 0, v7, vcc_lo
	v_add_f64_e32 v[12:13], v[12:13], v[14:15]
	s_delay_alu instid0(VALU_DEP_3) | instskip(NEXT) | instid1(VALU_DEP_1)
	v_add_f64_e64 v[14:15], v[48:49], -v[64:65]
	v_add_f64_e32 v[18:19], v[14:15], v[12:13]
	s_delay_alu instid0(VALU_DEP_1) | instskip(SKIP_1) | instid1(VALU_DEP_2)
	v_mul_f64_e32 v[22:23], 0x3ff921fb54442d18, v[18:19]
	v_add_f64_e64 v[14:15], v[18:19], -v[14:15]
	v_fma_f64 v[34:35], v[18:19], s[6:7], -v[22:23]
	s_delay_alu instid0(VALU_DEP_2) | instskip(NEXT) | instid1(VALU_DEP_2)
	v_add_f64_e64 v[12:13], v[12:13], -v[14:15]
	v_fmamk_f64 v[14:15], v[18:19], 0x3c91a62633145c07, v[34:35]
	s_delay_alu instid0(VALU_DEP_1) | instskip(NEXT) | instid1(VALU_DEP_1)
	v_fmac_f64_e32 v[14:15], 0x3ff921fb54442d18, v[12:13]
	v_add_f64_e32 v[18:19], v[22:23], v[14:15]
	s_delay_alu instid0(VALU_DEP_1) | instskip(NEXT) | instid1(VALU_DEP_1)
	v_add_f64_e64 v[12:13], v[18:19], -v[22:23]
	v_add_f64_e64 v[22:23], v[14:15], -v[12:13]
	s_and_not1_saveexec_b32 s5, s5
	s_cbranch_execz .LBB0_20
	s_branch .LBB0_19
.LBB0_18:
	s_and_not1_saveexec_b32 s5, s5
	s_cbranch_execz .LBB0_20
.LBB0_19:
	s_mov_b64 s[6:7], 0x3fe45f306dc9c883
	s_delay_alu instid0(SALU_CYCLE_1) | instskip(SKIP_1) | instid1(VALU_DEP_1)
	v_mul_f64_e64 v[12:13], |v[2:3]|, s[6:7]
	s_mov_b64 s[6:7], 0xbff921fb54442d18
	v_rndne_f64_e32 v[12:13], v[12:13]
	s_delay_alu instid0(VALU_DEP_1) | instskip(SKIP_2) | instid1(VALU_DEP_2)
	v_fma_f64 v[14:15], v[12:13], s[6:7], |v[2:3]|
	v_mul_f64_e32 v[18:19], 0xbc91a62633145c00, v[12:13]
	v_cvt_i32_f64_e32 v32, v[12:13]
	v_add_f64_e32 v[22:23], v[14:15], v[18:19]
	s_delay_alu instid0(VALU_DEP_1) | instskip(SKIP_1) | instid1(VALU_DEP_1)
	v_add_f64_e64 v[34:35], v[14:15], -v[22:23]
	v_fmamk_f64 v[14:15], v[12:13], 0xbc91a62633145c00, v[14:15]
	v_add_f64_e64 v[22:23], v[22:23], -v[14:15]
	s_delay_alu instid0(VALU_DEP_3) | instskip(SKIP_1) | instid1(VALU_DEP_2)
	v_add_f64_e32 v[34:35], v[34:35], v[18:19]
	v_fmamk_f64 v[18:19], v[12:13], 0x3c91a62633145c00, v[18:19]
	v_add_f64_e32 v[22:23], v[22:23], v[34:35]
	s_delay_alu instid0(VALU_DEP_1) | instskip(NEXT) | instid1(VALU_DEP_1)
	v_add_f64_e64 v[18:19], v[22:23], -v[18:19]
	v_fmamk_f64 v[22:23], v[12:13], 0xb97b839a252049c0, v[18:19]
	s_delay_alu instid0(VALU_DEP_1) | instskip(NEXT) | instid1(VALU_DEP_1)
	v_add_f64_e32 v[18:19], v[14:15], v[22:23]
	v_add_f64_e64 v[14:15], v[18:19], -v[14:15]
	s_delay_alu instid0(VALU_DEP_1)
	v_add_f64_e64 v[22:23], v[22:23], -v[14:15]
.LBB0_20:
	s_or_b32 exec_lo, exec_lo, s5
                                        ; implicit-def: $vgpr7
                                        ; implicit-def: $vgpr12_vgpr13
                                        ; implicit-def: $vgpr14_vgpr15
	s_and_saveexec_b32 s5, s1
	s_delay_alu instid0(SALU_CYCLE_1)
	s_xor_b32 s1, exec_lo, s5
	s_cbranch_execz .LBB0_22
; %bb.21:
	v_cmp_le_f64_e64 vcc_lo, 0x7b000000, |v[2:3]|
	s_mov_b64 s[6:7], 0x3ff921fb54442d18
	v_dual_mov_b32 v54, 0 :: v_dual_cndmask_b32 v13, v33, v31
	v_cndmask_b32_e32 v12, v2, v30, vcc_lo
	s_delay_alu instid0(VALU_DEP_1) | instskip(SKIP_2) | instid1(VALU_DEP_3)
	v_mul_f64_e32 v[14:15], v[28:29], v[12:13]
	v_mul_f64_e32 v[30:31], v[26:27], v[12:13]
	;; [unrolled: 1-line block ×3, first 2 shown]
	v_fma_f64 v[28:29], v[28:29], v[12:13], -v[14:15]
	s_delay_alu instid0(VALU_DEP_3) | instskip(NEXT) | instid1(VALU_DEP_3)
	v_fma_f64 v[26:27], v[26:27], v[12:13], -v[30:31]
	v_fma_f64 v[12:13], v[24:25], v[12:13], -v[52:53]
	s_delay_alu instid0(VALU_DEP_3) | instskip(NEXT) | instid1(VALU_DEP_1)
	v_add_f64_e32 v[34:35], v[30:31], v[28:29]
	v_add_f64_e64 v[38:39], v[34:35], -v[30:31]
	v_add_f64_e32 v[50:51], v[14:15], v[34:35]
	s_delay_alu instid0(VALU_DEP_2) | instskip(SKIP_1) | instid1(VALU_DEP_3)
	v_add_f64_e64 v[48:49], v[34:35], -v[38:39]
	v_add_f64_e64 v[28:29], v[28:29], -v[38:39]
	v_ldexp_f64 v[38:39], v[50:51], -2
	s_delay_alu instid0(VALU_DEP_3) | instskip(SKIP_1) | instid1(VALU_DEP_3)
	v_add_f64_e64 v[30:31], v[30:31], -v[48:49]
	v_add_f64_e32 v[48:49], v[52:53], v[26:27]
	v_cmp_neq_f64_e64 vcc_lo, 0x7ff00000, |v[38:39]|
	s_delay_alu instid0(VALU_DEP_3) | instskip(SKIP_1) | instid1(VALU_DEP_1)
	v_add_f64_e32 v[28:29], v[28:29], v[30:31]
	v_fract_f64_e32 v[30:31], v[38:39]
	v_ldexp_f64 v[30:31], v[30:31], 2
	s_delay_alu instid0(VALU_DEP_1) | instskip(SKIP_1) | instid1(VALU_DEP_3)
	v_cndmask_b32_e32 v31, 0, v31, vcc_lo
	v_add_f64_e64 v[14:15], v[50:51], -v[14:15]
	v_cndmask_b32_e32 v30, 0, v30, vcc_lo
	s_delay_alu instid0(VALU_DEP_2) | instskip(SKIP_1) | instid1(VALU_DEP_1)
	v_add_f64_e64 v[14:15], v[34:35], -v[14:15]
	v_add_f64_e32 v[34:35], v[48:49], v[28:29]
	v_add_f64_e32 v[38:39], v[14:15], v[34:35]
	v_add_f64_e64 v[64:65], v[34:35], -v[48:49]
	s_delay_alu instid0(VALU_DEP_2) | instskip(NEXT) | instid1(VALU_DEP_2)
	v_add_f64_e32 v[50:51], v[38:39], v[30:31]
	v_add_f64_e64 v[70:71], v[34:35], -v[64:65]
	v_add_f64_e64 v[28:29], v[28:29], -v[64:65]
	;; [unrolled: 1-line block ×3, first 2 shown]
	s_delay_alu instid0(VALU_DEP_4) | instskip(SKIP_1) | instid1(VALU_DEP_3)
	v_cmp_gt_f64_e32 vcc_lo, 0, v[50:51]
	v_add_f64_e64 v[50:51], v[48:49], -v[52:53]
	v_add_f64_e64 v[14:15], v[34:35], -v[14:15]
	v_cndmask_b32_e64 v55, 0, 0x40100000, vcc_lo
	s_delay_alu instid0(VALU_DEP_3) | instskip(SKIP_2) | instid1(VALU_DEP_4)
	v_add_f64_e64 v[68:69], v[48:49], -v[50:51]
	v_add_f64_e64 v[26:27], v[26:27], -v[50:51]
	;; [unrolled: 1-line block ×3, first 2 shown]
	v_add_f64_e32 v[30:31], v[30:31], v[54:55]
	s_delay_alu instid0(VALU_DEP_4) | instskip(NEXT) | instid1(VALU_DEP_3)
	v_add_f64_e64 v[50:51], v[52:53], -v[68:69]
	v_add_f64_e32 v[28:29], v[28:29], v[48:49]
	s_delay_alu instid0(VALU_DEP_3) | instskip(NEXT) | instid1(VALU_DEP_3)
	v_add_f64_e32 v[66:67], v[38:39], v[30:31]
	v_add_f64_e32 v[26:27], v[26:27], v[50:51]
	s_delay_alu instid0(VALU_DEP_2) | instskip(NEXT) | instid1(VALU_DEP_2)
	v_cvt_i32_f64_e32 v7, v[66:67]
	v_add_f64_e32 v[24:25], v[26:27], v[28:29]
	s_delay_alu instid0(VALU_DEP_2) | instskip(NEXT) | instid1(VALU_DEP_2)
	v_cvt_f64_i32_e32 v[64:65], v7
	v_add_f64_e32 v[12:13], v[12:13], v[24:25]
	s_delay_alu instid0(VALU_DEP_2) | instskip(NEXT) | instid1(VALU_DEP_2)
	v_add_f64_e64 v[30:31], v[30:31], -v[64:65]
	v_add_f64_e32 v[12:13], v[14:15], v[12:13]
	s_delay_alu instid0(VALU_DEP_2) | instskip(NEXT) | instid1(VALU_DEP_1)
	v_add_f64_e32 v[26:27], v[38:39], v[30:31]
	v_add_f64_e64 v[24:25], v[26:27], -v[30:31]
	v_cmp_le_f64_e32 vcc_lo, 0.5, v[26:27]
	s_delay_alu instid0(VALU_DEP_2) | instskip(SKIP_2) | instid1(VALU_DEP_3)
	v_add_f64_e64 v[14:15], v[38:39], -v[24:25]
	v_cndmask_b32_e64 v55, 0, 0x3ff00000, vcc_lo
	v_add_co_ci_u32_e64 v7, null, 0, v7, vcc_lo
	v_add_f64_e32 v[12:13], v[12:13], v[14:15]
	s_delay_alu instid0(VALU_DEP_3) | instskip(NEXT) | instid1(VALU_DEP_1)
	v_add_f64_e64 v[14:15], v[26:27], -v[54:55]
	v_add_f64_e32 v[24:25], v[14:15], v[12:13]
	s_delay_alu instid0(VALU_DEP_1) | instskip(SKIP_1) | instid1(VALU_DEP_2)
	v_mul_f64_e32 v[26:27], 0x3ff921fb54442d18, v[24:25]
	v_add_f64_e64 v[14:15], v[24:25], -v[14:15]
	v_fma_f64 v[28:29], v[24:25], s[6:7], -v[26:27]
	s_delay_alu instid0(VALU_DEP_2) | instskip(NEXT) | instid1(VALU_DEP_2)
	v_add_f64_e64 v[12:13], v[12:13], -v[14:15]
	v_fmamk_f64 v[14:15], v[24:25], 0x3c91a62633145c07, v[28:29]
	s_delay_alu instid0(VALU_DEP_1) | instskip(NEXT) | instid1(VALU_DEP_1)
	v_fmac_f64_e32 v[14:15], 0x3ff921fb54442d18, v[12:13]
	v_add_f64_e32 v[12:13], v[26:27], v[14:15]
	s_delay_alu instid0(VALU_DEP_1) | instskip(NEXT) | instid1(VALU_DEP_1)
	v_add_f64_e64 v[24:25], v[12:13], -v[26:27]
	v_add_f64_e64 v[14:15], v[14:15], -v[24:25]
	s_and_not1_saveexec_b32 s1, s1
	s_cbranch_execnz .LBB0_23
	s_branch .LBB0_24
.LBB0_22:
	s_and_not1_saveexec_b32 s1, s1
	s_cbranch_execz .LBB0_24
.LBB0_23:
	s_mov_b64 s[6:7], 0x3fe45f306dc9c883
	s_delay_alu instid0(SALU_CYCLE_1) | instskip(SKIP_1) | instid1(VALU_DEP_1)
	v_mul_f64_e64 v[12:13], |v[2:3]|, s[6:7]
	s_mov_b64 s[6:7], 0xbff921fb54442d18
	v_rndne_f64_e32 v[24:25], v[12:13]
	s_delay_alu instid0(VALU_DEP_1) | instskip(SKIP_2) | instid1(VALU_DEP_3)
	v_fma_f64 v[12:13], v[24:25], s[6:7], |v[2:3]|
	v_mul_f64_e32 v[14:15], 0xbc91a62633145c00, v[24:25]
	v_cvt_i32_f64_e32 v7, v[24:25]
	v_fmamk_f64 v[30:31], v[24:25], 0xbc91a62633145c00, v[12:13]
	s_delay_alu instid0(VALU_DEP_3) | instskip(NEXT) | instid1(VALU_DEP_1)
	v_add_f64_e32 v[26:27], v[12:13], v[14:15]
	v_add_f64_e64 v[28:29], v[12:13], -v[26:27]
	s_delay_alu instid0(VALU_DEP_3) | instskip(NEXT) | instid1(VALU_DEP_2)
	v_add_f64_e64 v[12:13], v[26:27], -v[30:31]
	v_add_f64_e32 v[26:27], v[28:29], v[14:15]
	v_fmamk_f64 v[14:15], v[24:25], 0x3c91a62633145c00, v[14:15]
	s_delay_alu instid0(VALU_DEP_2) | instskip(NEXT) | instid1(VALU_DEP_1)
	v_add_f64_e32 v[12:13], v[12:13], v[26:27]
	v_add_f64_e64 v[12:13], v[12:13], -v[14:15]
	s_delay_alu instid0(VALU_DEP_1) | instskip(NEXT) | instid1(VALU_DEP_1)
	v_fmamk_f64 v[14:15], v[24:25], 0xb97b839a252049c0, v[12:13]
	v_add_f64_e32 v[12:13], v[30:31], v[14:15]
	s_delay_alu instid0(VALU_DEP_1) | instskip(NEXT) | instid1(VALU_DEP_1)
	v_add_f64_e64 v[26:27], v[12:13], -v[30:31]
	v_add_f64_e64 v[14:15], v[14:15], -v[26:27]
.LBB0_24:
	s_or_b32 exec_lo, exec_lo, s1
	v_div_scale_f64 v[24:25], null, v[20:21], v[20:21], 0x40140000
	v_cmp_class_f64_e64 s1, v[2:3], 0x1f8
	s_delay_alu instid0(VALU_DEP_3)
	v_mul_f64_e32 v[86:87], 0.5, v[22:23]
	v_mov_b64_e32 v[64:65], 0xbe927e4fa17f65f6
	v_mov_b64_e32 v[66:67], 0x3efa01a019f4ec90
	;; [unrolled: 1-line block ×6, first 2 shown]
	v_rcp_f64_e32 v[26:27], v[24:25]
	v_nop
	s_delay_alu instid0(TRANS32_DEP_1) | instskip(NEXT) | instid1(VALU_DEP_1)
	v_fma_f64 v[28:29], -v[24:25], v[26:27], 1.0
	v_fmac_f64_e32 v[26:27], v[26:27], v[28:29]
	s_delay_alu instid0(VALU_DEP_1) | instskip(NEXT) | instid1(VALU_DEP_1)
	v_fma_f64 v[28:29], -v[24:25], v[26:27], 1.0
	v_fmac_f64_e32 v[26:27], v[26:27], v[28:29]
	v_div_scale_f64 v[28:29], vcc_lo, 0x40140000, v[20:21], 0x40140000
	s_delay_alu instid0(VALU_DEP_1) | instskip(NEXT) | instid1(VALU_DEP_1)
	v_mul_f64_e32 v[30:31], v[28:29], v[26:27]
	v_fma_f64 v[24:25], -v[24:25], v[30:31], v[28:29]
	s_delay_alu instid0(VALU_DEP_1) | instskip(NEXT) | instid1(VALU_DEP_1)
	v_div_fmas_f64 v[24:25], v[24:25], v[26:27], v[30:31]
	v_div_fixup_f64 v[24:25], v[24:25], v[20:21], 0x40140000
	s_delay_alu instid0(VALU_DEP_1) | instskip(NEXT) | instid1(VALU_DEP_1)
	v_mul_f64_e32 v[26:27], v[24:25], v[24:25]
	v_fmaak_f64 v[34:35], 0, v[26:27], 0x3faa27fa6b70ba40
	v_fmaak_f64 v[28:29], 0, v[26:27], 0x3f48f92c4c6c651b
	;; [unrolled: 1-line block ×4, first 2 shown]
	s_delay_alu instid0(VALU_DEP_4) | instskip(NEXT) | instid1(VALU_DEP_4)
	v_fmaak_f64 v[34:35], v[26:27], v[34:35], 0x4013edb5c66d8fd6
	v_fmaak_f64 v[28:29], v[26:27], v[28:29], 0x3fb2b948a3fec4b6
	s_delay_alu instid0(VALU_DEP_4) | instskip(NEXT) | instid1(VALU_DEP_4)
	v_fmaak_f64 v[30:31], v[26:27], v[30:31], 0x3fb19fdd5948aa83
	v_fmaak_f64 v[38:39], v[26:27], v[38:39], 0x409081cba20e5f6f
	;; [unrolled: 3-line block ×10, first 2 shown]
	s_delay_alu instid0(VALU_DEP_4) | instskip(NEXT) | instid1(VALU_DEP_3)
	v_fmaak_f64 v[34:35], v[26:27], v[34:35], 0x406a760a4c54bb0b
	v_fma_f64 v[30:31], v[26:27], v[30:31], 1.0
	s_delay_alu instid0(VALU_DEP_3) | instskip(NEXT) | instid1(VALU_DEP_3)
	v_fmaak_f64 v[38:39], v[26:27], v[38:39], 0x4075017f6ae75997
	v_fmaak_f64 v[34:35], v[26:27], v[34:35], 0x403934ff4d159eb5
	v_fma_f64 v[26:27], v[26:27], v[28:29], 1.0
	s_delay_alu instid0(VALU_DEP_1) | instskip(NEXT) | instid1(VALU_DEP_1)
	v_div_scale_f64 v[28:29], null, v[30:31], v[30:31], v[26:27]
	v_rcp_f64_e32 v[48:49], v[28:29]
	v_nop
	s_delay_alu instid0(TRANS32_DEP_1) | instskip(NEXT) | instid1(VALU_DEP_1)
	v_fma_f64 v[50:51], -v[28:29], v[48:49], 1.0
	v_fmac_f64_e32 v[48:49], v[48:49], v[50:51]
	s_delay_alu instid0(VALU_DEP_1) | instskip(NEXT) | instid1(VALU_DEP_1)
	v_fma_f64 v[50:51], -v[28:29], v[48:49], 1.0
	v_fmac_f64_e32 v[48:49], v[48:49], v[50:51]
	v_div_scale_f64 v[50:51], vcc_lo, v[26:27], v[30:31], v[26:27]
	s_delay_alu instid0(VALU_DEP_1) | instskip(NEXT) | instid1(VALU_DEP_1)
	v_mul_f64_e32 v[52:53], v[50:51], v[48:49]
	v_fma_f64 v[28:29], -v[28:29], v[52:53], v[50:51]
	s_delay_alu instid0(VALU_DEP_1) | instskip(SKIP_1) | instid1(VALU_DEP_2)
	v_div_fmas_f64 v[28:29], v[28:29], v[48:49], v[52:53]
	v_mov_b64_e32 v[52:53], 0x3e21eeb69037ab78
	v_div_fixup_f64 v[26:27], v[28:29], v[30:31], v[26:27]
	v_mul_f64_e32 v[28:29], v[18:19], v[18:19]
	s_delay_alu instid0(VALU_DEP_1) | instskip(NEXT) | instid1(VALU_DEP_4)
	v_mul_f64_e32 v[30:31], 0.5, v[28:29]
	v_fmamk_f64 v[54:55], v[28:29], 0xbda907db46cc5e42, v[52:53]
	v_mul_f64_e64 v[84:85], v[18:19], -v[28:29]
	s_delay_alu instid0(VALU_DEP_2) | instskip(NEXT) | instid1(VALU_DEP_1)
	v_fmaak_f64 v[54:55], v[28:29], v[54:55], 0xbe927e4fa17f65f6
	v_fmaak_f64 v[54:55], v[28:29], v[54:55], 0x3efa01a019f4ec90
	s_delay_alu instid0(VALU_DEP_1) | instskip(NEXT) | instid1(VALU_DEP_1)
	v_fmaak_f64 v[54:55], v[28:29], v[54:55], 0xbf56c16c16c16967
	v_fmaak_f64 v[54:55], v[28:29], v[54:55], 0x3fa5555555555555
	v_add_f64_e64 v[48:49], -v[30:31], 1.0
	s_delay_alu instid0(VALU_DEP_1) | instskip(NEXT) | instid1(VALU_DEP_1)
	v_add_f64_e64 v[50:51], -v[48:49], 1.0
	v_add_f64_e64 v[30:31], v[50:51], -v[30:31]
	v_mul_f64_e32 v[50:51], v[28:29], v[28:29]
	s_delay_alu instid0(VALU_DEP_2) | instskip(NEXT) | instid1(VALU_DEP_1)
	v_fma_f64 v[30:31], v[18:19], -v[22:23], v[30:31]
	v_fmac_f64_e32 v[30:31], v[50:51], v[54:55]
	v_mov_b64_e32 v[54:55], 0x3ec71de3796cde01
	s_delay_alu instid0(VALU_DEP_2) | instskip(SKIP_1) | instid1(VALU_DEP_1)
	v_add_f64_e32 v[30:31], v[48:49], v[30:31]
	v_mov_b64_e32 v[48:49], 0xbe5ae600b42fdfa7
	v_fmamk_f64 v[50:51], v[28:29], 0x3de5e0b2f9a43bb8, v[48:49]
	s_delay_alu instid0(VALU_DEP_1) | instskip(NEXT) | instid1(VALU_DEP_1)
	v_fmaak_f64 v[50:51], v[28:29], v[50:51], 0x3ec71de3796cde01
	v_fmaak_f64 v[50:51], v[28:29], v[50:51], 0xbf2a01a019e83e5c
	s_delay_alu instid0(VALU_DEP_1) | instskip(NEXT) | instid1(VALU_DEP_1)
	v_fmaak_f64 v[50:51], v[28:29], v[50:51], 0x3f81111111110bb3
	v_fmac_f64_e32 v[86:87], v[84:85], v[50:51]
	s_delay_alu instid0(VALU_DEP_1) | instskip(NEXT) | instid1(VALU_DEP_1)
	v_fma_f64 v[22:23], v[28:29], v[86:87], -v[22:23]
	v_fmac_f64_e32 v[22:23], 0xbfc5555555555555, v[84:85]
	s_delay_alu instid0(VALU_DEP_1) | instskip(NEXT) | instid1(VALU_DEP_1)
	v_dual_add_f64 v[18:19], v[18:19], -v[22:23] :: v_dual_bitop2_b32 v22, 1, v32 bitop3:0x40
	v_cmp_eq_u32_e32 vcc_lo, 0, v22
	v_lshlrev_b32_e32 v22, 30, v32
	s_delay_alu instid0(VALU_DEP_1) | instskip(NEXT) | instid1(VALU_DEP_4)
	v_xor_b32_e32 v22, v22, v3
	v_dual_cndmask_b32 v19, v31, v19 :: v_dual_cndmask_b32 v18, v30, v18
	s_delay_alu instid0(VALU_DEP_1) | instskip(NEXT) | instid1(VALU_DEP_2)
	v_bitop3_b32 v19, v19, v22, 0x80000000 bitop3:0x78
	v_cndmask_b32_e64 v2, 0, v18, s1
	s_delay_alu instid0(VALU_DEP_2) | instskip(SKIP_1) | instid1(VALU_DEP_1)
	v_cndmask_b32_e64 v3, 0x7ff80000, v19, s1
	v_div_scale_f64 v[18:19], null, v[38:39], v[38:39], v[34:35]
	v_rcp_f64_e32 v[22:23], v[18:19]
	v_nop
	s_delay_alu instid0(TRANS32_DEP_1) | instskip(NEXT) | instid1(VALU_DEP_1)
	v_fma_f64 v[28:29], -v[18:19], v[22:23], 1.0
	v_fmac_f64_e32 v[22:23], v[22:23], v[28:29]
	s_delay_alu instid0(VALU_DEP_1) | instskip(NEXT) | instid1(VALU_DEP_1)
	v_fma_f64 v[28:29], -v[18:19], v[22:23], 1.0
	v_fmac_f64_e32 v[22:23], v[22:23], v[28:29]
	v_div_scale_f64 v[28:29], vcc_lo, v[34:35], v[38:39], v[34:35]
	s_delay_alu instid0(VALU_DEP_1) | instskip(NEXT) | instid1(VALU_DEP_1)
	v_mul_f64_e32 v[30:31], v[28:29], v[22:23]
	v_fma_f64 v[18:19], -v[18:19], v[30:31], v[28:29]
	s_delay_alu instid0(VALU_DEP_1) | instskip(SKIP_1) | instid1(VALU_DEP_2)
	v_div_fmas_f64 v[18:19], v[18:19], v[22:23], v[30:31]
	v_mul_f64_e32 v[22:23], v[12:13], v[12:13]
	v_div_fixup_f64 v[18:19], v[18:19], v[38:39], v[34:35]
	s_delay_alu instid0(VALU_DEP_2) | instskip(SKIP_1) | instid1(VALU_DEP_3)
	v_fmac_f64_e32 v[52:53], 0xbda907db46cc5e42, v[22:23]
	v_fmac_f64_e32 v[48:49], 0x3de5e0b2f9a43bb8, v[22:23]
	v_mul_f64_e32 v[18:19], v[24:25], v[18:19]
	v_mul_f64_e32 v[24:25], 0.5, v[22:23]
	s_delay_alu instid0(VALU_DEP_4) | instskip(NEXT) | instid1(VALU_DEP_4)
	v_fmac_f64_e32 v[64:65], v[22:23], v[52:53]
	v_fmac_f64_e32 v[54:55], v[22:23], v[48:49]
	s_delay_alu instid0(VALU_DEP_3) | instskip(NEXT) | instid1(VALU_DEP_3)
	v_add_f64_e64 v[28:29], -v[24:25], 1.0
	v_fmac_f64_e32 v[66:67], v[22:23], v[64:65]
	s_delay_alu instid0(VALU_DEP_3) | instskip(NEXT) | instid1(VALU_DEP_3)
	v_fmac_f64_e32 v[80:81], v[22:23], v[54:55]
	v_add_f64_e64 v[30:31], -v[28:29], 1.0
	s_delay_alu instid0(VALU_DEP_3) | instskip(NEXT) | instid1(VALU_DEP_3)
	v_fmac_f64_e32 v[68:69], v[22:23], v[66:67]
	v_fmac_f64_e32 v[82:83], v[22:23], v[80:81]
	s_delay_alu instid0(VALU_DEP_3) | instskip(SKIP_1) | instid1(VALU_DEP_4)
	v_add_f64_e64 v[24:25], v[30:31], -v[24:25]
	v_mul_f64_e32 v[30:31], v[22:23], v[22:23]
	v_fmac_f64_e32 v[70:71], v[22:23], v[68:69]
	s_delay_alu instid0(VALU_DEP_3) | instskip(NEXT) | instid1(VALU_DEP_1)
	v_fma_f64 v[24:25], v[12:13], -v[14:15], v[24:25]
	v_fmac_f64_e32 v[24:25], v[30:31], v[70:71]
	v_mul_f64_e32 v[30:31], 0.5, v[14:15]
	s_delay_alu instid0(VALU_DEP_2) | instskip(SKIP_1) | instid1(VALU_DEP_1)
	v_add_f64_e32 v[24:25], v[28:29], v[24:25]
	v_mul_f64_e64 v[28:29], v[12:13], -v[22:23]
	v_fmac_f64_e32 v[30:31], v[28:29], v[82:83]
	s_delay_alu instid0(VALU_DEP_1) | instskip(NEXT) | instid1(VALU_DEP_1)
	v_fma_f64 v[14:15], v[22:23], v[30:31], -v[14:15]
	v_fmac_f64_e32 v[14:15], 0xbfc5555555555555, v[28:29]
	s_delay_alu instid0(VALU_DEP_1) | instskip(SKIP_1) | instid1(VALU_DEP_1)
	v_add_f64_e64 v[12:13], v[12:13], -v[14:15]
	v_dual_lshlrev_b32 v7, 30, v7 :: v_dual_bitop2_b32 v14, 1, v7 bitop3:0x40
	v_cmp_eq_u32_e32 vcc_lo, 0, v14
	s_delay_alu instid0(VALU_DEP_3) | instskip(NEXT) | instid1(VALU_DEP_1)
	v_xor_b32_e32 v13, 0x80000000, v13
	v_dual_cndmask_b32 v12, v12, v24 :: v_dual_cndmask_b32 v13, v13, v25
	s_delay_alu instid0(VALU_DEP_1) | instskip(SKIP_1) | instid1(VALU_DEP_3)
	v_cndmask_b32_e64 v12, 0, v12, s1
	v_cmp_gt_f64_e32 vcc_lo, 0x10000000, v[20:21]
	v_bitop3_b32 v7, v13, v7, 0x80000000 bitop3:0x78
	s_delay_alu instid0(VALU_DEP_1) | instskip(NEXT) | instid1(VALU_DEP_1)
	v_cndmask_b32_e64 v13, 0x7ff80000, v7, s1
	v_mul_f64_e32 v[12:13], v[18:19], v[12:13]
	v_cndmask_b32_e64 v7, 0, 0x100, vcc_lo
	s_delay_alu instid0(VALU_DEP_2) | instskip(NEXT) | instid1(VALU_DEP_1)
	v_fmac_f64_e32 v[12:13], v[26:27], v[2:3]
	v_mul_f64_e32 v[2:3], 0x3fe9884533d43651, v[12:13]
	s_delay_alu instid0(VALU_DEP_3) | instskip(SKIP_1) | instid1(VALU_DEP_2)
	v_ldexp_f64 v[12:13], v[20:21], v7
	v_cndmask_b32_e64 v7, 0, 0xffffff80, vcc_lo
	v_rsq_f64_e32 v[14:15], v[12:13]
	v_cmp_class_f64_e64 vcc_lo, v[12:13], 0x260
	s_delay_alu instid0(TRANS32_DEP_1) | instskip(SKIP_1) | instid1(VALU_DEP_1)
	v_mul_f64_e32 v[18:19], v[12:13], v[14:15]
	v_mul_f64_e32 v[14:15], 0.5, v[14:15]
	v_fma_f64 v[20:21], -v[14:15], v[18:19], 0.5
	s_delay_alu instid0(VALU_DEP_1) | instskip(SKIP_1) | instid1(VALU_DEP_2)
	v_fmac_f64_e32 v[18:19], v[18:19], v[20:21]
	v_fmac_f64_e32 v[14:15], v[14:15], v[20:21]
	v_fma_f64 v[22:23], -v[18:19], v[18:19], v[12:13]
	s_delay_alu instid0(VALU_DEP_1) | instskip(NEXT) | instid1(VALU_DEP_1)
	v_fmac_f64_e32 v[18:19], v[22:23], v[14:15]
	v_fma_f64 v[20:21], -v[18:19], v[18:19], v[12:13]
	s_delay_alu instid0(VALU_DEP_1) | instskip(NEXT) | instid1(VALU_DEP_1)
	v_fmac_f64_e32 v[18:19], v[20:21], v[14:15]
	v_ldexp_f64 v[14:15], v[18:19], v7
	s_delay_alu instid0(VALU_DEP_1) | instskip(NEXT) | instid1(VALU_DEP_1)
	v_dual_cndmask_b32 v13, v15, v13 :: v_dual_cndmask_b32 v12, v14, v12
	v_div_scale_f64 v[14:15], null, v[12:13], v[12:13], v[2:3]
	s_delay_alu instid0(VALU_DEP_1) | instskip(SKIP_1) | instid1(TRANS32_DEP_1)
	v_rcp_f64_e32 v[18:19], v[14:15]
	v_nop
	v_fma_f64 v[20:21], -v[14:15], v[18:19], 1.0
	s_delay_alu instid0(VALU_DEP_1) | instskip(NEXT) | instid1(VALU_DEP_1)
	v_fmac_f64_e32 v[18:19], v[18:19], v[20:21]
	v_fma_f64 v[20:21], -v[14:15], v[18:19], 1.0
	s_delay_alu instid0(VALU_DEP_1) | instskip(SKIP_1) | instid1(VALU_DEP_1)
	v_fmac_f64_e32 v[18:19], v[18:19], v[20:21]
	v_div_scale_f64 v[20:21], vcc_lo, v[2:3], v[12:13], v[2:3]
	v_mul_f64_e32 v[22:23], v[20:21], v[18:19]
	s_delay_alu instid0(VALU_DEP_1) | instskip(NEXT) | instid1(VALU_DEP_1)
	v_fma_f64 v[14:15], -v[14:15], v[22:23], v[20:21]
	v_div_fmas_f64 v[14:15], v[14:15], v[18:19], v[22:23]
	s_delay_alu instid0(VALU_DEP_1)
	v_div_fixup_f64 v[2:3], v[14:15], v[12:13], v[2:3]
.LBB0_25:
	s_or_b32 exec_lo, exec_lo, s4
	v_mov_b32_e32 v18, 0
	s_delay_alu instid0(VALU_DEP_1)
	v_dual_mov_b32 v19, v18 :: v_dual_mov_b32 v14, v18
	v_dual_mov_b32 v15, v18 :: v_dual_mov_b32 v12, v18
	v_mov_b32_e32 v13, v18
.LBB0_26:
	s_or_b32 exec_lo, exec_lo, s2
	s_delay_alu instid0(SALU_CYCLE_1)
	s_mov_b32 s4, exec_lo
	v_cmpx_lt_i32_e64 v36, v4
	s_cbranch_execz .LBB0_44
; %bb.27:
	s_mov_b32 s1, exec_lo
	s_wait_loadcnt_dscnt 0x0
	v_cmpx_ge_f64_e32 0x40140000, v[16:17]
	s_xor_b32 s2, exec_lo, s1
                                        ; implicit-def: $vgpr18_vgpr19
	s_cbranch_execz .LBB0_33
; %bb.28:
	v_mov_b64_e32 v[18:19], 0xfff0000000000000
	s_mov_b32 s5, exec_lo
	v_cmpx_neq_f64_e32 0, v[16:17]
	s_cbranch_execz .LBB0_32
; %bb.29:
	v_mov_b64_e32 v[18:19], 0x7ff8000000000000
	s_mov_b32 s6, exec_lo
	v_cmpx_nge_f64_e32 0, v[16:17]
	s_cbranch_execz .LBB0_31
; %bb.30:
	v_frexp_mant_f64_e32 v[18:19], v[16:17]
	s_mov_b64 s[8:9], 0x3fe5555555555555
	s_delay_alu instid0(VALU_DEP_1) | instid1(SALU_CYCLE_1)
	v_cmp_gt_f64_e32 vcc_lo, s[8:9], v[18:19]
	s_mov_b64 s[8:9], 0x3fc3ab76bf559e2b
	v_cndmask_b32_e64 v7, 0, 1, vcc_lo
	s_delay_alu instid0(VALU_DEP_1) | instskip(SKIP_1) | instid1(VALU_DEP_2)
	v_ldexp_f64 v[18:19], v[18:19], v7
	v_frexp_exp_i32_f64_e32 v7, v[16:17]
	v_add_f64_e32 v[20:21], 1.0, v[18:19]
	v_add_f64_e32 v[26:27], -1.0, v[18:19]
	s_delay_alu instid0(VALU_DEP_3) | instskip(NEXT) | instid1(VALU_DEP_3)
	v_subrev_co_ci_u32_e64 v7, null, 0, v7, vcc_lo
	v_rcp_f64_e32 v[22:23], v[20:21]
	v_add_f64_e32 v[28:29], -1.0, v[20:21]
	s_delay_alu instid0(VALU_DEP_1) | instskip(NEXT) | instid1(TRANS32_DEP_1)
	v_add_f64_e64 v[18:19], v[18:19], -v[28:29]
	v_fma_f64 v[24:25], -v[20:21], v[22:23], 1.0
	s_delay_alu instid0(VALU_DEP_1) | instskip(NEXT) | instid1(VALU_DEP_1)
	v_fmac_f64_e32 v[22:23], v[24:25], v[22:23]
	v_fma_f64 v[24:25], -v[20:21], v[22:23], 1.0
	s_delay_alu instid0(VALU_DEP_1) | instskip(NEXT) | instid1(VALU_DEP_1)
	v_fmac_f64_e32 v[22:23], v[24:25], v[22:23]
	v_mul_f64_e32 v[24:25], v[26:27], v[22:23]
	s_delay_alu instid0(VALU_DEP_1) | instskip(NEXT) | instid1(VALU_DEP_1)
	v_mul_f64_e32 v[30:31], v[20:21], v[24:25]
	v_fma_f64 v[20:21], v[24:25], v[20:21], -v[30:31]
	s_delay_alu instid0(VALU_DEP_1) | instskip(NEXT) | instid1(VALU_DEP_1)
	v_fmac_f64_e32 v[20:21], v[24:25], v[18:19]
	v_add_f64_e32 v[18:19], v[30:31], v[20:21]
	s_delay_alu instid0(VALU_DEP_1) | instskip(SKIP_1) | instid1(VALU_DEP_2)
	v_add_f64_e64 v[28:29], v[26:27], -v[18:19]
	v_add_f64_e64 v[30:31], v[18:19], -v[30:31]
	;; [unrolled: 1-line block ×3, first 2 shown]
	s_delay_alu instid0(VALU_DEP_2) | instskip(SKIP_1) | instid1(VALU_DEP_3)
	v_add_f64_e64 v[20:21], v[30:31], -v[20:21]
	v_cvt_f64_i32_e32 v[30:31], v7
	v_add_f64_e64 v[18:19], v[26:27], -v[18:19]
	s_delay_alu instid0(VALU_DEP_2) | instskip(NEXT) | instid1(VALU_DEP_2)
	v_mul_f64_e32 v[38:39], 0x3fe62e42fefa39ef, v[30:31]
	v_add_f64_e32 v[18:19], v[20:21], v[18:19]
	s_delay_alu instid0(VALU_DEP_1) | instskip(NEXT) | instid1(VALU_DEP_1)
	v_add_f64_e32 v[18:19], v[28:29], v[18:19]
	v_mul_f64_e32 v[18:19], v[22:23], v[18:19]
	s_delay_alu instid0(VALU_DEP_1) | instskip(NEXT) | instid1(VALU_DEP_1)
	v_add_f64_e32 v[20:21], v[24:25], v[18:19]
	v_mul_f64_e32 v[22:23], v[20:21], v[20:21]
	s_delay_alu instid0(VALU_DEP_1) | instskip(SKIP_2) | instid1(SALU_CYCLE_1)
	v_fmaak_f64 v[26:27], s[8:9], v[22:23], 0x3fc385386b47b09a
	v_mul_f64_e32 v[28:29], v[20:21], v[22:23]
	s_mov_b64 s[8:9], 0x3fe62e42fefa39ef
	v_fma_f64 v[50:51], v[30:31], s[8:9], -v[38:39]
	s_delay_alu instid0(VALU_DEP_3) | instskip(NEXT) | instid1(VALU_DEP_1)
	v_fmaak_f64 v[26:27], v[22:23], v[26:27], 0x3fc7474dd7f4df2e
	v_fmaak_f64 v[26:27], v[22:23], v[26:27], 0x3fcc71c016291751
	s_delay_alu instid0(VALU_DEP_1) | instskip(NEXT) | instid1(VALU_DEP_1)
	v_fmaak_f64 v[26:27], v[22:23], v[26:27], 0x3fd249249b27acf1
	v_fmaak_f64 v[26:27], v[22:23], v[26:27], 0x3fd99999998ef7b6
	s_delay_alu instid0(VALU_DEP_1) | instskip(SKIP_3) | instid1(VALU_DEP_4)
	v_fmaak_f64 v[22:23], v[22:23], v[26:27], 0x3fe5555555555780
	v_ldexp_f64 v[26:27], v[20:21], 1
	v_add_f64_e64 v[20:21], v[20:21], -v[24:25]
	v_fmamk_f64 v[30:31], v[30:31], 0x3c7abc9e3b39803f, v[50:51]
	v_mul_f64_e32 v[22:23], v[28:29], v[22:23]
	v_mul_f64_e32 v[28:29], v[16:17], v[16:17]
	s_delay_alu instid0(VALU_DEP_3) | instskip(SKIP_1) | instid1(VALU_DEP_4)
	v_add_f64_e32 v[50:51], v[38:39], v[30:31]
	v_add_f64_e64 v[18:19], v[18:19], -v[20:21]
	v_add_f64_e32 v[24:25], v[26:27], v[22:23]
	s_delay_alu instid0(VALU_DEP_4)
	v_fmaak_f64 v[32:33], 0, v[28:29], 0x40829269a93f7ac2
	v_fmaak_f64 v[34:35], 0, v[28:29], 0x408366b11b7086e7
	;; [unrolled: 1-line block ×3, first 2 shown]
	v_add_f64_e64 v[38:39], v[50:51], -v[38:39]
	v_ldexp_f64 v[18:19], v[18:19], 1
	v_add_f64_e64 v[20:21], v[24:25], -v[26:27]
	v_fmaak_f64 v[26:27], v[28:29], v[32:33], 0x410cc160be58ef7f
	v_fmaak_f64 v[32:33], v[28:29], v[34:35], 0x410f5eda0dd701b2
	;; [unrolled: 1-line block ×3, first 2 shown]
	v_add_f64_e64 v[30:31], v[30:31], -v[38:39]
	s_delay_alu instid0(VALU_DEP_4) | instskip(NEXT) | instid1(VALU_DEP_4)
	v_fmaak_f64 v[26:27], v[28:29], v[26:27], 0x419184efa9c8acee
	v_fmaak_f64 v[32:33], v[28:29], v[32:33], 0x4193e954dc92a1b1
	s_delay_alu instid0(VALU_DEP_4) | instskip(NEXT) | instid1(VALU_DEP_3)
	v_fmaak_f64 v[34:35], v[28:29], v[34:35], 0xc262d72d58836521
	v_fmaak_f64 v[26:27], v[28:29], v[26:27], 0x421178c3906b7b83
	s_delay_alu instid0(VALU_DEP_3) | instskip(NEXT) | instid1(VALU_DEP_3)
	v_fmaak_f64 v[32:33], v[28:29], v[32:33], 0x4214a13f7befeac1
	v_fmaak_f64 v[34:35], v[28:29], v[34:35], 0x42da0954b0910fef
	s_delay_alu instid0(VALU_DEP_3) | instskip(NEXT) | instid1(VALU_DEP_3)
	;; [unrolled: 3-line block ×4, first 2 shown]
	v_fmaak_f64 v[32:33], v[28:29], v[32:33], 0x43064b0a3eccf45f
	v_fmaak_f64 v[34:35], v[28:29], v[34:35], 0x438679ad0b7366b1
	v_add_f64_e64 v[20:21], v[22:23], -v[20:21]
	v_fmaak_f64 v[22:23], v[28:29], v[48:49], 0x425a52ba0d438c6b
	v_fmaak_f64 v[26:27], v[28:29], v[26:27], 0x436e83e3c547a488
	;; [unrolled: 1-line block ×4, first 2 shown]
	s_delay_alu instid0(VALU_DEP_4) | instskip(NEXT) | instid1(VALU_DEP_4)
	v_fmaak_f64 v[22:23], v[28:29], v[22:23], 0xc2d08a92e6ccf175
	v_fmaak_f64 v[26:27], v[28:29], v[26:27], 0x43cb90f190f6747f
	s_delay_alu instid0(VALU_DEP_2) | instskip(SKIP_1) | instid1(VALU_DEP_3)
	v_fmaak_f64 v[22:23], v[28:29], v[22:23], 0x432a2b42a697c482
	v_fmaak_f64 v[28:29], v[28:29], v[32:33], 0x43d2779576702939
	v_div_scale_f64 v[32:33], null, v[26:27], v[26:27], v[34:35]
	v_div_scale_f64 v[86:87], vcc_lo, v[34:35], v[26:27], v[34:35]
	s_delay_alu instid0(VALU_DEP_3) | instskip(SKIP_1) | instid1(VALU_DEP_4)
	v_div_scale_f64 v[48:49], null, v[28:29], v[28:29], v[22:23]
	v_add_f64_e32 v[18:19], v[18:19], v[20:21]
	v_rcp_f64_e32 v[20:21], v[32:33]
	s_delay_alu instid0(VALU_DEP_2) | instskip(NEXT) | instid1(VALU_DEP_1)
	v_rcp_f64_e32 v[52:53], v[48:49]
	v_add_f64_e32 v[54:55], v[24:25], v[18:19]
	s_delay_alu instid0(TRANS32_DEP_2) | instskip(NEXT) | instid1(TRANS32_DEP_1)
	v_fma_f64 v[64:65], -v[32:33], v[20:21], 1.0
	v_fma_f64 v[66:67], -v[48:49], v[52:53], 1.0
	s_delay_alu instid0(VALU_DEP_3) | instskip(SKIP_1) | instid1(VALU_DEP_4)
	v_add_f64_e32 v[68:69], v[50:51], v[54:55]
	v_add_f64_e64 v[24:25], v[54:55], -v[24:25]
	v_fmac_f64_e32 v[20:21], v[20:21], v[64:65]
	v_div_scale_f64 v[64:65], null, v[16:17], v[16:17], -1.0
	v_fmac_f64_e32 v[52:53], v[52:53], v[66:67]
	v_add_f64_e64 v[66:67], v[68:69], -v[50:51]
	v_add_f64_e64 v[18:19], v[18:19], -v[24:25]
	v_fma_f64 v[70:71], -v[32:33], v[20:21], 1.0
	v_rcp_f64_e32 v[80:81], v[64:65]
	s_delay_alu instid0(VALU_DEP_4) | instskip(NEXT) | instid1(VALU_DEP_4)
	v_fma_f64 v[82:83], -v[48:49], v[52:53], 1.0
	v_add_f64_e64 v[84:85], v[68:69], -v[66:67]
	v_add_f64_e64 v[24:25], v[54:55], -v[66:67]
	s_delay_alu instid0(VALU_DEP_4) | instskip(SKIP_4) | instid1(TRANS32_DEP_1)
	v_fmac_f64_e32 v[20:21], v[20:21], v[70:71]
	v_div_scale_f64 v[70:71], s1, v[22:23], v[28:29], v[22:23]
	v_fmac_f64_e32 v[52:53], v[52:53], v[82:83]
	v_add_f64_e32 v[82:83], v[30:31], v[18:19]
	v_add_f64_e64 v[38:39], v[50:51], -v[84:85]
	v_fma_f64 v[50:51], -v[64:65], v[80:81], 1.0
	v_mul_f64_e32 v[54:55], v[86:87], v[20:21]
	v_mul_f64_e32 v[66:67], v[70:71], v[52:53]
	s_delay_alu instid0(VALU_DEP_4) | instskip(NEXT) | instid1(VALU_DEP_4)
	v_add_f64_e32 v[24:25], v[24:25], v[38:39]
	v_fmac_f64_e32 v[80:81], v[80:81], v[50:51]
	s_delay_alu instid0(VALU_DEP_4) | instskip(NEXT) | instid1(VALU_DEP_4)
	v_fma_f64 v[32:33], -v[32:33], v[54:55], v[86:87]
	v_fma_f64 v[38:39], -v[48:49], v[66:67], v[70:71]
	v_add_f64_e64 v[48:49], v[82:83], -v[30:31]
	v_add_f64_e32 v[24:25], v[82:83], v[24:25]
	v_fma_f64 v[50:51], -v[64:65], v[80:81], 1.0
	v_div_fmas_f64 v[20:21], v[32:33], v[20:21], v[54:55]
	s_mov_b32 vcc_lo, s1
	v_div_fmas_f64 v[32:33], v[38:39], v[52:53], v[66:67]
	v_add_f64_e64 v[38:39], v[82:83], -v[48:49]
	v_div_scale_f64 v[54:55], vcc_lo, -1.0, v[16:17], -1.0
	v_add_f64_e32 v[52:53], v[68:69], v[24:25]
	v_fmac_f64_e32 v[80:81], v[80:81], v[50:51]
	v_add_f64_e64 v[18:19], v[18:19], -v[48:49]
	v_div_fixup_f64 v[20:21], v[20:21], v[26:27], v[34:35]
	v_div_fixup_f64 v[22:23], v[32:33], v[28:29], v[22:23]
	v_add_f64_e64 v[28:29], v[30:31], -v[38:39]
	v_add_f64_e64 v[30:31], v[52:53], -v[68:69]
	v_mul_f64_e32 v[32:33], v[54:55], v[80:81]
	s_delay_alu instid0(VALU_DEP_4) | instskip(NEXT) | instid1(VALU_DEP_4)
	v_mul_f64_e32 v[22:23], v[16:17], v[22:23]
	v_add_f64_e32 v[18:19], v[18:19], v[28:29]
	s_delay_alu instid0(VALU_DEP_4) | instskip(NEXT) | instid1(VALU_DEP_4)
	v_add_f64_e64 v[24:25], v[24:25], -v[30:31]
	v_fma_f64 v[28:29], -v[64:65], v[32:33], v[54:55]
	v_fmaak_f64 v[30:31], v[16:17], v[16:17], 0xc02d5d2b4189822c
	s_delay_alu instid0(VALU_DEP_1) | instskip(NEXT) | instid1(VALU_DEP_4)
	v_mul_f64_e32 v[22:23], v[30:31], v[22:23]
	v_add_f64_e32 v[18:19], v[18:19], v[24:25]
	s_delay_alu instid0(VALU_DEP_4) | instskip(SKIP_1) | instid1(VALU_DEP_1)
	v_div_fmas_f64 v[24:25], v[28:29], v[80:81], v[32:33]
	v_fmaak_f64 v[28:29], v[16:17], v[16:17], 0xc0489bf66072a432
	v_mul_f64_e32 v[22:23], v[28:29], v[22:23]
	s_delay_alu instid0(VALU_DEP_4) | instskip(NEXT) | instid1(VALU_DEP_4)
	v_add_f64_e32 v[18:19], v[52:53], v[18:19]
	v_div_fixup_f64 v[24:25], v[24:25], v[16:17], -1.0
	s_delay_alu instid0(VALU_DEP_1) | instskip(NEXT) | instid1(VALU_DEP_1)
	v_fmac_f64_e32 v[24:25], v[22:23], v[18:19]
	v_mul_f64_e32 v[18:19], 0x3fe45f306dc9c883, v[24:25]
	s_delay_alu instid0(VALU_DEP_1)
	v_fmac_f64_e32 v[18:19], v[16:17], v[20:21]
.LBB0_31:
	s_or_b32 exec_lo, exec_lo, s6
.LBB0_32:
	s_delay_alu instid0(SALU_CYCLE_1)
	s_or_b32 exec_lo, exec_lo, s5
                                        ; implicit-def: $vgpr16_vgpr17
.LBB0_33:
	s_and_not1_saveexec_b32 s5, s2
	s_cbranch_execz .LBB0_43
; %bb.34:
	v_add_f64_e32 v[18:19], 0xc002d97c7f3321d2, v[16:17]
                                        ; implicit-def: $vgpr7
                                        ; implicit-def: $vgpr20_vgpr21
                                        ; implicit-def: $vgpr22_vgpr23
	s_delay_alu instid0(VALU_DEP_1)
	v_cmp_ngt_f64_e64 s1, 0x41d00000, |v[18:19]|
	v_trig_preop_f64 v[32:33], |v[18:19]|, 0
	v_trig_preop_f64 v[30:31], |v[18:19]|, 1
	v_ldexp_f64 v[34:35], |v[18:19]|, 0xffffff80
	v_trig_preop_f64 v[28:29], |v[18:19]|, 2
	v_and_b32_e32 v38, 0x7fffffff, v19
	s_and_saveexec_b32 s2, s1
	s_delay_alu instid0(SALU_CYCLE_1)
	s_xor_b32 s2, exec_lo, s2
	s_cbranch_execz .LBB0_36
; %bb.35:
	v_cmp_le_f64_e64 vcc_lo, 0x7b000000, |v[18:19]|
	s_mov_b64 s[6:7], 0x3ff921fb54442d18
	v_dual_mov_b32 v68, 0 :: v_dual_cndmask_b32 v21, v38, v35
	v_cndmask_b32_e32 v20, v18, v34, vcc_lo
	s_delay_alu instid0(VALU_DEP_1) | instskip(SKIP_1) | instid1(VALU_DEP_2)
	v_mul_f64_e32 v[22:23], v[32:33], v[20:21]
	v_mul_f64_e32 v[24:25], v[30:31], v[20:21]
	v_fma_f64 v[26:27], v[32:33], v[20:21], -v[22:23]
	s_delay_alu instid0(VALU_DEP_1) | instskip(NEXT) | instid1(VALU_DEP_1)
	v_add_f64_e32 v[48:49], v[24:25], v[26:27]
	v_add_f64_e64 v[50:51], v[48:49], -v[24:25]
	v_add_f64_e32 v[54:55], v[22:23], v[48:49]
	v_fma_f64 v[66:67], v[30:31], v[20:21], -v[24:25]
	s_delay_alu instid0(VALU_DEP_3) | instskip(SKIP_1) | instid1(VALU_DEP_4)
	v_add_f64_e64 v[52:53], v[48:49], -v[50:51]
	v_add_f64_e64 v[26:27], v[26:27], -v[50:51]
	v_ldexp_f64 v[50:51], v[54:55], -2
	s_delay_alu instid0(VALU_DEP_3) | instskip(SKIP_1) | instid1(VALU_DEP_3)
	v_add_f64_e64 v[24:25], v[24:25], -v[52:53]
	v_mul_f64_e32 v[64:65], v[28:29], v[20:21]
	v_cmp_neq_f64_e64 vcc_lo, 0x7ff00000, |v[50:51]|
	s_delay_alu instid0(VALU_DEP_3) | instskip(SKIP_1) | instid1(VALU_DEP_4)
	v_add_f64_e32 v[24:25], v[26:27], v[24:25]
	v_fract_f64_e32 v[26:27], v[50:51]
	v_add_f64_e32 v[52:53], v[64:65], v[66:67]
	v_fma_f64 v[20:21], v[28:29], v[20:21], -v[64:65]
	s_delay_alu instid0(VALU_DEP_3) | instskip(NEXT) | instid1(VALU_DEP_1)
	v_ldexp_f64 v[26:27], v[26:27], 2
	v_cndmask_b32_e32 v27, 0, v27, vcc_lo
	v_add_f64_e64 v[22:23], v[54:55], -v[22:23]
	s_delay_alu instid0(VALU_DEP_3) | instskip(NEXT) | instid1(VALU_DEP_2)
	v_cndmask_b32_e32 v26, 0, v26, vcc_lo
	v_add_f64_e64 v[22:23], v[48:49], -v[22:23]
	v_add_f64_e32 v[48:49], v[52:53], v[24:25]
	s_delay_alu instid0(VALU_DEP_1) | instskip(SKIP_1) | instid1(VALU_DEP_2)
	v_add_f64_e32 v[50:51], v[22:23], v[48:49]
	v_add_f64_e64 v[70:71], v[48:49], -v[52:53]
	v_add_f64_e32 v[54:55], v[50:51], v[26:27]
	s_delay_alu instid0(VALU_DEP_2) | instskip(SKIP_2) | instid1(VALU_DEP_4)
	v_add_f64_e64 v[84:85], v[48:49], -v[70:71]
	v_add_f64_e64 v[24:25], v[24:25], -v[70:71]
	;; [unrolled: 1-line block ×3, first 2 shown]
	v_cmp_gt_f64_e32 vcc_lo, 0, v[54:55]
	v_add_f64_e64 v[54:55], v[52:53], -v[64:65]
	s_delay_alu instid0(VALU_DEP_3) | instskip(SKIP_1) | instid1(VALU_DEP_3)
	v_add_f64_e64 v[22:23], v[48:49], -v[22:23]
	v_cndmask_b32_e64 v69, 0, 0x40100000, vcc_lo
	v_add_f64_e64 v[82:83], v[52:53], -v[54:55]
	v_add_f64_e64 v[54:55], v[66:67], -v[54:55]
	v_add_f64_e64 v[52:53], v[52:53], -v[84:85]
	s_delay_alu instid0(VALU_DEP_4) | instskip(NEXT) | instid1(VALU_DEP_4)
	v_add_f64_e32 v[26:27], v[26:27], v[68:69]
	v_add_f64_e64 v[66:67], v[64:65], -v[82:83]
	s_delay_alu instid0(VALU_DEP_3) | instskip(NEXT) | instid1(VALU_DEP_3)
	v_add_f64_e32 v[24:25], v[24:25], v[52:53]
	v_add_f64_e32 v[80:81], v[50:51], v[26:27]
	s_delay_alu instid0(VALU_DEP_3) | instskip(NEXT) | instid1(VALU_DEP_2)
	v_add_f64_e32 v[54:55], v[54:55], v[66:67]
	v_cvt_i32_f64_e32 v7, v[80:81]
	s_delay_alu instid0(VALU_DEP_2) | instskip(NEXT) | instid1(VALU_DEP_2)
	v_add_f64_e32 v[24:25], v[54:55], v[24:25]
	v_cvt_f64_i32_e32 v[70:71], v7
	s_delay_alu instid0(VALU_DEP_2) | instskip(NEXT) | instid1(VALU_DEP_2)
	v_add_f64_e32 v[20:21], v[20:21], v[24:25]
	v_add_f64_e64 v[26:27], v[26:27], -v[70:71]
	s_delay_alu instid0(VALU_DEP_2) | instskip(NEXT) | instid1(VALU_DEP_2)
	v_add_f64_e32 v[20:21], v[22:23], v[20:21]
	v_add_f64_e32 v[52:53], v[50:51], v[26:27]
	s_delay_alu instid0(VALU_DEP_1) | instskip(SKIP_1) | instid1(VALU_DEP_2)
	v_add_f64_e64 v[24:25], v[52:53], -v[26:27]
	v_cmp_le_f64_e32 vcc_lo, 0.5, v[52:53]
	v_add_f64_e64 v[22:23], v[50:51], -v[24:25]
	v_cndmask_b32_e64 v69, 0, 0x3ff00000, vcc_lo
	v_add_co_ci_u32_e64 v7, null, 0, v7, vcc_lo
	s_delay_alu instid0(VALU_DEP_3) | instskip(NEXT) | instid1(VALU_DEP_3)
	v_add_f64_e32 v[20:21], v[20:21], v[22:23]
	v_add_f64_e64 v[22:23], v[52:53], -v[68:69]
	s_delay_alu instid0(VALU_DEP_1) | instskip(NEXT) | instid1(VALU_DEP_1)
	v_add_f64_e32 v[24:25], v[22:23], v[20:21]
	v_mul_f64_e32 v[26:27], 0x3ff921fb54442d18, v[24:25]
	v_add_f64_e64 v[22:23], v[24:25], -v[22:23]
	s_delay_alu instid0(VALU_DEP_2) | instskip(NEXT) | instid1(VALU_DEP_2)
	v_fma_f64 v[48:49], v[24:25], s[6:7], -v[26:27]
	v_add_f64_e64 v[20:21], v[20:21], -v[22:23]
	s_delay_alu instid0(VALU_DEP_2) | instskip(NEXT) | instid1(VALU_DEP_1)
	v_fmamk_f64 v[22:23], v[24:25], 0x3c91a62633145c07, v[48:49]
	v_fmac_f64_e32 v[22:23], 0x3ff921fb54442d18, v[20:21]
	s_delay_alu instid0(VALU_DEP_1) | instskip(NEXT) | instid1(VALU_DEP_1)
	v_add_f64_e32 v[20:21], v[26:27], v[22:23]
	v_add_f64_e64 v[24:25], v[20:21], -v[26:27]
	s_delay_alu instid0(VALU_DEP_1)
	v_add_f64_e64 v[22:23], v[22:23], -v[24:25]
	s_and_not1_saveexec_b32 s2, s2
	s_cbranch_execz .LBB0_38
	s_branch .LBB0_37
.LBB0_36:
	s_and_not1_saveexec_b32 s2, s2
	s_cbranch_execz .LBB0_38
.LBB0_37:
	s_mov_b64 s[6:7], 0x3fe45f306dc9c883
	s_delay_alu instid0(SALU_CYCLE_1) | instskip(SKIP_1) | instid1(VALU_DEP_1)
	v_mul_f64_e64 v[20:21], |v[18:19]|, s[6:7]
	s_mov_b64 s[6:7], 0xbff921fb54442d18
	v_rndne_f64_e32 v[24:25], v[20:21]
	s_delay_alu instid0(VALU_DEP_1) | instskip(SKIP_2) | instid1(VALU_DEP_3)
	v_fma_f64 v[20:21], v[24:25], s[6:7], |v[18:19]|
	v_mul_f64_e32 v[22:23], 0xbc91a62633145c00, v[24:25]
	v_cvt_i32_f64_e32 v7, v[24:25]
	v_fmamk_f64 v[50:51], v[24:25], 0xbc91a62633145c00, v[20:21]
	s_delay_alu instid0(VALU_DEP_3) | instskip(NEXT) | instid1(VALU_DEP_1)
	v_add_f64_e32 v[26:27], v[20:21], v[22:23]
	v_add_f64_e64 v[48:49], v[20:21], -v[26:27]
	s_delay_alu instid0(VALU_DEP_3) | instskip(NEXT) | instid1(VALU_DEP_2)
	v_add_f64_e64 v[20:21], v[26:27], -v[50:51]
	v_add_f64_e32 v[26:27], v[48:49], v[22:23]
	v_fmamk_f64 v[22:23], v[24:25], 0x3c91a62633145c00, v[22:23]
	s_delay_alu instid0(VALU_DEP_2) | instskip(NEXT) | instid1(VALU_DEP_1)
	v_add_f64_e32 v[20:21], v[20:21], v[26:27]
	v_add_f64_e64 v[20:21], v[20:21], -v[22:23]
	s_delay_alu instid0(VALU_DEP_1) | instskip(NEXT) | instid1(VALU_DEP_1)
	v_fmamk_f64 v[22:23], v[24:25], 0xb97b839a252049c0, v[20:21]
	v_add_f64_e32 v[20:21], v[50:51], v[22:23]
	s_delay_alu instid0(VALU_DEP_1) | instskip(NEXT) | instid1(VALU_DEP_1)
	v_add_f64_e64 v[26:27], v[20:21], -v[50:51]
	v_add_f64_e64 v[22:23], v[22:23], -v[26:27]
.LBB0_38:
	s_or_b32 exec_lo, exec_lo, s2
                                        ; implicit-def: $vgpr37
                                        ; implicit-def: $vgpr24_vgpr25
                                        ; implicit-def: $vgpr26_vgpr27
	s_and_saveexec_b32 s2, s1
	s_delay_alu instid0(SALU_CYCLE_1)
	s_xor_b32 s1, exec_lo, s2
	s_cbranch_execz .LBB0_40
; %bb.39:
	v_cmp_le_f64_e64 vcc_lo, 0x7b000000, |v[18:19]|
	s_mov_b64 s[6:7], 0x3ff921fb54442d18
	v_dual_mov_b32 v64, 0 :: v_dual_cndmask_b32 v25, v38, v35
	v_cndmask_b32_e32 v24, v18, v34, vcc_lo
	s_delay_alu instid0(VALU_DEP_1) | instskip(SKIP_1) | instid1(VALU_DEP_2)
	v_mul_f64_e32 v[26:27], v[32:33], v[24:25]
	v_mul_f64_e32 v[34:35], v[30:31], v[24:25]
	v_fma_f64 v[32:33], v[32:33], v[24:25], -v[26:27]
	s_delay_alu instid0(VALU_DEP_1) | instskip(NEXT) | instid1(VALU_DEP_1)
	v_add_f64_e32 v[38:39], v[34:35], v[32:33]
	v_add_f64_e64 v[48:49], v[38:39], -v[34:35]
	v_add_f64_e32 v[52:53], v[26:27], v[38:39]
	s_delay_alu instid0(VALU_DEP_2) | instskip(SKIP_2) | instid1(VALU_DEP_4)
	v_add_f64_e64 v[50:51], v[38:39], -v[48:49]
	v_add_f64_e64 v[32:33], v[32:33], -v[48:49]
	v_fma_f64 v[30:31], v[30:31], v[24:25], -v[34:35]
	v_ldexp_f64 v[48:49], v[52:53], -2
	s_delay_alu instid0(VALU_DEP_4) | instskip(NEXT) | instid1(VALU_DEP_2)
	v_add_f64_e64 v[34:35], v[34:35], -v[50:51]
	v_cmp_neq_f64_e64 vcc_lo, 0x7ff00000, |v[48:49]|
	s_delay_alu instid0(VALU_DEP_2) | instskip(SKIP_1) | instid1(VALU_DEP_1)
	v_add_f64_e32 v[32:33], v[32:33], v[34:35]
	v_fract_f64_e32 v[34:35], v[48:49]
	v_ldexp_f64 v[34:35], v[34:35], 2
	s_delay_alu instid0(VALU_DEP_1) | instskip(NEXT) | instid1(VALU_DEP_2)
	v_dual_mul_f64 v[54:55], v[28:29], v[24:25] :: v_dual_cndmask_b32 v35, 0, v35, vcc_lo
	v_cndmask_b32_e32 v34, 0, v34, vcc_lo
	v_add_f64_e64 v[26:27], v[52:53], -v[26:27]
	s_delay_alu instid0(VALU_DEP_3) | instskip(SKIP_1) | instid1(VALU_DEP_3)
	v_add_f64_e32 v[50:51], v[54:55], v[30:31]
	v_fma_f64 v[24:25], v[28:29], v[24:25], -v[54:55]
	v_add_f64_e64 v[26:27], v[38:39], -v[26:27]
	s_delay_alu instid0(VALU_DEP_3) | instskip(NEXT) | instid1(VALU_DEP_1)
	v_add_f64_e32 v[38:39], v[50:51], v[32:33]
	v_add_f64_e32 v[48:49], v[26:27], v[38:39]
	v_add_f64_e64 v[66:67], v[38:39], -v[50:51]
	s_delay_alu instid0(VALU_DEP_2) | instskip(NEXT) | instid1(VALU_DEP_2)
	v_add_f64_e32 v[52:53], v[48:49], v[34:35]
	v_add_f64_e64 v[80:81], v[38:39], -v[66:67]
	v_add_f64_e64 v[32:33], v[32:33], -v[66:67]
	;; [unrolled: 1-line block ×3, first 2 shown]
	s_delay_alu instid0(VALU_DEP_4) | instskip(SKIP_1) | instid1(VALU_DEP_3)
	v_cmp_gt_f64_e32 vcc_lo, 0, v[52:53]
	v_add_f64_e64 v[52:53], v[50:51], -v[54:55]
	v_add_f64_e64 v[26:27], v[38:39], -v[26:27]
	v_cndmask_b32_e64 v65, 0, 0x40100000, vcc_lo
	s_delay_alu instid0(VALU_DEP_3) | instskip(SKIP_2) | instid1(VALU_DEP_4)
	v_add_f64_e64 v[70:71], v[50:51], -v[52:53]
	v_add_f64_e64 v[30:31], v[30:31], -v[52:53]
	;; [unrolled: 1-line block ×3, first 2 shown]
	v_add_f64_e32 v[34:35], v[34:35], v[64:65]
	s_delay_alu instid0(VALU_DEP_4) | instskip(NEXT) | instid1(VALU_DEP_3)
	v_add_f64_e64 v[52:53], v[54:55], -v[70:71]
	v_add_f64_e32 v[32:33], v[32:33], v[50:51]
	s_delay_alu instid0(VALU_DEP_3) | instskip(NEXT) | instid1(VALU_DEP_3)
	v_add_f64_e32 v[68:69], v[48:49], v[34:35]
	v_add_f64_e32 v[30:31], v[30:31], v[52:53]
	s_delay_alu instid0(VALU_DEP_2) | instskip(NEXT) | instid1(VALU_DEP_2)
	v_cvt_i32_f64_e32 v37, v[68:69]
	v_add_f64_e32 v[28:29], v[30:31], v[32:33]
	s_delay_alu instid0(VALU_DEP_2) | instskip(NEXT) | instid1(VALU_DEP_2)
	v_cvt_f64_i32_e32 v[66:67], v37
	v_add_f64_e32 v[24:25], v[24:25], v[28:29]
	s_delay_alu instid0(VALU_DEP_2) | instskip(NEXT) | instid1(VALU_DEP_2)
	v_add_f64_e64 v[34:35], v[34:35], -v[66:67]
	v_add_f64_e32 v[24:25], v[26:27], v[24:25]
	s_delay_alu instid0(VALU_DEP_2) | instskip(NEXT) | instid1(VALU_DEP_1)
	v_add_f64_e32 v[30:31], v[48:49], v[34:35]
	v_add_f64_e64 v[28:29], v[30:31], -v[34:35]
	v_cmp_le_f64_e32 vcc_lo, 0.5, v[30:31]
	s_delay_alu instid0(VALU_DEP_2) | instskip(SKIP_2) | instid1(VALU_DEP_3)
	v_add_f64_e64 v[26:27], v[48:49], -v[28:29]
	v_cndmask_b32_e64 v65, 0, 0x3ff00000, vcc_lo
	v_add_co_ci_u32_e64 v37, null, 0, v37, vcc_lo
	v_add_f64_e32 v[24:25], v[24:25], v[26:27]
	s_delay_alu instid0(VALU_DEP_3) | instskip(NEXT) | instid1(VALU_DEP_1)
	v_add_f64_e64 v[26:27], v[30:31], -v[64:65]
	v_add_f64_e32 v[28:29], v[26:27], v[24:25]
	s_delay_alu instid0(VALU_DEP_1) | instskip(SKIP_1) | instid1(VALU_DEP_2)
	v_mul_f64_e32 v[30:31], 0x3ff921fb54442d18, v[28:29]
	v_add_f64_e64 v[26:27], v[28:29], -v[26:27]
	v_fma_f64 v[32:33], v[28:29], s[6:7], -v[30:31]
	s_delay_alu instid0(VALU_DEP_2) | instskip(NEXT) | instid1(VALU_DEP_2)
	v_add_f64_e64 v[24:25], v[24:25], -v[26:27]
	v_fmamk_f64 v[26:27], v[28:29], 0x3c91a62633145c07, v[32:33]
	s_delay_alu instid0(VALU_DEP_1) | instskip(NEXT) | instid1(VALU_DEP_1)
	v_fmac_f64_e32 v[26:27], 0x3ff921fb54442d18, v[24:25]
	v_add_f64_e32 v[24:25], v[30:31], v[26:27]
	s_delay_alu instid0(VALU_DEP_1) | instskip(NEXT) | instid1(VALU_DEP_1)
	v_add_f64_e64 v[28:29], v[24:25], -v[30:31]
	v_add_f64_e64 v[26:27], v[26:27], -v[28:29]
	s_and_not1_saveexec_b32 s1, s1
	s_cbranch_execnz .LBB0_41
	s_branch .LBB0_42
.LBB0_40:
	s_and_not1_saveexec_b32 s1, s1
	s_cbranch_execz .LBB0_42
.LBB0_41:
	s_mov_b64 s[6:7], 0x3fe45f306dc9c883
	s_delay_alu instid0(SALU_CYCLE_1) | instskip(SKIP_1) | instid1(VALU_DEP_1)
	v_mul_f64_e64 v[24:25], |v[18:19]|, s[6:7]
	s_mov_b64 s[6:7], 0xbff921fb54442d18
	v_rndne_f64_e32 v[28:29], v[24:25]
	s_delay_alu instid0(VALU_DEP_1) | instskip(SKIP_2) | instid1(VALU_DEP_3)
	v_fma_f64 v[24:25], v[28:29], s[6:7], |v[18:19]|
	v_mul_f64_e32 v[26:27], 0xbc91a62633145c00, v[28:29]
	v_cvt_i32_f64_e32 v37, v[28:29]
	v_fmamk_f64 v[34:35], v[28:29], 0xbc91a62633145c00, v[24:25]
	s_delay_alu instid0(VALU_DEP_3) | instskip(NEXT) | instid1(VALU_DEP_1)
	v_add_f64_e32 v[30:31], v[24:25], v[26:27]
	v_add_f64_e64 v[32:33], v[24:25], -v[30:31]
	s_delay_alu instid0(VALU_DEP_3) | instskip(NEXT) | instid1(VALU_DEP_2)
	v_add_f64_e64 v[24:25], v[30:31], -v[34:35]
	v_add_f64_e32 v[30:31], v[32:33], v[26:27]
	v_fmamk_f64 v[26:27], v[28:29], 0x3c91a62633145c00, v[26:27]
	s_delay_alu instid0(VALU_DEP_2) | instskip(NEXT) | instid1(VALU_DEP_1)
	v_add_f64_e32 v[24:25], v[24:25], v[30:31]
	v_add_f64_e64 v[24:25], v[24:25], -v[26:27]
	s_delay_alu instid0(VALU_DEP_1) | instskip(NEXT) | instid1(VALU_DEP_1)
	v_fmamk_f64 v[26:27], v[28:29], 0xb97b839a252049c0, v[24:25]
	v_add_f64_e32 v[24:25], v[34:35], v[26:27]
	s_delay_alu instid0(VALU_DEP_1) | instskip(NEXT) | instid1(VALU_DEP_1)
	v_add_f64_e64 v[30:31], v[24:25], -v[34:35]
	v_add_f64_e64 v[26:27], v[26:27], -v[30:31]
.LBB0_42:
	s_or_b32 exec_lo, exec_lo, s1
	v_div_scale_f64 v[28:29], null, v[16:17], v[16:17], 0x40140000
	v_div_scale_f64 v[34:35], vcc_lo, 0x40140000, v[16:17], 0x40140000
	v_mov_b64_e32 v[38:39], 0x3e21eeb69037ab78
	v_mov_b64_e32 v[52:53], 0xbe5ae600b42fdfa7
	v_mov_b64_e32 v[66:67], 0xbe927e4fa17f65f6
	v_mov_b64_e32 v[80:81], 0x3efa01a019f4ec90
	v_mov_b64_e32 v[84:85], 0xbf2a01a019e83e5c
	v_mul_f64_e32 v[98:99], 0.5, v[26:27]
	v_cmp_gt_f64_e64 s1, 0x10000000, v[16:17]
	v_rcp_f64_e32 v[30:31], v[28:29]
	s_delay_alu instid0(VALU_DEP_1) | instskip(NEXT) | instid1(TRANS32_DEP_1)
	v_cndmask_b32_e64 v100, 0, 0x100, s1
	v_fma_f64 v[32:33], -v[28:29], v[30:31], 1.0
	s_delay_alu instid0(VALU_DEP_1) | instskip(NEXT) | instid1(VALU_DEP_1)
	v_fmac_f64_e32 v[30:31], v[30:31], v[32:33]
	v_fma_f64 v[32:33], -v[28:29], v[30:31], 1.0
	s_delay_alu instid0(VALU_DEP_1) | instskip(NEXT) | instid1(VALU_DEP_1)
	v_fmac_f64_e32 v[30:31], v[30:31], v[32:33]
	v_mul_f64_e32 v[32:33], v[34:35], v[30:31]
	s_delay_alu instid0(VALU_DEP_1) | instskip(SKIP_1) | instid1(VALU_DEP_2)
	v_fma_f64 v[28:29], -v[28:29], v[32:33], v[34:35]
	v_mul_f64_e32 v[34:35], v[24:25], v[24:25]
	v_div_fmas_f64 v[28:29], v[28:29], v[30:31], v[32:33]
	v_mul_f64_e32 v[32:33], v[20:21], v[20:21]
	s_delay_alu instid0(VALU_DEP_3) | instskip(NEXT) | instid1(VALU_DEP_3)
	v_mul_f64_e32 v[68:69], 0.5, v[34:35]
	v_div_fixup_f64 v[28:29], v[28:29], v[16:17], 0x40140000
	s_delay_alu instid0(VALU_DEP_3)
	v_fmamk_f64 v[54:55], v[32:33], 0xbda907db46cc5e42, v[38:39]
	v_fmac_f64_e32 v[38:39], 0xbda907db46cc5e42, v[34:35]
	v_fmamk_f64 v[64:65], v[32:33], 0x3de5e0b2f9a43bb8, v[52:53]
	v_fmac_f64_e32 v[52:53], 0x3de5e0b2f9a43bb8, v[34:35]
	v_add_f64_e64 v[82:83], -v[68:69], 1.0
	v_ldexp_f64 v[16:17], v[16:17], v100
	v_mul_f64_e32 v[30:31], v[28:29], v[28:29]
	v_fmac_f64_e32 v[66:67], v[34:35], v[38:39]
	v_mov_b64_e32 v[38:39], 0x3ec71de3796cde01
	v_add_f64_e64 v[86:87], -v[82:83], 1.0
	s_delay_alu instid0(VALU_DEP_2)
	v_fmac_f64_e32 v[38:39], v[34:35], v[52:53]
	v_fmaak_f64 v[48:49], 0, v[30:31], 0x3f42b89b13443d69
	v_fmaak_f64 v[50:51], 0, v[30:31], 0x3f48f92c4c6c651b
	;; [unrolled: 1-line block ×4, first 2 shown]
	v_fmac_f64_e32 v[80:81], v[34:35], v[66:67]
	v_add_f64_e64 v[68:69], v[86:87], -v[68:69]
	v_mov_b64_e32 v[86:87], 0x3fa5555555555555
	v_fmaak_f64 v[48:49], v[30:31], v[48:49], 0x3fb19fdd5948aa83
	v_fmaak_f64 v[50:51], v[30:31], v[50:51], 0x3fb2b948a3fec4b6
	v_fmaak_f64 v[52:53], v[30:31], v[52:53], 0x4013edb5c66d8fd6
	v_fmaak_f64 v[70:71], v[30:31], v[70:71], 0x409081cba20e5f6f
	v_fmac_f64_e32 v[84:85], v[34:35], v[38:39]
	v_fmaak_f64 v[48:49], v[30:31], v[48:49], 0x3ff1aea9b850eed6
	v_fmaak_f64 v[50:51], v[30:31], v[50:51], 0x3ff208fec21596d6
	;; [unrolled: 1-line block ×4, first 2 shown]
	s_delay_alu instid0(VALU_DEP_4) | instskip(NEXT) | instid1(VALU_DEP_4)
	v_fmaak_f64 v[48:49], v[30:31], v[48:49], 0x40144ba2f7d251a1
	v_fmaak_f64 v[50:51], v[30:31], v[50:51], 0x401472c4f8b13a6a
	s_delay_alu instid0(VALU_DEP_4) | instskip(NEXT) | instid1(VALU_DEP_4)
	v_fmaak_f64 v[52:53], v[30:31], v[52:53], 0x4076ec7947aa180d
	v_fmaak_f64 v[38:39], v[30:31], v[66:67], 0x40c2ad28d280d118
	v_mov_b64_e32 v[66:67], 0xbf56c16c16c16967
	v_fmaak_f64 v[48:49], v[30:31], v[48:49], 0x4020ccb9dda2fd65
	v_fmaak_f64 v[50:51], v[30:31], v[50:51], 0x4020d91c8b5d2f16
	;; [unrolled: 1-line block ×4, first 2 shown]
	s_delay_alu instid0(VALU_DEP_4) | instskip(NEXT) | instid1(VALU_DEP_4)
	v_fmaak_f64 v[48:49], v[30:31], v[48:49], 0x4014d6dd4762b4d9
	v_fmaak_f64 v[50:51], v[30:31], v[50:51], 0x4014dbaa142f81a2
	s_delay_alu instid0(VALU_DEP_4) | instskip(NEXT) | instid1(VALU_DEP_4)
	v_fmaak_f64 v[52:53], v[30:31], v[52:53], 0x4082abeab9e802d0
	v_fmaak_f64 v[38:39], v[30:31], v[38:39], 0x40a61462b4bd1781
	v_fmac_f64_e32 v[66:67], v[34:35], v[80:81]
	v_fma_f64 v[68:69], v[24:25], -v[26:27], v[68:69]
	v_fma_f64 v[48:49], v[30:31], v[48:49], 1.0
	v_fma_f64 v[50:51], v[30:31], v[50:51], 1.0
	v_fmaak_f64 v[52:53], v[30:31], v[52:53], 0x406a760a4c54bb0b
	v_fmaak_f64 v[38:39], v[30:31], v[38:39], 0x4075017f6ae75997
	s_delay_alu instid0(VALU_DEP_2) | instskip(SKIP_1) | instid1(VALU_DEP_2)
	v_fmaak_f64 v[30:31], v[30:31], v[52:53], 0x403934ff4d159eb5
	v_mov_b64_e32 v[52:53], 0x3f81111111110bb3
	v_div_scale_f64 v[96:97], null, v[38:39], v[38:39], v[30:31]
	s_delay_alu instid0(VALU_DEP_2) | instskip(SKIP_4) | instid1(VALU_DEP_3)
	v_fmac_f64_e32 v[52:53], v[34:35], v[84:85]
	v_mul_f64_e64 v[84:85], v[24:25], -v[34:35]
	v_fmac_f64_e32 v[86:87], v[34:35], v[66:67]
	v_div_scale_f64 v[70:71], null, v[48:49], v[48:49], v[50:51]
	v_rcp_f64_e32 v[66:67], v[96:97]
	v_fmac_f64_e32 v[98:99], v[84:85], v[52:53]
	s_delay_alu instid0(VALU_DEP_2) | instskip(NEXT) | instid1(VALU_DEP_1)
	v_rcp_f64_e32 v[80:81], v[70:71]
	v_fma_f64 v[26:27], v[34:35], v[98:99], -v[26:27]
	v_mul_f64_e32 v[34:35], v[34:35], v[34:35]
	s_delay_alu instid0(TRANS32_DEP_1) | instskip(NEXT) | instid1(VALU_DEP_3)
	v_fma_f64 v[52:53], -v[70:71], v[80:81], 1.0
	v_fmac_f64_e32 v[26:27], 0xbfc5555555555555, v[84:85]
	s_delay_alu instid0(VALU_DEP_3) | instskip(SKIP_1) | instid1(VALU_DEP_4)
	v_fmac_f64_e32 v[68:69], v[34:35], v[86:87]
	v_mul_f64_e32 v[34:35], 0.5, v[22:23]
	v_fmac_f64_e32 v[80:81], v[80:81], v[52:53]
	s_delay_alu instid0(TRANS32_DEP_2) | instskip(SKIP_2) | instid1(VALU_DEP_3)
	v_fma_f64 v[52:53], -v[96:97], v[66:67], 1.0
	v_add_f64_e64 v[24:25], v[24:25], -v[26:27]
	v_add_f64_e32 v[26:27], v[82:83], v[68:69]
	v_fmac_f64_e32 v[66:67], v[66:67], v[52:53]
	v_fma_f64 v[52:53], -v[70:71], v[80:81], 1.0
	s_delay_alu instid0(VALU_DEP_2) | instskip(NEXT) | instid1(VALU_DEP_2)
	v_fma_f64 v[98:99], -v[96:97], v[66:67], 1.0
	v_fmac_f64_e32 v[80:81], v[80:81], v[52:53]
	v_div_scale_f64 v[52:53], vcc_lo, v[50:51], v[48:49], v[50:51]
	s_delay_alu instid0(VALU_DEP_3) | instskip(NEXT) | instid1(VALU_DEP_2)
	v_fmac_f64_e32 v[66:67], v[66:67], v[98:99]
	v_mul_f64_e32 v[98:99], v[52:53], v[80:81]
	s_delay_alu instid0(VALU_DEP_1) | instskip(SKIP_1) | instid1(VALU_DEP_2)
	v_fma_f64 v[52:53], -v[70:71], v[98:99], v[52:53]
	v_div_scale_f64 v[70:71], s2, v[30:31], v[38:39], v[30:31]
	v_div_fmas_f64 v[52:53], v[52:53], v[80:81], v[98:99]
	s_delay_alu instid0(VALU_DEP_2) | instskip(SKIP_1) | instid1(VALU_DEP_1)
	v_mul_f64_e32 v[80:81], v[70:71], v[66:67]
	s_mov_b32 vcc_lo, s2
	v_fma_f64 v[70:71], -v[96:97], v[80:81], v[70:71]
	s_delay_alu instid0(VALU_DEP_1) | instskip(SKIP_2) | instid1(VALU_DEP_1)
	v_div_fmas_f64 v[66:67], v[70:71], v[66:67], v[80:81]
	v_cmp_class_f64_e64 vcc_lo, v[18:19], 0x1f8
	v_and_b32_e32 v18, 1, v37
	v_cmp_eq_u32_e64 s2, 0, v18
	v_xor_b32_e32 v18, 0x80000000, v25
	s_delay_alu instid0(VALU_DEP_2) | instskip(NEXT) | instid1(VALU_DEP_2)
	v_dual_lshlrev_b32 v25, 30, v37 :: v_dual_cndmask_b32 v26, v24, v26, s2
	v_cndmask_b32_e64 v18, v18, v27, s2
	s_delay_alu instid0(VALU_DEP_1) | instskip(SKIP_1) | instid1(VALU_DEP_2)
	v_bitop3_b32 v18, v18, v25, 0x80000000 bitop3:0x78
	v_div_fixup_f64 v[30:31], v[66:67], v[38:39], v[30:31]
	v_cndmask_b32_e32 v27, 0x7ff80000, v18, vcc_lo
	v_dual_mul_f64 v[86:87], v[20:21], -v[32:33] :: v_dual_bitop2_b32 v18, 1, v7 bitop3:0x40
	v_mul_f64_e32 v[98:99], 0.5, v[32:33]
	v_fmaak_f64 v[64:65], v[32:33], v[64:65], 0x3ec71de3796cde01
	v_mul_f64_e32 v[84:85], v[32:33], v[32:33]
	v_fmaak_f64 v[54:55], v[32:33], v[54:55], 0xbe927e4fa17f65f6
	v_dual_cndmask_b32 v26, 0, v26 :: v_dual_lshlrev_b32 v7, 30, v7
	v_cmp_eq_u32_e64 s2, 0, v18
	v_fmaak_f64 v[64:65], v[32:33], v[64:65], 0xbf2a01a019e83e5c
	s_delay_alu instid0(VALU_DEP_4) | instskip(NEXT) | instid1(VALU_DEP_4)
	v_fmaak_f64 v[54:55], v[32:33], v[54:55], 0x3efa01a019f4ec90
	v_xor_b32_e32 v7, v7, v19
	s_delay_alu instid0(VALU_DEP_3) | instskip(NEXT) | instid1(VALU_DEP_3)
	v_fmaak_f64 v[64:65], v[32:33], v[64:65], 0x3f81111111110bb3
	v_fmaak_f64 v[38:39], v[32:33], v[54:55], 0xbf56c16c16c16967
	v_mul_f64_e32 v[28:29], v[28:29], v[30:31]
	v_div_fixup_f64 v[30:31], v[52:53], v[48:49], v[50:51]
	s_delay_alu instid0(VALU_DEP_4) | instskip(SKIP_2) | instid1(VALU_DEP_4)
	v_fmac_f64_e32 v[34:35], v[86:87], v[64:65]
	v_rsq_f64_e32 v[64:65], v[16:17]
	v_add_f64_e64 v[96:97], -v[98:99], 1.0
	v_mul_f64_e32 v[26:27], v[28:29], v[26:27]
	s_delay_alu instid0(VALU_DEP_3) | instskip(SKIP_1) | instid1(VALU_DEP_4)
	v_fma_f64 v[34:35], v[32:33], v[34:35], -v[22:23]
	v_fmaak_f64 v[32:33], v[32:33], v[38:39], 0x3fa5555555555555
	v_add_f64_e64 v[70:71], -v[96:97], 1.0
	s_delay_alu instid0(TRANS32_DEP_1) | instskip(SKIP_2) | instid1(VALU_DEP_4)
	v_mul_f64_e32 v[80:81], v[16:17], v[64:65]
	v_mul_f64_e32 v[64:65], 0.5, v[64:65]
	v_fmac_f64_e32 v[34:35], 0xbfc5555555555555, v[86:87]
	v_add_f64_e64 v[70:71], v[70:71], -v[98:99]
	s_delay_alu instid0(VALU_DEP_3) | instskip(NEXT) | instid1(VALU_DEP_2)
	v_fma_f64 v[98:99], -v[64:65], v[80:81], 0.5
	v_fma_f64 v[22:23], v[20:21], -v[22:23], v[70:71]
	s_delay_alu instid0(VALU_DEP_4) | instskip(NEXT) | instid1(VALU_DEP_3)
	v_add_f64_e64 v[20:21], v[20:21], -v[34:35]
	v_fmac_f64_e32 v[80:81], v[80:81], v[98:99]
	v_fmac_f64_e32 v[64:65], v[64:65], v[98:99]
	s_delay_alu instid0(VALU_DEP_4) | instskip(NEXT) | instid1(VALU_DEP_3)
	v_fmac_f64_e32 v[22:23], v[84:85], v[32:33]
	v_fma_f64 v[70:71], -v[80:81], v[80:81], v[16:17]
	s_delay_alu instid0(VALU_DEP_2) | instskip(NEXT) | instid1(VALU_DEP_2)
	v_add_f64_e32 v[22:23], v[96:97], v[22:23]
	v_fmac_f64_e32 v[80:81], v[70:71], v[64:65]
	s_delay_alu instid0(VALU_DEP_2) | instskip(NEXT) | instid1(VALU_DEP_1)
	v_dual_cndmask_b32 v18, v23, v21, s2 :: v_dual_cndmask_b32 v19, v22, v20, s2
	v_bitop3_b32 v7, v18, v7, 0x80000000 bitop3:0x78
	s_delay_alu instid0(VALU_DEP_2) | instskip(NEXT) | instid1(VALU_DEP_2)
	v_dual_fma_f64 v[24:25], -v[80:81], v[80:81], v[16:17] :: v_dual_cndmask_b32 v18, 0, v19, vcc_lo
	v_cndmask_b32_e32 v19, 0x7ff80000, v7, vcc_lo
	v_cndmask_b32_e64 v7, 0, 0xffffff80, s1
	v_cmp_class_f64_e64 vcc_lo, v[16:17], 0x260
	s_delay_alu instid0(VALU_DEP_3) | instskip(SKIP_1) | instid1(VALU_DEP_2)
	v_fmac_f64_e32 v[26:27], v[30:31], v[18:19]
	v_fmac_f64_e32 v[80:81], v[24:25], v[64:65]
	v_mul_f64_e32 v[20:21], 0x3fe9884533d43651, v[26:27]
	s_delay_alu instid0(VALU_DEP_2) | instskip(NEXT) | instid1(VALU_DEP_1)
	v_ldexp_f64 v[18:19], v[80:81], v7
	v_dual_cndmask_b32 v17, v19, v17 :: v_dual_cndmask_b32 v16, v18, v16
	s_delay_alu instid0(VALU_DEP_1) | instskip(NEXT) | instid1(VALU_DEP_1)
	v_div_scale_f64 v[18:19], null, v[16:17], v[16:17], v[20:21]
	v_rcp_f64_e32 v[22:23], v[18:19]
	v_nop
	s_delay_alu instid0(TRANS32_DEP_1) | instskip(NEXT) | instid1(VALU_DEP_1)
	v_fma_f64 v[24:25], -v[18:19], v[22:23], 1.0
	v_fmac_f64_e32 v[22:23], v[22:23], v[24:25]
	s_delay_alu instid0(VALU_DEP_1) | instskip(NEXT) | instid1(VALU_DEP_1)
	v_fma_f64 v[24:25], -v[18:19], v[22:23], 1.0
	v_fmac_f64_e32 v[22:23], v[22:23], v[24:25]
	v_div_scale_f64 v[24:25], vcc_lo, v[20:21], v[16:17], v[20:21]
	s_delay_alu instid0(VALU_DEP_1) | instskip(NEXT) | instid1(VALU_DEP_1)
	v_mul_f64_e32 v[26:27], v[24:25], v[22:23]
	v_fma_f64 v[18:19], -v[18:19], v[26:27], v[24:25]
	s_delay_alu instid0(VALU_DEP_1) | instskip(NEXT) | instid1(VALU_DEP_1)
	v_div_fmas_f64 v[18:19], v[18:19], v[22:23], v[26:27]
	v_div_fixup_f64 v[18:19], v[18:19], v[16:17], v[20:21]
.LBB0_43:
	s_or_b32 exec_lo, exec_lo, s5
.LBB0_44:
	s_delay_alu instid0(SALU_CYCLE_1) | instskip(SKIP_2) | instid1(VALU_DEP_1)
	s_or_b32 exec_lo, exec_lo, s4
	v_add_nc_u32_e32 v7, 0x200, v5
	s_mov_b32 s2, exec_lo
	v_cmpx_lt_i32_e64 v7, v4
	s_cbranch_execz .LBB0_62
; %bb.45:
	s_mov_b32 s1, exec_lo
	s_wait_loadcnt_dscnt 0x0
	v_cmpx_ge_f64_e32 0x40140000, v[10:11]
	s_xor_b32 s4, exec_lo, s1
                                        ; implicit-def: $vgpr14_vgpr15
	s_cbranch_execz .LBB0_51
; %bb.46:
	v_mov_b64_e32 v[14:15], 0xfff0000000000000
	s_mov_b32 s5, exec_lo
	v_cmpx_neq_f64_e32 0, v[10:11]
	s_cbranch_execz .LBB0_50
; %bb.47:
	v_mov_b64_e32 v[14:15], 0x7ff8000000000000
	s_mov_b32 s6, exec_lo
	v_cmpx_nge_f64_e32 0, v[10:11]
	s_cbranch_execz .LBB0_49
; %bb.48:
	v_frexp_mant_f64_e32 v[14:15], v[10:11]
	s_mov_b64 s[8:9], 0x3fe5555555555555
	s_delay_alu instid0(VALU_DEP_1) | instid1(SALU_CYCLE_1)
	v_cmp_gt_f64_e32 vcc_lo, s[8:9], v[14:15]
	s_mov_b64 s[8:9], 0x3fc3ab76bf559e2b
	v_cndmask_b32_e64 v7, 0, 1, vcc_lo
	s_delay_alu instid0(VALU_DEP_1) | instskip(SKIP_1) | instid1(VALU_DEP_2)
	v_ldexp_f64 v[14:15], v[14:15], v7
	v_frexp_exp_i32_f64_e32 v7, v[10:11]
	v_add_f64_e32 v[16:17], 1.0, v[14:15]
	v_add_f64_e32 v[24:25], -1.0, v[14:15]
	s_delay_alu instid0(VALU_DEP_3) | instskip(NEXT) | instid1(VALU_DEP_3)
	v_subrev_co_ci_u32_e64 v7, null, 0, v7, vcc_lo
	v_rcp_f64_e32 v[20:21], v[16:17]
	v_add_f64_e32 v[26:27], -1.0, v[16:17]
	s_delay_alu instid0(VALU_DEP_1) | instskip(NEXT) | instid1(TRANS32_DEP_1)
	v_add_f64_e64 v[14:15], v[14:15], -v[26:27]
	v_fma_f64 v[22:23], -v[16:17], v[20:21], 1.0
	s_delay_alu instid0(VALU_DEP_1) | instskip(NEXT) | instid1(VALU_DEP_1)
	v_fmac_f64_e32 v[20:21], v[22:23], v[20:21]
	v_fma_f64 v[22:23], -v[16:17], v[20:21], 1.0
	s_delay_alu instid0(VALU_DEP_1) | instskip(NEXT) | instid1(VALU_DEP_1)
	v_fmac_f64_e32 v[20:21], v[22:23], v[20:21]
	v_mul_f64_e32 v[22:23], v[24:25], v[20:21]
	s_delay_alu instid0(VALU_DEP_1) | instskip(NEXT) | instid1(VALU_DEP_1)
	v_mul_f64_e32 v[28:29], v[16:17], v[22:23]
	v_fma_f64 v[16:17], v[22:23], v[16:17], -v[28:29]
	s_delay_alu instid0(VALU_DEP_1) | instskip(NEXT) | instid1(VALU_DEP_1)
	v_fmac_f64_e32 v[16:17], v[22:23], v[14:15]
	v_add_f64_e32 v[14:15], v[28:29], v[16:17]
	s_delay_alu instid0(VALU_DEP_1) | instskip(SKIP_1) | instid1(VALU_DEP_2)
	v_add_f64_e64 v[26:27], v[24:25], -v[14:15]
	v_add_f64_e64 v[28:29], v[14:15], -v[28:29]
	;; [unrolled: 1-line block ×3, first 2 shown]
	s_delay_alu instid0(VALU_DEP_2) | instskip(SKIP_1) | instid1(VALU_DEP_3)
	v_add_f64_e64 v[16:17], v[28:29], -v[16:17]
	v_cvt_f64_i32_e32 v[28:29], v7
	v_add_f64_e64 v[14:15], v[24:25], -v[14:15]
	s_delay_alu instid0(VALU_DEP_2) | instskip(NEXT) | instid1(VALU_DEP_2)
	v_mul_f64_e32 v[34:35], 0x3fe62e42fefa39ef, v[28:29]
	v_add_f64_e32 v[14:15], v[16:17], v[14:15]
	s_delay_alu instid0(VALU_DEP_1) | instskip(NEXT) | instid1(VALU_DEP_1)
	v_add_f64_e32 v[14:15], v[26:27], v[14:15]
	v_mul_f64_e32 v[14:15], v[20:21], v[14:15]
	s_delay_alu instid0(VALU_DEP_1) | instskip(NEXT) | instid1(VALU_DEP_1)
	v_add_f64_e32 v[16:17], v[22:23], v[14:15]
	v_mul_f64_e32 v[20:21], v[16:17], v[16:17]
	s_delay_alu instid0(VALU_DEP_1) | instskip(SKIP_2) | instid1(SALU_CYCLE_1)
	v_fmaak_f64 v[24:25], s[8:9], v[20:21], 0x3fc385386b47b09a
	v_mul_f64_e32 v[26:27], v[16:17], v[20:21]
	s_mov_b64 s[8:9], 0x3fe62e42fefa39ef
	v_fma_f64 v[48:49], v[28:29], s[8:9], -v[34:35]
	s_delay_alu instid0(VALU_DEP_3) | instskip(NEXT) | instid1(VALU_DEP_1)
	v_fmaak_f64 v[24:25], v[20:21], v[24:25], 0x3fc7474dd7f4df2e
	v_fmaak_f64 v[24:25], v[20:21], v[24:25], 0x3fcc71c016291751
	s_delay_alu instid0(VALU_DEP_1) | instskip(NEXT) | instid1(VALU_DEP_1)
	v_fmaak_f64 v[24:25], v[20:21], v[24:25], 0x3fd249249b27acf1
	v_fmaak_f64 v[24:25], v[20:21], v[24:25], 0x3fd99999998ef7b6
	s_delay_alu instid0(VALU_DEP_1) | instskip(SKIP_3) | instid1(VALU_DEP_4)
	v_fmaak_f64 v[20:21], v[20:21], v[24:25], 0x3fe5555555555780
	v_ldexp_f64 v[24:25], v[16:17], 1
	v_add_f64_e64 v[16:17], v[16:17], -v[22:23]
	v_fmamk_f64 v[28:29], v[28:29], 0x3c7abc9e3b39803f, v[48:49]
	v_mul_f64_e32 v[20:21], v[26:27], v[20:21]
	v_mul_f64_e32 v[26:27], v[10:11], v[10:11]
	s_delay_alu instid0(VALU_DEP_3) | instskip(SKIP_1) | instid1(VALU_DEP_4)
	v_add_f64_e32 v[48:49], v[34:35], v[28:29]
	v_add_f64_e64 v[14:15], v[14:15], -v[16:17]
	v_add_f64_e32 v[22:23], v[24:25], v[20:21]
	s_delay_alu instid0(VALU_DEP_4)
	v_fmaak_f64 v[30:31], 0, v[26:27], 0x40829269a93f7ac2
	v_fmaak_f64 v[32:33], 0, v[26:27], 0x408366b11b7086e7
	;; [unrolled: 1-line block ×3, first 2 shown]
	v_add_f64_e64 v[34:35], v[48:49], -v[34:35]
	v_ldexp_f64 v[14:15], v[14:15], 1
	v_add_f64_e64 v[16:17], v[22:23], -v[24:25]
	v_fmaak_f64 v[24:25], v[26:27], v[30:31], 0x410cc160be58ef7f
	v_fmaak_f64 v[30:31], v[26:27], v[32:33], 0x410f5eda0dd701b2
	v_fmaak_f64 v[32:33], 0, v[26:27], 0x41d2d2be62f9b6c5
	v_add_f64_e64 v[28:29], v[28:29], -v[34:35]
	s_delay_alu instid0(VALU_DEP_4) | instskip(NEXT) | instid1(VALU_DEP_4)
	v_fmaak_f64 v[24:25], v[26:27], v[24:25], 0x419184efa9c8acee
	v_fmaak_f64 v[30:31], v[26:27], v[30:31], 0x4193e954dc92a1b1
	s_delay_alu instid0(VALU_DEP_4) | instskip(NEXT) | instid1(VALU_DEP_3)
	v_fmaak_f64 v[32:33], v[26:27], v[32:33], 0xc262d72d58836521
	v_fmaak_f64 v[24:25], v[26:27], v[24:25], 0x421178c3906b7b83
	s_delay_alu instid0(VALU_DEP_3) | instskip(NEXT) | instid1(VALU_DEP_3)
	v_fmaak_f64 v[30:31], v[26:27], v[30:31], 0x4214a13f7befeac1
	v_fmaak_f64 v[32:33], v[26:27], v[32:33], 0x42da0954b0910fef
	s_delay_alu instid0(VALU_DEP_3) | instskip(NEXT) | instid1(VALU_DEP_3)
	;; [unrolled: 3-line block ×4, first 2 shown]
	v_fmaak_f64 v[30:31], v[26:27], v[30:31], 0x43064b0a3eccf45f
	v_fmaak_f64 v[32:33], v[26:27], v[32:33], 0x438679ad0b7366b1
	v_add_f64_e64 v[16:17], v[20:21], -v[16:17]
	v_fmaak_f64 v[20:21], v[26:27], v[38:39], 0x425a52ba0d438c6b
	v_fmaak_f64 v[24:25], v[26:27], v[24:25], 0x436e83e3c547a488
	;; [unrolled: 1-line block ×4, first 2 shown]
	s_delay_alu instid0(VALU_DEP_4) | instskip(NEXT) | instid1(VALU_DEP_4)
	v_fmaak_f64 v[20:21], v[26:27], v[20:21], 0xc2d08a92e6ccf175
	v_fmaak_f64 v[24:25], v[26:27], v[24:25], 0x43cb90f190f6747f
	s_delay_alu instid0(VALU_DEP_2) | instskip(SKIP_1) | instid1(VALU_DEP_3)
	v_fmaak_f64 v[20:21], v[26:27], v[20:21], 0x432a2b42a697c482
	v_fmaak_f64 v[26:27], v[26:27], v[30:31], 0x43d2779576702939
	v_div_scale_f64 v[30:31], null, v[24:25], v[24:25], v[32:33]
	v_div_scale_f64 v[84:85], vcc_lo, v[32:33], v[24:25], v[32:33]
	s_delay_alu instid0(VALU_DEP_3) | instskip(SKIP_1) | instid1(VALU_DEP_4)
	v_div_scale_f64 v[38:39], null, v[26:27], v[26:27], v[20:21]
	v_add_f64_e32 v[14:15], v[14:15], v[16:17]
	v_rcp_f64_e32 v[16:17], v[30:31]
	s_delay_alu instid0(VALU_DEP_2) | instskip(NEXT) | instid1(VALU_DEP_1)
	v_rcp_f64_e32 v[50:51], v[38:39]
	v_add_f64_e32 v[52:53], v[22:23], v[14:15]
	s_delay_alu instid0(TRANS32_DEP_2) | instskip(NEXT) | instid1(TRANS32_DEP_1)
	v_fma_f64 v[54:55], -v[30:31], v[16:17], 1.0
	v_fma_f64 v[64:65], -v[38:39], v[50:51], 1.0
	s_delay_alu instid0(VALU_DEP_3) | instskip(SKIP_1) | instid1(VALU_DEP_4)
	v_add_f64_e32 v[66:67], v[48:49], v[52:53]
	v_add_f64_e64 v[22:23], v[52:53], -v[22:23]
	v_fmac_f64_e32 v[16:17], v[16:17], v[54:55]
	v_div_scale_f64 v[54:55], null, v[10:11], v[10:11], -1.0
	v_fmac_f64_e32 v[50:51], v[50:51], v[64:65]
	v_add_f64_e64 v[64:65], v[66:67], -v[48:49]
	v_add_f64_e64 v[14:15], v[14:15], -v[22:23]
	v_fma_f64 v[68:69], -v[30:31], v[16:17], 1.0
	v_rcp_f64_e32 v[70:71], v[54:55]
	s_delay_alu instid0(VALU_DEP_4) | instskip(NEXT) | instid1(VALU_DEP_4)
	v_fma_f64 v[80:81], -v[38:39], v[50:51], 1.0
	v_add_f64_e64 v[82:83], v[66:67], -v[64:65]
	v_add_f64_e64 v[22:23], v[52:53], -v[64:65]
	s_delay_alu instid0(VALU_DEP_4) | instskip(SKIP_4) | instid1(TRANS32_DEP_1)
	v_fmac_f64_e32 v[16:17], v[16:17], v[68:69]
	v_div_scale_f64 v[68:69], s1, v[20:21], v[26:27], v[20:21]
	v_fmac_f64_e32 v[50:51], v[50:51], v[80:81]
	v_add_f64_e32 v[80:81], v[28:29], v[14:15]
	v_add_f64_e64 v[34:35], v[48:49], -v[82:83]
	v_fma_f64 v[48:49], -v[54:55], v[70:71], 1.0
	v_mul_f64_e32 v[52:53], v[84:85], v[16:17]
	v_mul_f64_e32 v[64:65], v[68:69], v[50:51]
	s_delay_alu instid0(VALU_DEP_4) | instskip(NEXT) | instid1(VALU_DEP_4)
	v_add_f64_e32 v[22:23], v[22:23], v[34:35]
	v_fmac_f64_e32 v[70:71], v[70:71], v[48:49]
	s_delay_alu instid0(VALU_DEP_4) | instskip(NEXT) | instid1(VALU_DEP_4)
	v_fma_f64 v[30:31], -v[30:31], v[52:53], v[84:85]
	v_fma_f64 v[34:35], -v[38:39], v[64:65], v[68:69]
	v_add_f64_e64 v[38:39], v[80:81], -v[28:29]
	v_add_f64_e32 v[22:23], v[80:81], v[22:23]
	v_fma_f64 v[48:49], -v[54:55], v[70:71], 1.0
	v_div_fmas_f64 v[16:17], v[30:31], v[16:17], v[52:53]
	s_mov_b32 vcc_lo, s1
	v_div_fmas_f64 v[30:31], v[34:35], v[50:51], v[64:65]
	v_add_f64_e64 v[34:35], v[80:81], -v[38:39]
	v_div_scale_f64 v[52:53], vcc_lo, -1.0, v[10:11], -1.0
	v_add_f64_e32 v[50:51], v[66:67], v[22:23]
	v_fmac_f64_e32 v[70:71], v[70:71], v[48:49]
	v_add_f64_e64 v[14:15], v[14:15], -v[38:39]
	v_div_fixup_f64 v[16:17], v[16:17], v[24:25], v[32:33]
	v_div_fixup_f64 v[20:21], v[30:31], v[26:27], v[20:21]
	v_add_f64_e64 v[26:27], v[28:29], -v[34:35]
	v_add_f64_e64 v[28:29], v[50:51], -v[66:67]
	v_mul_f64_e32 v[30:31], v[52:53], v[70:71]
	s_delay_alu instid0(VALU_DEP_4) | instskip(NEXT) | instid1(VALU_DEP_4)
	v_mul_f64_e32 v[20:21], v[10:11], v[20:21]
	v_add_f64_e32 v[14:15], v[14:15], v[26:27]
	s_delay_alu instid0(VALU_DEP_4) | instskip(NEXT) | instid1(VALU_DEP_4)
	v_add_f64_e64 v[22:23], v[22:23], -v[28:29]
	v_fma_f64 v[26:27], -v[54:55], v[30:31], v[52:53]
	v_fmaak_f64 v[28:29], v[10:11], v[10:11], 0xc02d5d2b4189822c
	s_delay_alu instid0(VALU_DEP_1) | instskip(NEXT) | instid1(VALU_DEP_4)
	v_mul_f64_e32 v[20:21], v[28:29], v[20:21]
	v_add_f64_e32 v[14:15], v[14:15], v[22:23]
	s_delay_alu instid0(VALU_DEP_4) | instskip(SKIP_1) | instid1(VALU_DEP_1)
	v_div_fmas_f64 v[22:23], v[26:27], v[70:71], v[30:31]
	v_fmaak_f64 v[26:27], v[10:11], v[10:11], 0xc0489bf66072a432
	v_mul_f64_e32 v[20:21], v[26:27], v[20:21]
	s_delay_alu instid0(VALU_DEP_4) | instskip(NEXT) | instid1(VALU_DEP_4)
	v_add_f64_e32 v[14:15], v[50:51], v[14:15]
	v_div_fixup_f64 v[22:23], v[22:23], v[10:11], -1.0
	s_delay_alu instid0(VALU_DEP_1) | instskip(NEXT) | instid1(VALU_DEP_1)
	v_fmac_f64_e32 v[22:23], v[20:21], v[14:15]
	v_mul_f64_e32 v[14:15], 0x3fe45f306dc9c883, v[22:23]
	s_delay_alu instid0(VALU_DEP_1)
	v_fmac_f64_e32 v[14:15], v[10:11], v[16:17]
.LBB0_49:
	s_or_b32 exec_lo, exec_lo, s6
.LBB0_50:
	s_delay_alu instid0(SALU_CYCLE_1)
	s_or_b32 exec_lo, exec_lo, s5
                                        ; implicit-def: $vgpr10_vgpr11
.LBB0_51:
	s_and_not1_saveexec_b32 s4, s4
	s_cbranch_execz .LBB0_61
; %bb.52:
	v_add_f64_e32 v[14:15], 0xc002d97c7f3321d2, v[10:11]
                                        ; implicit-def: $vgpr7
                                        ; implicit-def: $vgpr16_vgpr17
                                        ; implicit-def: $vgpr20_vgpr21
	s_delay_alu instid0(VALU_DEP_1)
	v_cmp_ngt_f64_e64 s1, 0x41d00000, |v[14:15]|
	v_trig_preop_f64 v[30:31], |v[14:15]|, 0
	v_trig_preop_f64 v[28:29], |v[14:15]|, 1
	v_ldexp_f64 v[32:33], |v[14:15]|, 0xffffff80
	v_trig_preop_f64 v[26:27], |v[14:15]|, 2
	v_and_b32_e32 v35, 0x7fffffff, v15
	s_and_saveexec_b32 s5, s1
	s_delay_alu instid0(SALU_CYCLE_1)
	s_xor_b32 s5, exec_lo, s5
	s_cbranch_execz .LBB0_54
; %bb.53:
	v_cmp_le_f64_e64 vcc_lo, 0x7b000000, |v[14:15]|
	s_mov_b64 s[6:7], 0x3ff921fb54442d18
	v_dual_mov_b32 v66, 0 :: v_dual_cndmask_b32 v17, v35, v33
	v_cndmask_b32_e32 v16, v14, v32, vcc_lo
	s_delay_alu instid0(VALU_DEP_1) | instskip(SKIP_2) | instid1(VALU_DEP_3)
	v_mul_f64_e32 v[20:21], v[30:31], v[16:17]
	v_mul_f64_e32 v[22:23], v[28:29], v[16:17]
	;; [unrolled: 1-line block ×3, first 2 shown]
	v_fma_f64 v[24:25], v[30:31], v[16:17], -v[20:21]
	s_delay_alu instid0(VALU_DEP_3) | instskip(NEXT) | instid1(VALU_DEP_3)
	v_fma_f64 v[64:65], v[28:29], v[16:17], -v[22:23]
	v_fma_f64 v[16:17], v[26:27], v[16:17], -v[54:55]
	s_delay_alu instid0(VALU_DEP_3) | instskip(NEXT) | instid1(VALU_DEP_1)
	v_add_f64_e32 v[38:39], v[22:23], v[24:25]
	v_add_f64_e64 v[48:49], v[38:39], -v[22:23]
	v_add_f64_e32 v[52:53], v[20:21], v[38:39]
	s_delay_alu instid0(VALU_DEP_2) | instskip(SKIP_1) | instid1(VALU_DEP_3)
	v_add_f64_e64 v[50:51], v[38:39], -v[48:49]
	v_add_f64_e64 v[24:25], v[24:25], -v[48:49]
	v_ldexp_f64 v[48:49], v[52:53], -2
	s_delay_alu instid0(VALU_DEP_3) | instskip(SKIP_1) | instid1(VALU_DEP_3)
	v_add_f64_e64 v[22:23], v[22:23], -v[50:51]
	v_add_f64_e32 v[50:51], v[54:55], v[64:65]
	v_cmp_neq_f64_e64 vcc_lo, 0x7ff00000, |v[48:49]|
	s_delay_alu instid0(VALU_DEP_3) | instskip(SKIP_1) | instid1(VALU_DEP_1)
	v_add_f64_e32 v[22:23], v[24:25], v[22:23]
	v_fract_f64_e32 v[24:25], v[48:49]
	v_ldexp_f64 v[24:25], v[24:25], 2
	s_delay_alu instid0(VALU_DEP_1) | instskip(SKIP_1) | instid1(VALU_DEP_3)
	v_cndmask_b32_e32 v24, 0, v24, vcc_lo
	v_add_f64_e64 v[20:21], v[52:53], -v[20:21]
	v_cndmask_b32_e32 v25, 0, v25, vcc_lo
	s_delay_alu instid0(VALU_DEP_2) | instskip(SKIP_1) | instid1(VALU_DEP_1)
	v_add_f64_e64 v[20:21], v[38:39], -v[20:21]
	v_add_f64_e32 v[38:39], v[50:51], v[22:23]
	v_add_f64_e32 v[48:49], v[20:21], v[38:39]
	v_add_f64_e64 v[68:69], v[38:39], -v[50:51]
	s_delay_alu instid0(VALU_DEP_2) | instskip(NEXT) | instid1(VALU_DEP_2)
	v_add_f64_e32 v[52:53], v[48:49], v[24:25]
	v_add_f64_e64 v[82:83], v[38:39], -v[68:69]
	v_add_f64_e64 v[22:23], v[22:23], -v[68:69]
	;; [unrolled: 1-line block ×3, first 2 shown]
	s_delay_alu instid0(VALU_DEP_4) | instskip(SKIP_1) | instid1(VALU_DEP_3)
	v_cmp_gt_f64_e32 vcc_lo, 0, v[52:53]
	v_add_f64_e64 v[52:53], v[50:51], -v[54:55]
	v_add_f64_e64 v[20:21], v[38:39], -v[20:21]
	v_cndmask_b32_e64 v67, 0, 0x40100000, vcc_lo
	s_delay_alu instid0(VALU_DEP_3) | instskip(SKIP_2) | instid1(VALU_DEP_4)
	v_add_f64_e64 v[80:81], v[50:51], -v[52:53]
	v_add_f64_e64 v[52:53], v[64:65], -v[52:53]
	;; [unrolled: 1-line block ×3, first 2 shown]
	v_add_f64_e32 v[24:25], v[24:25], v[66:67]
	s_delay_alu instid0(VALU_DEP_4) | instskip(NEXT) | instid1(VALU_DEP_3)
	v_add_f64_e64 v[64:65], v[54:55], -v[80:81]
	v_add_f64_e32 v[22:23], v[22:23], v[50:51]
	s_delay_alu instid0(VALU_DEP_3) | instskip(NEXT) | instid1(VALU_DEP_3)
	v_add_f64_e32 v[70:71], v[48:49], v[24:25]
	v_add_f64_e32 v[52:53], v[52:53], v[64:65]
	s_delay_alu instid0(VALU_DEP_2) | instskip(NEXT) | instid1(VALU_DEP_2)
	v_cvt_i32_f64_e32 v7, v[70:71]
	v_add_f64_e32 v[22:23], v[52:53], v[22:23]
	s_delay_alu instid0(VALU_DEP_2) | instskip(NEXT) | instid1(VALU_DEP_2)
	v_cvt_f64_i32_e32 v[68:69], v7
	v_add_f64_e32 v[16:17], v[16:17], v[22:23]
	s_delay_alu instid0(VALU_DEP_2) | instskip(NEXT) | instid1(VALU_DEP_2)
	v_add_f64_e64 v[24:25], v[24:25], -v[68:69]
	v_add_f64_e32 v[16:17], v[20:21], v[16:17]
	s_delay_alu instid0(VALU_DEP_2) | instskip(NEXT) | instid1(VALU_DEP_1)
	v_add_f64_e32 v[50:51], v[48:49], v[24:25]
	v_add_f64_e64 v[22:23], v[50:51], -v[24:25]
	v_cmp_le_f64_e32 vcc_lo, 0.5, v[50:51]
	s_delay_alu instid0(VALU_DEP_2) | instskip(SKIP_2) | instid1(VALU_DEP_3)
	v_add_f64_e64 v[20:21], v[48:49], -v[22:23]
	v_cndmask_b32_e64 v67, 0, 0x3ff00000, vcc_lo
	v_add_co_ci_u32_e64 v7, null, 0, v7, vcc_lo
	v_add_f64_e32 v[16:17], v[16:17], v[20:21]
	s_delay_alu instid0(VALU_DEP_3) | instskip(NEXT) | instid1(VALU_DEP_1)
	v_add_f64_e64 v[20:21], v[50:51], -v[66:67]
	v_add_f64_e32 v[22:23], v[20:21], v[16:17]
	s_delay_alu instid0(VALU_DEP_1) | instskip(SKIP_1) | instid1(VALU_DEP_2)
	v_mul_f64_e32 v[24:25], 0x3ff921fb54442d18, v[22:23]
	v_add_f64_e64 v[20:21], v[22:23], -v[20:21]
	v_fma_f64 v[38:39], v[22:23], s[6:7], -v[24:25]
	s_delay_alu instid0(VALU_DEP_2) | instskip(NEXT) | instid1(VALU_DEP_2)
	v_add_f64_e64 v[16:17], v[16:17], -v[20:21]
	v_fmamk_f64 v[20:21], v[22:23], 0x3c91a62633145c07, v[38:39]
	s_delay_alu instid0(VALU_DEP_1) | instskip(NEXT) | instid1(VALU_DEP_1)
	v_fmac_f64_e32 v[20:21], 0x3ff921fb54442d18, v[16:17]
	v_add_f64_e32 v[16:17], v[24:25], v[20:21]
	s_delay_alu instid0(VALU_DEP_1) | instskip(NEXT) | instid1(VALU_DEP_1)
	v_add_f64_e64 v[22:23], v[16:17], -v[24:25]
	v_add_f64_e64 v[20:21], v[20:21], -v[22:23]
	s_and_not1_saveexec_b32 s5, s5
	s_cbranch_execz .LBB0_56
	s_branch .LBB0_55
.LBB0_54:
	s_and_not1_saveexec_b32 s5, s5
	s_cbranch_execz .LBB0_56
.LBB0_55:
	s_mov_b64 s[6:7], 0x3fe45f306dc9c883
	s_delay_alu instid0(SALU_CYCLE_1) | instskip(SKIP_1) | instid1(VALU_DEP_1)
	v_mul_f64_e64 v[16:17], |v[14:15]|, s[6:7]
	s_mov_b64 s[6:7], 0xbff921fb54442d18
	v_rndne_f64_e32 v[22:23], v[16:17]
	s_delay_alu instid0(VALU_DEP_1) | instskip(SKIP_2) | instid1(VALU_DEP_3)
	v_fma_f64 v[16:17], v[22:23], s[6:7], |v[14:15]|
	v_mul_f64_e32 v[20:21], 0xbc91a62633145c00, v[22:23]
	v_cvt_i32_f64_e32 v7, v[22:23]
	v_fmamk_f64 v[48:49], v[22:23], 0xbc91a62633145c00, v[16:17]
	s_delay_alu instid0(VALU_DEP_3) | instskip(NEXT) | instid1(VALU_DEP_1)
	v_add_f64_e32 v[24:25], v[16:17], v[20:21]
	v_add_f64_e64 v[38:39], v[16:17], -v[24:25]
	s_delay_alu instid0(VALU_DEP_3) | instskip(NEXT) | instid1(VALU_DEP_2)
	v_add_f64_e64 v[16:17], v[24:25], -v[48:49]
	v_add_f64_e32 v[24:25], v[38:39], v[20:21]
	v_fmamk_f64 v[20:21], v[22:23], 0x3c91a62633145c00, v[20:21]
	s_delay_alu instid0(VALU_DEP_2) | instskip(NEXT) | instid1(VALU_DEP_1)
	v_add_f64_e32 v[16:17], v[16:17], v[24:25]
	v_add_f64_e64 v[16:17], v[16:17], -v[20:21]
	s_delay_alu instid0(VALU_DEP_1) | instskip(NEXT) | instid1(VALU_DEP_1)
	v_fmamk_f64 v[20:21], v[22:23], 0xb97b839a252049c0, v[16:17]
	v_add_f64_e32 v[16:17], v[48:49], v[20:21]
	s_delay_alu instid0(VALU_DEP_1) | instskip(NEXT) | instid1(VALU_DEP_1)
	v_add_f64_e64 v[24:25], v[16:17], -v[48:49]
	v_add_f64_e64 v[20:21], v[20:21], -v[24:25]
.LBB0_56:
	s_or_b32 exec_lo, exec_lo, s5
                                        ; implicit-def: $vgpr34
                                        ; implicit-def: $vgpr22_vgpr23
                                        ; implicit-def: $vgpr24_vgpr25
	s_and_saveexec_b32 s5, s1
	s_delay_alu instid0(SALU_CYCLE_1)
	s_xor_b32 s1, exec_lo, s5
	s_cbranch_execz .LBB0_58
; %bb.57:
	v_cmp_le_f64_e64 vcc_lo, 0x7b000000, |v[14:15]|
	s_mov_b64 s[6:7], 0x3ff921fb54442d18
	v_dual_mov_b32 v54, 0 :: v_dual_cndmask_b32 v23, v35, v33
	v_cndmask_b32_e32 v22, v14, v32, vcc_lo
	s_delay_alu instid0(VALU_DEP_1) | instskip(SKIP_2) | instid1(VALU_DEP_3)
	v_mul_f64_e32 v[24:25], v[30:31], v[22:23]
	v_mul_f64_e32 v[32:33], v[28:29], v[22:23]
	;; [unrolled: 1-line block ×3, first 2 shown]
	v_fma_f64 v[30:31], v[30:31], v[22:23], -v[24:25]
	s_delay_alu instid0(VALU_DEP_3) | instskip(NEXT) | instid1(VALU_DEP_3)
	v_fma_f64 v[28:29], v[28:29], v[22:23], -v[32:33]
	v_fma_f64 v[22:23], v[26:27], v[22:23], -v[52:53]
	s_delay_alu instid0(VALU_DEP_3) | instskip(NEXT) | instid1(VALU_DEP_1)
	v_add_f64_e32 v[34:35], v[32:33], v[30:31]
	v_add_f64_e64 v[38:39], v[34:35], -v[32:33]
	v_add_f64_e32 v[50:51], v[24:25], v[34:35]
	s_delay_alu instid0(VALU_DEP_2) | instskip(SKIP_1) | instid1(VALU_DEP_3)
	v_add_f64_e64 v[48:49], v[34:35], -v[38:39]
	v_add_f64_e64 v[30:31], v[30:31], -v[38:39]
	v_ldexp_f64 v[38:39], v[50:51], -2
	s_delay_alu instid0(VALU_DEP_3) | instskip(SKIP_1) | instid1(VALU_DEP_3)
	v_add_f64_e64 v[32:33], v[32:33], -v[48:49]
	v_add_f64_e32 v[48:49], v[52:53], v[28:29]
	v_cmp_neq_f64_e64 vcc_lo, 0x7ff00000, |v[38:39]|
	s_delay_alu instid0(VALU_DEP_3) | instskip(SKIP_1) | instid1(VALU_DEP_1)
	v_add_f64_e32 v[30:31], v[30:31], v[32:33]
	v_fract_f64_e32 v[32:33], v[38:39]
	v_ldexp_f64 v[32:33], v[32:33], 2
	s_delay_alu instid0(VALU_DEP_1) | instskip(SKIP_1) | instid1(VALU_DEP_3)
	v_cndmask_b32_e32 v33, 0, v33, vcc_lo
	v_add_f64_e64 v[24:25], v[50:51], -v[24:25]
	v_cndmask_b32_e32 v32, 0, v32, vcc_lo
	s_delay_alu instid0(VALU_DEP_2) | instskip(SKIP_1) | instid1(VALU_DEP_1)
	v_add_f64_e64 v[24:25], v[34:35], -v[24:25]
	v_add_f64_e32 v[34:35], v[48:49], v[30:31]
	v_add_f64_e32 v[38:39], v[24:25], v[34:35]
	v_add_f64_e64 v[64:65], v[34:35], -v[48:49]
	s_delay_alu instid0(VALU_DEP_2) | instskip(NEXT) | instid1(VALU_DEP_2)
	v_add_f64_e32 v[50:51], v[38:39], v[32:33]
	v_add_f64_e64 v[70:71], v[34:35], -v[64:65]
	v_add_f64_e64 v[30:31], v[30:31], -v[64:65]
	;; [unrolled: 1-line block ×3, first 2 shown]
	s_delay_alu instid0(VALU_DEP_4) | instskip(SKIP_1) | instid1(VALU_DEP_3)
	v_cmp_gt_f64_e32 vcc_lo, 0, v[50:51]
	v_add_f64_e64 v[50:51], v[48:49], -v[52:53]
	v_add_f64_e64 v[24:25], v[34:35], -v[24:25]
	v_cndmask_b32_e64 v55, 0, 0x40100000, vcc_lo
	s_delay_alu instid0(VALU_DEP_3) | instskip(SKIP_2) | instid1(VALU_DEP_4)
	v_add_f64_e64 v[68:69], v[48:49], -v[50:51]
	v_add_f64_e64 v[28:29], v[28:29], -v[50:51]
	;; [unrolled: 1-line block ×3, first 2 shown]
	v_add_f64_e32 v[32:33], v[32:33], v[54:55]
	s_delay_alu instid0(VALU_DEP_4) | instskip(NEXT) | instid1(VALU_DEP_3)
	v_add_f64_e64 v[50:51], v[52:53], -v[68:69]
	v_add_f64_e32 v[30:31], v[30:31], v[48:49]
	s_delay_alu instid0(VALU_DEP_3) | instskip(NEXT) | instid1(VALU_DEP_3)
	v_add_f64_e32 v[66:67], v[38:39], v[32:33]
	v_add_f64_e32 v[28:29], v[28:29], v[50:51]
	s_delay_alu instid0(VALU_DEP_2) | instskip(NEXT) | instid1(VALU_DEP_2)
	v_cvt_i32_f64_e32 v37, v[66:67]
	v_add_f64_e32 v[26:27], v[28:29], v[30:31]
	s_delay_alu instid0(VALU_DEP_2) | instskip(NEXT) | instid1(VALU_DEP_2)
	v_cvt_f64_i32_e32 v[64:65], v37
	v_add_f64_e32 v[22:23], v[22:23], v[26:27]
	s_delay_alu instid0(VALU_DEP_2) | instskip(NEXT) | instid1(VALU_DEP_2)
	v_add_f64_e64 v[32:33], v[32:33], -v[64:65]
	v_add_f64_e32 v[22:23], v[24:25], v[22:23]
	s_delay_alu instid0(VALU_DEP_2) | instskip(NEXT) | instid1(VALU_DEP_1)
	v_add_f64_e32 v[28:29], v[38:39], v[32:33]
	v_add_f64_e64 v[26:27], v[28:29], -v[32:33]
	v_cmp_le_f64_e32 vcc_lo, 0.5, v[28:29]
	s_delay_alu instid0(VALU_DEP_2) | instskip(SKIP_2) | instid1(VALU_DEP_3)
	v_add_f64_e64 v[24:25], v[38:39], -v[26:27]
	v_cndmask_b32_e64 v55, 0, 0x3ff00000, vcc_lo
	v_add_co_ci_u32_e64 v34, null, 0, v37, vcc_lo
	v_add_f64_e32 v[22:23], v[22:23], v[24:25]
	s_delay_alu instid0(VALU_DEP_3) | instskip(NEXT) | instid1(VALU_DEP_1)
	v_add_f64_e64 v[24:25], v[28:29], -v[54:55]
	v_add_f64_e32 v[26:27], v[24:25], v[22:23]
	s_delay_alu instid0(VALU_DEP_1) | instskip(SKIP_1) | instid1(VALU_DEP_2)
	v_mul_f64_e32 v[28:29], 0x3ff921fb54442d18, v[26:27]
	v_add_f64_e64 v[24:25], v[26:27], -v[24:25]
	v_fma_f64 v[30:31], v[26:27], s[6:7], -v[28:29]
	s_delay_alu instid0(VALU_DEP_2) | instskip(NEXT) | instid1(VALU_DEP_2)
	v_add_f64_e64 v[22:23], v[22:23], -v[24:25]
	v_fmamk_f64 v[24:25], v[26:27], 0x3c91a62633145c07, v[30:31]
	s_delay_alu instid0(VALU_DEP_1) | instskip(NEXT) | instid1(VALU_DEP_1)
	v_fmac_f64_e32 v[24:25], 0x3ff921fb54442d18, v[22:23]
	v_add_f64_e32 v[22:23], v[28:29], v[24:25]
	s_delay_alu instid0(VALU_DEP_1) | instskip(NEXT) | instid1(VALU_DEP_1)
	v_add_f64_e64 v[26:27], v[22:23], -v[28:29]
	v_add_f64_e64 v[24:25], v[24:25], -v[26:27]
	s_and_not1_saveexec_b32 s1, s1
	s_cbranch_execnz .LBB0_59
	s_branch .LBB0_60
.LBB0_58:
	s_and_not1_saveexec_b32 s1, s1
	s_cbranch_execz .LBB0_60
.LBB0_59:
	s_mov_b64 s[6:7], 0x3fe45f306dc9c883
	s_delay_alu instid0(SALU_CYCLE_1) | instskip(SKIP_1) | instid1(VALU_DEP_1)
	v_mul_f64_e64 v[22:23], |v[14:15]|, s[6:7]
	s_mov_b64 s[6:7], 0xbff921fb54442d18
	v_rndne_f64_e32 v[26:27], v[22:23]
	s_delay_alu instid0(VALU_DEP_1) | instskip(SKIP_2) | instid1(VALU_DEP_3)
	v_fma_f64 v[22:23], v[26:27], s[6:7], |v[14:15]|
	v_mul_f64_e32 v[24:25], 0xbc91a62633145c00, v[26:27]
	v_cvt_i32_f64_e32 v34, v[26:27]
	v_fmamk_f64 v[32:33], v[26:27], 0xbc91a62633145c00, v[22:23]
	s_delay_alu instid0(VALU_DEP_3) | instskip(NEXT) | instid1(VALU_DEP_1)
	v_add_f64_e32 v[28:29], v[22:23], v[24:25]
	v_add_f64_e64 v[30:31], v[22:23], -v[28:29]
	s_delay_alu instid0(VALU_DEP_3) | instskip(NEXT) | instid1(VALU_DEP_2)
	v_add_f64_e64 v[22:23], v[28:29], -v[32:33]
	v_add_f64_e32 v[28:29], v[30:31], v[24:25]
	v_fmamk_f64 v[24:25], v[26:27], 0x3c91a62633145c00, v[24:25]
	s_delay_alu instid0(VALU_DEP_2) | instskip(NEXT) | instid1(VALU_DEP_1)
	v_add_f64_e32 v[22:23], v[22:23], v[28:29]
	v_add_f64_e64 v[22:23], v[22:23], -v[24:25]
	s_delay_alu instid0(VALU_DEP_1) | instskip(NEXT) | instid1(VALU_DEP_1)
	v_fmamk_f64 v[24:25], v[26:27], 0xb97b839a252049c0, v[22:23]
	v_add_f64_e32 v[22:23], v[32:33], v[24:25]
	s_delay_alu instid0(VALU_DEP_1) | instskip(NEXT) | instid1(VALU_DEP_1)
	v_add_f64_e64 v[28:29], v[22:23], -v[32:33]
	v_add_f64_e64 v[24:25], v[24:25], -v[28:29]
.LBB0_60:
	s_or_b32 exec_lo, exec_lo, s1
	v_div_scale_f64 v[26:27], null, v[10:11], v[10:11], 0x40140000
	v_cmp_class_f64_e64 s1, v[14:15], 0x1f8
	s_delay_alu instid0(VALU_DEP_3)
	v_mul_f64_e32 v[96:97], 0.5, v[20:21]
	v_mov_b64_e32 v[66:67], 0xbe927e4fa17f65f6
	v_mov_b64_e32 v[68:69], 0x3efa01a019f4ec90
	;; [unrolled: 1-line block ×6, first 2 shown]
	v_rcp_f64_e32 v[28:29], v[26:27]
	v_nop
	s_delay_alu instid0(TRANS32_DEP_1) | instskip(NEXT) | instid1(VALU_DEP_1)
	v_fma_f64 v[30:31], -v[26:27], v[28:29], 1.0
	v_fmac_f64_e32 v[28:29], v[28:29], v[30:31]
	s_delay_alu instid0(VALU_DEP_1) | instskip(NEXT) | instid1(VALU_DEP_1)
	v_fma_f64 v[30:31], -v[26:27], v[28:29], 1.0
	v_fmac_f64_e32 v[28:29], v[28:29], v[30:31]
	v_div_scale_f64 v[30:31], vcc_lo, 0x40140000, v[10:11], 0x40140000
	s_delay_alu instid0(VALU_DEP_1) | instskip(NEXT) | instid1(VALU_DEP_1)
	v_mul_f64_e32 v[32:33], v[30:31], v[28:29]
	v_fma_f64 v[26:27], -v[26:27], v[32:33], v[30:31]
	s_delay_alu instid0(VALU_DEP_1) | instskip(NEXT) | instid1(VALU_DEP_1)
	v_div_fmas_f64 v[26:27], v[26:27], v[28:29], v[32:33]
	v_div_fixup_f64 v[26:27], v[26:27], v[10:11], 0x40140000
	s_delay_alu instid0(VALU_DEP_1) | instskip(NEXT) | instid1(VALU_DEP_1)
	v_mul_f64_e32 v[28:29], v[26:27], v[26:27]
	v_fmaak_f64 v[38:39], 0, v[28:29], 0x3faa27fa6b70ba40
	v_fmaak_f64 v[30:31], 0, v[28:29], 0x3f48f92c4c6c651b
	;; [unrolled: 1-line block ×4, first 2 shown]
	s_delay_alu instid0(VALU_DEP_4) | instskip(NEXT) | instid1(VALU_DEP_4)
	v_fmaak_f64 v[38:39], v[28:29], v[38:39], 0x4013edb5c66d8fd6
	v_fmaak_f64 v[30:31], v[28:29], v[30:31], 0x3fb2b948a3fec4b6
	s_delay_alu instid0(VALU_DEP_4) | instskip(NEXT) | instid1(VALU_DEP_4)
	v_fmaak_f64 v[32:33], v[28:29], v[32:33], 0x3fb19fdd5948aa83
	v_fmaak_f64 v[48:49], v[28:29], v[48:49], 0x409081cba20e5f6f
	;; [unrolled: 3-line block ×10, first 2 shown]
	s_delay_alu instid0(VALU_DEP_4) | instskip(NEXT) | instid1(VALU_DEP_3)
	v_fmaak_f64 v[38:39], v[28:29], v[38:39], 0x406a760a4c54bb0b
	v_fma_f64 v[32:33], v[28:29], v[32:33], 1.0
	s_delay_alu instid0(VALU_DEP_3) | instskip(NEXT) | instid1(VALU_DEP_3)
	v_fmaak_f64 v[48:49], v[28:29], v[48:49], 0x4075017f6ae75997
	v_fmaak_f64 v[38:39], v[28:29], v[38:39], 0x403934ff4d159eb5
	v_fma_f64 v[28:29], v[28:29], v[30:31], 1.0
	s_delay_alu instid0(VALU_DEP_1) | instskip(NEXT) | instid1(VALU_DEP_1)
	v_div_scale_f64 v[30:31], null, v[32:33], v[32:33], v[28:29]
	v_rcp_f64_e32 v[50:51], v[30:31]
	v_nop
	s_delay_alu instid0(TRANS32_DEP_1) | instskip(NEXT) | instid1(VALU_DEP_1)
	v_fma_f64 v[52:53], -v[30:31], v[50:51], 1.0
	v_fmac_f64_e32 v[50:51], v[50:51], v[52:53]
	s_delay_alu instid0(VALU_DEP_1) | instskip(NEXT) | instid1(VALU_DEP_1)
	v_fma_f64 v[52:53], -v[30:31], v[50:51], 1.0
	v_fmac_f64_e32 v[50:51], v[50:51], v[52:53]
	v_div_scale_f64 v[52:53], vcc_lo, v[28:29], v[32:33], v[28:29]
	s_delay_alu instid0(VALU_DEP_1) | instskip(NEXT) | instid1(VALU_DEP_1)
	v_mul_f64_e32 v[54:55], v[52:53], v[50:51]
	v_fma_f64 v[30:31], -v[30:31], v[54:55], v[52:53]
	s_delay_alu instid0(VALU_DEP_1) | instskip(SKIP_1) | instid1(VALU_DEP_2)
	v_div_fmas_f64 v[30:31], v[30:31], v[50:51], v[54:55]
	v_mov_b64_e32 v[54:55], 0x3e21eeb69037ab78
	v_div_fixup_f64 v[28:29], v[30:31], v[32:33], v[28:29]
	v_mul_f64_e32 v[30:31], v[16:17], v[16:17]
	s_delay_alu instid0(VALU_DEP_1) | instskip(NEXT) | instid1(VALU_DEP_4)
	v_mul_f64_e32 v[32:33], 0.5, v[30:31]
	v_fmamk_f64 v[64:65], v[30:31], 0xbda907db46cc5e42, v[54:55]
	v_mul_f64_e64 v[86:87], v[16:17], -v[30:31]
	s_delay_alu instid0(VALU_DEP_2) | instskip(NEXT) | instid1(VALU_DEP_1)
	v_fmaak_f64 v[64:65], v[30:31], v[64:65], 0xbe927e4fa17f65f6
	v_fmaak_f64 v[64:65], v[30:31], v[64:65], 0x3efa01a019f4ec90
	s_delay_alu instid0(VALU_DEP_1) | instskip(NEXT) | instid1(VALU_DEP_1)
	v_fmaak_f64 v[64:65], v[30:31], v[64:65], 0xbf56c16c16c16967
	v_fmaak_f64 v[64:65], v[30:31], v[64:65], 0x3fa5555555555555
	v_add_f64_e64 v[50:51], -v[32:33], 1.0
	s_delay_alu instid0(VALU_DEP_1) | instskip(NEXT) | instid1(VALU_DEP_1)
	v_add_f64_e64 v[52:53], -v[50:51], 1.0
	v_add_f64_e64 v[32:33], v[52:53], -v[32:33]
	v_mul_f64_e32 v[52:53], v[30:31], v[30:31]
	s_delay_alu instid0(VALU_DEP_2) | instskip(NEXT) | instid1(VALU_DEP_1)
	v_fma_f64 v[32:33], v[16:17], -v[20:21], v[32:33]
	v_fmac_f64_e32 v[32:33], v[52:53], v[64:65]
	v_mov_b64_e32 v[64:65], 0x3ec71de3796cde01
	s_delay_alu instid0(VALU_DEP_2) | instskip(SKIP_1) | instid1(VALU_DEP_1)
	v_add_f64_e32 v[32:33], v[50:51], v[32:33]
	v_mov_b64_e32 v[50:51], 0xbe5ae600b42fdfa7
	v_fmamk_f64 v[52:53], v[30:31], 0x3de5e0b2f9a43bb8, v[50:51]
	s_delay_alu instid0(VALU_DEP_1) | instskip(NEXT) | instid1(VALU_DEP_1)
	v_fmaak_f64 v[52:53], v[30:31], v[52:53], 0x3ec71de3796cde01
	v_fmaak_f64 v[52:53], v[30:31], v[52:53], 0xbf2a01a019e83e5c
	s_delay_alu instid0(VALU_DEP_1) | instskip(NEXT) | instid1(VALU_DEP_1)
	v_fmaak_f64 v[52:53], v[30:31], v[52:53], 0x3f81111111110bb3
	v_fmac_f64_e32 v[96:97], v[86:87], v[52:53]
	s_delay_alu instid0(VALU_DEP_1) | instskip(NEXT) | instid1(VALU_DEP_1)
	v_fma_f64 v[20:21], v[30:31], v[96:97], -v[20:21]
	v_fmac_f64_e32 v[20:21], 0xbfc5555555555555, v[86:87]
	s_delay_alu instid0(VALU_DEP_1) | instskip(SKIP_1) | instid1(VALU_DEP_2)
	v_dual_add_f64 v[16:17], v[16:17], -v[20:21] :: v_dual_bitop2_b32 v20, 1, v7 bitop3:0x40
	v_lshlrev_b32_e32 v7, 30, v7
	v_cmp_eq_u32_e32 vcc_lo, 0, v20
	s_delay_alu instid0(VALU_DEP_2) | instskip(NEXT) | instid1(VALU_DEP_1)
	v_dual_cndmask_b32 v16, v32, v16, vcc_lo :: v_dual_bitop2_b32 v7, v7, v15 bitop3:0x14
	v_dual_cndmask_b32 v17, v33, v17, vcc_lo :: v_dual_cndmask_b32 v14, 0, v16, s1
	s_delay_alu instid0(VALU_DEP_1) | instskip(SKIP_1) | instid1(VALU_DEP_2)
	v_bitop3_b32 v7, v17, v7, 0x80000000 bitop3:0x78
	v_div_scale_f64 v[16:17], null, v[48:49], v[48:49], v[38:39]
	v_cndmask_b32_e64 v15, 0x7ff80000, v7, s1
	s_delay_alu instid0(VALU_DEP_2) | instskip(SKIP_1) | instid1(TRANS32_DEP_1)
	v_rcp_f64_e32 v[20:21], v[16:17]
	v_nop
	v_fma_f64 v[30:31], -v[16:17], v[20:21], 1.0
	s_delay_alu instid0(VALU_DEP_1) | instskip(NEXT) | instid1(VALU_DEP_1)
	v_fmac_f64_e32 v[20:21], v[20:21], v[30:31]
	v_fma_f64 v[30:31], -v[16:17], v[20:21], 1.0
	s_delay_alu instid0(VALU_DEP_1) | instskip(SKIP_1) | instid1(VALU_DEP_1)
	v_fmac_f64_e32 v[20:21], v[20:21], v[30:31]
	v_div_scale_f64 v[30:31], vcc_lo, v[38:39], v[48:49], v[38:39]
	v_mul_f64_e32 v[32:33], v[30:31], v[20:21]
	s_delay_alu instid0(VALU_DEP_1) | instskip(NEXT) | instid1(VALU_DEP_1)
	v_fma_f64 v[16:17], -v[16:17], v[32:33], v[30:31]
	v_div_fmas_f64 v[16:17], v[16:17], v[20:21], v[32:33]
	v_mul_f64_e32 v[20:21], v[22:23], v[22:23]
	s_delay_alu instid0(VALU_DEP_2) | instskip(NEXT) | instid1(VALU_DEP_2)
	v_div_fixup_f64 v[16:17], v[16:17], v[48:49], v[38:39]
	v_fmac_f64_e32 v[54:55], 0xbda907db46cc5e42, v[20:21]
	v_fmac_f64_e32 v[50:51], 0x3de5e0b2f9a43bb8, v[20:21]
	s_delay_alu instid0(VALU_DEP_3) | instskip(SKIP_1) | instid1(VALU_DEP_4)
	v_mul_f64_e32 v[16:17], v[26:27], v[16:17]
	v_mul_f64_e32 v[26:27], 0.5, v[20:21]
	v_fmac_f64_e32 v[66:67], v[20:21], v[54:55]
	s_delay_alu instid0(VALU_DEP_4) | instskip(NEXT) | instid1(VALU_DEP_3)
	v_fmac_f64_e32 v[64:65], v[20:21], v[50:51]
	v_add_f64_e64 v[30:31], -v[26:27], 1.0
	s_delay_alu instid0(VALU_DEP_3) | instskip(NEXT) | instid1(VALU_DEP_3)
	v_fmac_f64_e32 v[68:69], v[20:21], v[66:67]
	v_fmac_f64_e32 v[82:83], v[20:21], v[64:65]
	s_delay_alu instid0(VALU_DEP_3) | instskip(NEXT) | instid1(VALU_DEP_3)
	v_add_f64_e64 v[32:33], -v[30:31], 1.0
	v_fmac_f64_e32 v[70:71], v[20:21], v[68:69]
	s_delay_alu instid0(VALU_DEP_3) | instskip(NEXT) | instid1(VALU_DEP_3)
	v_fmac_f64_e32 v[84:85], v[20:21], v[82:83]
	v_add_f64_e64 v[26:27], v[32:33], -v[26:27]
	v_mul_f64_e32 v[32:33], v[20:21], v[20:21]
	s_delay_alu instid0(VALU_DEP_4) | instskip(NEXT) | instid1(VALU_DEP_3)
	v_fmac_f64_e32 v[80:81], v[20:21], v[70:71]
	v_fma_f64 v[26:27], v[22:23], -v[24:25], v[26:27]
	s_delay_alu instid0(VALU_DEP_1) | instskip(SKIP_1) | instid1(VALU_DEP_2)
	v_fmac_f64_e32 v[26:27], v[32:33], v[80:81]
	v_mul_f64_e32 v[32:33], 0.5, v[24:25]
	v_add_f64_e32 v[26:27], v[30:31], v[26:27]
	v_mul_f64_e64 v[30:31], v[22:23], -v[20:21]
	s_delay_alu instid0(VALU_DEP_1) | instskip(NEXT) | instid1(VALU_DEP_1)
	v_fmac_f64_e32 v[32:33], v[30:31], v[84:85]
	v_fma_f64 v[20:21], v[20:21], v[32:33], -v[24:25]
	s_delay_alu instid0(VALU_DEP_1) | instskip(NEXT) | instid1(VALU_DEP_1)
	v_fmac_f64_e32 v[20:21], 0xbfc5555555555555, v[30:31]
	v_add_f64_e64 v[20:21], v[22:23], -v[20:21]
	s_delay_alu instid0(VALU_DEP_1) | instskip(SKIP_1) | instid1(VALU_DEP_1)
	v_xor_b32_e32 v7, 0x80000000, v21
	v_and_b32_e32 v21, 1, v34
	v_cmp_eq_u32_e32 vcc_lo, 0, v21
	s_delay_alu instid0(VALU_DEP_3) | instskip(SKIP_2) | instid1(VALU_DEP_3)
	v_dual_lshlrev_b32 v21, 30, v34 :: v_dual_cndmask_b32 v7, v7, v27, vcc_lo
	v_cndmask_b32_e32 v20, v20, v26, vcc_lo
	v_cmp_gt_f64_e32 vcc_lo, 0x10000000, v[10:11]
	v_bitop3_b32 v7, v7, v21, 0x80000000 bitop3:0x78
	s_delay_alu instid0(VALU_DEP_3) | instskip(NEXT) | instid1(VALU_DEP_2)
	v_cndmask_b32_e64 v20, 0, v20, s1
	v_cndmask_b32_e64 v21, 0x7ff80000, v7, s1
	s_delay_alu instid0(VALU_DEP_1) | instskip(SKIP_1) | instid1(VALU_DEP_1)
	v_mul_f64_e32 v[16:17], v[16:17], v[20:21]
	v_cndmask_b32_e64 v7, 0, 0x100, vcc_lo
	v_ldexp_f64 v[10:11], v[10:11], v7
	v_cndmask_b32_e64 v7, 0, 0xffffff80, vcc_lo
	s_delay_alu instid0(VALU_DEP_4) | instskip(NEXT) | instid1(VALU_DEP_3)
	v_fmac_f64_e32 v[16:17], v[28:29], v[14:15]
	v_cmp_class_f64_e64 vcc_lo, v[10:11], 0x260
	s_delay_alu instid0(VALU_DEP_2) | instskip(SKIP_2) | instid1(TRANS32_DEP_1)
	v_mul_f64_e32 v[14:15], 0x3fe9884533d43651, v[16:17]
	v_rsq_f64_e32 v[16:17], v[10:11]
	v_nop
	v_mul_f64_e32 v[20:21], v[10:11], v[16:17]
	v_mul_f64_e32 v[16:17], 0.5, v[16:17]
	s_delay_alu instid0(VALU_DEP_1) | instskip(NEXT) | instid1(VALU_DEP_1)
	v_fma_f64 v[22:23], -v[16:17], v[20:21], 0.5
	v_fmac_f64_e32 v[20:21], v[20:21], v[22:23]
	v_fmac_f64_e32 v[16:17], v[16:17], v[22:23]
	s_delay_alu instid0(VALU_DEP_2) | instskip(NEXT) | instid1(VALU_DEP_1)
	v_fma_f64 v[24:25], -v[20:21], v[20:21], v[10:11]
	v_fmac_f64_e32 v[20:21], v[24:25], v[16:17]
	s_delay_alu instid0(VALU_DEP_1) | instskip(NEXT) | instid1(VALU_DEP_1)
	v_fma_f64 v[22:23], -v[20:21], v[20:21], v[10:11]
	v_fmac_f64_e32 v[20:21], v[22:23], v[16:17]
	s_delay_alu instid0(VALU_DEP_1) | instskip(NEXT) | instid1(VALU_DEP_1)
	v_ldexp_f64 v[16:17], v[20:21], v7
	v_dual_cndmask_b32 v11, v17, v11 :: v_dual_cndmask_b32 v10, v16, v10
	s_delay_alu instid0(VALU_DEP_1) | instskip(NEXT) | instid1(VALU_DEP_1)
	v_div_scale_f64 v[16:17], null, v[10:11], v[10:11], v[14:15]
	v_rcp_f64_e32 v[20:21], v[16:17]
	v_nop
	s_delay_alu instid0(TRANS32_DEP_1) | instskip(NEXT) | instid1(VALU_DEP_1)
	v_fma_f64 v[22:23], -v[16:17], v[20:21], 1.0
	v_fmac_f64_e32 v[20:21], v[20:21], v[22:23]
	s_delay_alu instid0(VALU_DEP_1) | instskip(NEXT) | instid1(VALU_DEP_1)
	v_fma_f64 v[22:23], -v[16:17], v[20:21], 1.0
	v_fmac_f64_e32 v[20:21], v[20:21], v[22:23]
	v_div_scale_f64 v[22:23], vcc_lo, v[14:15], v[10:11], v[14:15]
	s_delay_alu instid0(VALU_DEP_1) | instskip(NEXT) | instid1(VALU_DEP_1)
	v_mul_f64_e32 v[24:25], v[22:23], v[20:21]
	v_fma_f64 v[16:17], -v[16:17], v[24:25], v[22:23]
	s_delay_alu instid0(VALU_DEP_1) | instskip(NEXT) | instid1(VALU_DEP_1)
	v_div_fmas_f64 v[16:17], v[16:17], v[20:21], v[24:25]
	v_div_fixup_f64 v[14:15], v[16:17], v[10:11], v[14:15]
.LBB0_61:
	s_or_b32 exec_lo, exec_lo, s4
.LBB0_62:
	s_delay_alu instid0(SALU_CYCLE_1) | instskip(SKIP_2) | instid1(VALU_DEP_1)
	s_or_b32 exec_lo, exec_lo, s2
	v_add_nc_u32_e32 v7, 0x300, v5
	s_mov_b32 s2, exec_lo
	v_cmpx_lt_i32_e64 v7, v4
	s_cbranch_execz .LBB0_72
; %bb.63:
	s_mov_b32 s1, exec_lo
	s_wait_loadcnt_dscnt 0x0
	v_cmpx_ge_f64_e32 0x40140000, v[8:9]
	s_xor_b32 s4, exec_lo, s1
                                        ; implicit-def: $vgpr12_vgpr13
	s_cbranch_execz .LBB0_69
; %bb.64:
	v_mov_b64_e32 v[12:13], 0xfff0000000000000
	s_mov_b32 s5, exec_lo
	v_cmpx_neq_f64_e32 0, v[8:9]
	s_cbranch_execz .LBB0_68
; %bb.65:
	v_mov_b64_e32 v[12:13], 0x7ff8000000000000
	s_mov_b32 s6, exec_lo
	v_cmpx_nge_f64_e32 0, v[8:9]
	s_cbranch_execz .LBB0_67
; %bb.66:
	v_frexp_mant_f64_e32 v[10:11], v[8:9]
	s_mov_b64 s[8:9], 0x3fe5555555555555
	s_delay_alu instid0(VALU_DEP_1) | instid1(SALU_CYCLE_1)
	v_cmp_gt_f64_e32 vcc_lo, s[8:9], v[10:11]
	s_mov_b64 s[8:9], 0x3fc3ab76bf559e2b
	v_cndmask_b32_e64 v7, 0, 1, vcc_lo
	s_delay_alu instid0(VALU_DEP_1) | instskip(SKIP_1) | instid1(VALU_DEP_2)
	v_ldexp_f64 v[10:11], v[10:11], v7
	v_frexp_exp_i32_f64_e32 v7, v[8:9]
	v_add_f64_e32 v[12:13], 1.0, v[10:11]
	v_add_f64_e32 v[22:23], -1.0, v[10:11]
	s_delay_alu instid0(VALU_DEP_3) | instskip(NEXT) | instid1(VALU_DEP_3)
	v_subrev_co_ci_u32_e64 v7, null, 0, v7, vcc_lo
	v_rcp_f64_e32 v[16:17], v[12:13]
	v_add_f64_e32 v[24:25], -1.0, v[12:13]
	s_delay_alu instid0(VALU_DEP_1) | instskip(NEXT) | instid1(TRANS32_DEP_1)
	v_add_f64_e64 v[10:11], v[10:11], -v[24:25]
	v_fma_f64 v[20:21], -v[12:13], v[16:17], 1.0
	s_delay_alu instid0(VALU_DEP_1) | instskip(NEXT) | instid1(VALU_DEP_1)
	v_fmac_f64_e32 v[16:17], v[20:21], v[16:17]
	v_fma_f64 v[20:21], -v[12:13], v[16:17], 1.0
	s_delay_alu instid0(VALU_DEP_1) | instskip(NEXT) | instid1(VALU_DEP_1)
	v_fmac_f64_e32 v[16:17], v[20:21], v[16:17]
	v_mul_f64_e32 v[20:21], v[22:23], v[16:17]
	s_delay_alu instid0(VALU_DEP_1) | instskip(NEXT) | instid1(VALU_DEP_1)
	v_mul_f64_e32 v[26:27], v[12:13], v[20:21]
	v_fma_f64 v[12:13], v[20:21], v[12:13], -v[26:27]
	s_delay_alu instid0(VALU_DEP_1) | instskip(NEXT) | instid1(VALU_DEP_1)
	v_fmac_f64_e32 v[12:13], v[20:21], v[10:11]
	v_add_f64_e32 v[10:11], v[26:27], v[12:13]
	s_delay_alu instid0(VALU_DEP_1) | instskip(SKIP_1) | instid1(VALU_DEP_2)
	v_add_f64_e64 v[24:25], v[22:23], -v[10:11]
	v_add_f64_e64 v[26:27], v[10:11], -v[26:27]
	;; [unrolled: 1-line block ×3, first 2 shown]
	s_delay_alu instid0(VALU_DEP_2) | instskip(SKIP_1) | instid1(VALU_DEP_3)
	v_add_f64_e64 v[12:13], v[26:27], -v[12:13]
	v_cvt_f64_i32_e32 v[26:27], v7
	v_add_f64_e64 v[10:11], v[22:23], -v[10:11]
	s_delay_alu instid0(VALU_DEP_2) | instskip(NEXT) | instid1(VALU_DEP_2)
	v_mul_f64_e32 v[32:33], 0x3fe62e42fefa39ef, v[26:27]
	v_add_f64_e32 v[10:11], v[12:13], v[10:11]
	s_delay_alu instid0(VALU_DEP_1) | instskip(NEXT) | instid1(VALU_DEP_1)
	v_add_f64_e32 v[10:11], v[24:25], v[10:11]
	v_mul_f64_e32 v[10:11], v[16:17], v[10:11]
	s_delay_alu instid0(VALU_DEP_1) | instskip(NEXT) | instid1(VALU_DEP_1)
	v_add_f64_e32 v[12:13], v[20:21], v[10:11]
	v_mul_f64_e32 v[16:17], v[12:13], v[12:13]
	s_delay_alu instid0(VALU_DEP_1) | instskip(SKIP_2) | instid1(SALU_CYCLE_1)
	v_fmaak_f64 v[22:23], s[8:9], v[16:17], 0x3fc385386b47b09a
	v_mul_f64_e32 v[24:25], v[12:13], v[16:17]
	s_mov_b64 s[8:9], 0x3fe62e42fefa39ef
	v_fma_f64 v[38:39], v[26:27], s[8:9], -v[32:33]
	s_delay_alu instid0(VALU_DEP_3) | instskip(NEXT) | instid1(VALU_DEP_1)
	v_fmaak_f64 v[22:23], v[16:17], v[22:23], 0x3fc7474dd7f4df2e
	v_fmaak_f64 v[22:23], v[16:17], v[22:23], 0x3fcc71c016291751
	s_delay_alu instid0(VALU_DEP_1) | instskip(NEXT) | instid1(VALU_DEP_1)
	v_fmaak_f64 v[22:23], v[16:17], v[22:23], 0x3fd249249b27acf1
	v_fmaak_f64 v[22:23], v[16:17], v[22:23], 0x3fd99999998ef7b6
	s_delay_alu instid0(VALU_DEP_1) | instskip(SKIP_3) | instid1(VALU_DEP_4)
	v_fmaak_f64 v[16:17], v[16:17], v[22:23], 0x3fe5555555555780
	v_ldexp_f64 v[22:23], v[12:13], 1
	v_add_f64_e64 v[12:13], v[12:13], -v[20:21]
	v_fmamk_f64 v[26:27], v[26:27], 0x3c7abc9e3b39803f, v[38:39]
	v_mul_f64_e32 v[16:17], v[24:25], v[16:17]
	v_mul_f64_e32 v[24:25], v[8:9], v[8:9]
	s_delay_alu instid0(VALU_DEP_3) | instskip(SKIP_1) | instid1(VALU_DEP_4)
	v_add_f64_e32 v[38:39], v[32:33], v[26:27]
	v_add_f64_e64 v[10:11], v[10:11], -v[12:13]
	v_add_f64_e32 v[20:21], v[22:23], v[16:17]
	s_delay_alu instid0(VALU_DEP_4)
	v_fmaak_f64 v[28:29], 0, v[24:25], 0x40829269a93f7ac2
	v_fmaak_f64 v[30:31], 0, v[24:25], 0x408366b11b7086e7
	;; [unrolled: 1-line block ×3, first 2 shown]
	v_add_f64_e64 v[32:33], v[38:39], -v[32:33]
	v_ldexp_f64 v[10:11], v[10:11], 1
	v_add_f64_e64 v[12:13], v[20:21], -v[22:23]
	v_fmaak_f64 v[22:23], v[24:25], v[28:29], 0x410cc160be58ef7f
	v_fmaak_f64 v[28:29], v[24:25], v[30:31], 0x410f5eda0dd701b2
	;; [unrolled: 1-line block ×3, first 2 shown]
	v_add_f64_e64 v[26:27], v[26:27], -v[32:33]
	s_delay_alu instid0(VALU_DEP_4) | instskip(NEXT) | instid1(VALU_DEP_4)
	v_fmaak_f64 v[22:23], v[24:25], v[22:23], 0x419184efa9c8acee
	v_fmaak_f64 v[28:29], v[24:25], v[28:29], 0x4193e954dc92a1b1
	s_delay_alu instid0(VALU_DEP_4) | instskip(NEXT) | instid1(VALU_DEP_3)
	v_fmaak_f64 v[30:31], v[24:25], v[30:31], 0xc262d72d58836521
	v_fmaak_f64 v[22:23], v[24:25], v[22:23], 0x421178c3906b7b83
	s_delay_alu instid0(VALU_DEP_3) | instskip(NEXT) | instid1(VALU_DEP_3)
	v_fmaak_f64 v[28:29], v[24:25], v[28:29], 0x4214a13f7befeac1
	v_fmaak_f64 v[30:31], v[24:25], v[30:31], 0x42da0954b0910fef
	s_delay_alu instid0(VALU_DEP_3) | instskip(NEXT) | instid1(VALU_DEP_3)
	;; [unrolled: 3-line block ×4, first 2 shown]
	v_fmaak_f64 v[28:29], v[24:25], v[28:29], 0x43064b0a3eccf45f
	v_fmaak_f64 v[30:31], v[24:25], v[30:31], 0x438679ad0b7366b1
	v_add_f64_e64 v[12:13], v[16:17], -v[12:13]
	v_fmaak_f64 v[16:17], v[24:25], v[34:35], 0x425a52ba0d438c6b
	v_fmaak_f64 v[22:23], v[24:25], v[22:23], 0x436e83e3c547a488
	;; [unrolled: 1-line block ×4, first 2 shown]
	s_delay_alu instid0(VALU_DEP_4) | instskip(NEXT) | instid1(VALU_DEP_4)
	v_fmaak_f64 v[16:17], v[24:25], v[16:17], 0xc2d08a92e6ccf175
	v_fmaak_f64 v[22:23], v[24:25], v[22:23], 0x43cb90f190f6747f
	s_delay_alu instid0(VALU_DEP_2) | instskip(SKIP_1) | instid1(VALU_DEP_3)
	v_fmaak_f64 v[16:17], v[24:25], v[16:17], 0x432a2b42a697c482
	v_fmaak_f64 v[24:25], v[24:25], v[28:29], 0x43d2779576702939
	v_div_scale_f64 v[28:29], null, v[22:23], v[22:23], v[30:31]
	v_div_scale_f64 v[82:83], vcc_lo, v[30:31], v[22:23], v[30:31]
	s_delay_alu instid0(VALU_DEP_3) | instskip(SKIP_1) | instid1(VALU_DEP_4)
	v_div_scale_f64 v[34:35], null, v[24:25], v[24:25], v[16:17]
	v_add_f64_e32 v[10:11], v[10:11], v[12:13]
	v_rcp_f64_e32 v[12:13], v[28:29]
	s_delay_alu instid0(VALU_DEP_2) | instskip(NEXT) | instid1(VALU_DEP_1)
	v_rcp_f64_e32 v[48:49], v[34:35]
	v_add_f64_e32 v[50:51], v[20:21], v[10:11]
	s_delay_alu instid0(TRANS32_DEP_2) | instskip(NEXT) | instid1(TRANS32_DEP_1)
	v_fma_f64 v[52:53], -v[28:29], v[12:13], 1.0
	v_fma_f64 v[54:55], -v[34:35], v[48:49], 1.0
	s_delay_alu instid0(VALU_DEP_3) | instskip(SKIP_1) | instid1(VALU_DEP_4)
	v_add_f64_e32 v[64:65], v[38:39], v[50:51]
	v_add_f64_e64 v[20:21], v[50:51], -v[20:21]
	v_fmac_f64_e32 v[12:13], v[12:13], v[52:53]
	v_div_scale_f64 v[52:53], null, v[8:9], v[8:9], -1.0
	v_fmac_f64_e32 v[48:49], v[48:49], v[54:55]
	v_add_f64_e64 v[54:55], v[64:65], -v[38:39]
	v_add_f64_e64 v[10:11], v[10:11], -v[20:21]
	v_fma_f64 v[66:67], -v[28:29], v[12:13], 1.0
	v_rcp_f64_e32 v[68:69], v[52:53]
	s_delay_alu instid0(VALU_DEP_4) | instskip(NEXT) | instid1(VALU_DEP_4)
	v_fma_f64 v[70:71], -v[34:35], v[48:49], 1.0
	v_add_f64_e64 v[80:81], v[64:65], -v[54:55]
	v_add_f64_e64 v[20:21], v[50:51], -v[54:55]
	s_delay_alu instid0(VALU_DEP_4) | instskip(SKIP_4) | instid1(TRANS32_DEP_1)
	v_fmac_f64_e32 v[12:13], v[12:13], v[66:67]
	v_div_scale_f64 v[66:67], s1, v[16:17], v[24:25], v[16:17]
	v_fmac_f64_e32 v[48:49], v[48:49], v[70:71]
	v_add_f64_e32 v[70:71], v[26:27], v[10:11]
	v_add_f64_e64 v[32:33], v[38:39], -v[80:81]
	v_fma_f64 v[38:39], -v[52:53], v[68:69], 1.0
	v_mul_f64_e32 v[50:51], v[82:83], v[12:13]
	v_mul_f64_e32 v[54:55], v[66:67], v[48:49]
	s_delay_alu instid0(VALU_DEP_4) | instskip(NEXT) | instid1(VALU_DEP_4)
	v_add_f64_e32 v[20:21], v[20:21], v[32:33]
	v_fmac_f64_e32 v[68:69], v[68:69], v[38:39]
	s_delay_alu instid0(VALU_DEP_4) | instskip(NEXT) | instid1(VALU_DEP_4)
	v_fma_f64 v[28:29], -v[28:29], v[50:51], v[82:83]
	v_fma_f64 v[32:33], -v[34:35], v[54:55], v[66:67]
	v_add_f64_e64 v[34:35], v[70:71], -v[26:27]
	v_add_f64_e32 v[20:21], v[70:71], v[20:21]
	v_fma_f64 v[38:39], -v[52:53], v[68:69], 1.0
	v_div_fmas_f64 v[12:13], v[28:29], v[12:13], v[50:51]
	s_mov_b32 vcc_lo, s1
	v_div_fmas_f64 v[28:29], v[32:33], v[48:49], v[54:55]
	v_add_f64_e64 v[32:33], v[70:71], -v[34:35]
	v_div_scale_f64 v[50:51], vcc_lo, -1.0, v[8:9], -1.0
	v_add_f64_e32 v[48:49], v[64:65], v[20:21]
	v_fmac_f64_e32 v[68:69], v[68:69], v[38:39]
	v_add_f64_e64 v[10:11], v[10:11], -v[34:35]
	v_div_fixup_f64 v[16:17], v[28:29], v[24:25], v[16:17]
	v_add_f64_e64 v[24:25], v[26:27], -v[32:33]
	v_add_f64_e64 v[26:27], v[48:49], -v[64:65]
	v_mul_f64_e32 v[28:29], v[50:51], v[68:69]
	s_delay_alu instid0(VALU_DEP_4) | instskip(NEXT) | instid1(VALU_DEP_4)
	v_mul_f64_e32 v[16:17], v[8:9], v[16:17]
	v_add_f64_e32 v[10:11], v[10:11], v[24:25]
	s_delay_alu instid0(VALU_DEP_4) | instskip(NEXT) | instid1(VALU_DEP_4)
	v_add_f64_e64 v[20:21], v[20:21], -v[26:27]
	v_fma_f64 v[24:25], -v[52:53], v[28:29], v[50:51]
	v_fmaak_f64 v[26:27], v[8:9], v[8:9], 0xc02d5d2b4189822c
	s_delay_alu instid0(VALU_DEP_1) | instskip(NEXT) | instid1(VALU_DEP_4)
	v_mul_f64_e32 v[16:17], v[26:27], v[16:17]
	v_add_f64_e32 v[10:11], v[10:11], v[20:21]
	s_delay_alu instid0(VALU_DEP_4) | instskip(SKIP_1) | instid1(VALU_DEP_1)
	v_div_fmas_f64 v[20:21], v[24:25], v[68:69], v[28:29]
	v_fmaak_f64 v[24:25], v[8:9], v[8:9], 0xc0489bf66072a432
	v_mul_f64_e32 v[16:17], v[24:25], v[16:17]
	s_delay_alu instid0(VALU_DEP_4) | instskip(NEXT) | instid1(VALU_DEP_4)
	v_add_f64_e32 v[10:11], v[48:49], v[10:11]
	v_div_fixup_f64 v[20:21], v[20:21], v[8:9], -1.0
	s_delay_alu instid0(VALU_DEP_1) | instskip(SKIP_1) | instid1(VALU_DEP_2)
	v_fmac_f64_e32 v[20:21], v[16:17], v[10:11]
	v_div_fixup_f64 v[10:11], v[12:13], v[22:23], v[30:31]
	v_mul_f64_e32 v[12:13], 0x3fe45f306dc9c883, v[20:21]
	s_delay_alu instid0(VALU_DEP_1)
	v_fmac_f64_e32 v[12:13], v[8:9], v[10:11]
.LBB0_67:
	s_or_b32 exec_lo, exec_lo, s6
.LBB0_68:
	s_delay_alu instid0(SALU_CYCLE_1)
	s_or_b32 exec_lo, exec_lo, s5
                                        ; implicit-def: $vgpr8_vgpr9
.LBB0_69:
	s_and_not1_saveexec_b32 s4, s4
	s_cbranch_execz .LBB0_84
; %bb.70:
	v_add_f64_e32 v[10:11], 0xc002d97c7f3321d2, v[8:9]
                                        ; implicit-def: $vgpr7
                                        ; implicit-def: $vgpr12_vgpr13
                                        ; implicit-def: $vgpr16_vgpr17
	s_delay_alu instid0(VALU_DEP_1)
	v_cmp_ngt_f64_e64 s1, 0x41d00000, |v[10:11]|
	v_trig_preop_f64 v[28:29], |v[10:11]|, 0
	v_trig_preop_f64 v[26:27], |v[10:11]|, 1
	v_ldexp_f64 v[30:31], |v[10:11]|, 0xffffff80
	v_trig_preop_f64 v[24:25], |v[10:11]|, 2
	v_and_b32_e32 v33, 0x7fffffff, v11
	s_and_saveexec_b32 s5, s1
	s_delay_alu instid0(SALU_CYCLE_1)
	s_xor_b32 s5, exec_lo, s5
	s_cbranch_execz .LBB0_77
; %bb.71:
	v_cmp_le_f64_e64 vcc_lo, 0x7b000000, |v[10:11]|
	s_mov_b64 s[6:7], 0x3ff921fb54442d18
	v_dual_mov_b32 v64, 0 :: v_dual_cndmask_b32 v13, v33, v31
	v_cndmask_b32_e32 v12, v10, v30, vcc_lo
	s_delay_alu instid0(VALU_DEP_1) | instskip(SKIP_2) | instid1(VALU_DEP_3)
	v_mul_f64_e32 v[16:17], v[28:29], v[12:13]
	v_mul_f64_e32 v[20:21], v[26:27], v[12:13]
	;; [unrolled: 1-line block ×3, first 2 shown]
	v_fma_f64 v[22:23], v[28:29], v[12:13], -v[16:17]
	s_delay_alu instid0(VALU_DEP_3) | instskip(NEXT) | instid1(VALU_DEP_3)
	v_fma_f64 v[54:55], v[26:27], v[12:13], -v[20:21]
	v_fma_f64 v[12:13], v[24:25], v[12:13], -v[52:53]
	s_delay_alu instid0(VALU_DEP_3) | instskip(NEXT) | instid1(VALU_DEP_1)
	v_add_f64_e32 v[34:35], v[20:21], v[22:23]
	v_add_f64_e64 v[38:39], v[34:35], -v[20:21]
	v_add_f64_e32 v[50:51], v[16:17], v[34:35]
	s_delay_alu instid0(VALU_DEP_2) | instskip(SKIP_1) | instid1(VALU_DEP_3)
	v_add_f64_e64 v[48:49], v[34:35], -v[38:39]
	v_add_f64_e64 v[22:23], v[22:23], -v[38:39]
	v_ldexp_f64 v[38:39], v[50:51], -2
	s_delay_alu instid0(VALU_DEP_3) | instskip(SKIP_1) | instid1(VALU_DEP_3)
	v_add_f64_e64 v[20:21], v[20:21], -v[48:49]
	v_add_f64_e32 v[48:49], v[52:53], v[54:55]
	v_cmp_neq_f64_e64 vcc_lo, 0x7ff00000, |v[38:39]|
	s_delay_alu instid0(VALU_DEP_3) | instskip(SKIP_1) | instid1(VALU_DEP_1)
	v_add_f64_e32 v[20:21], v[22:23], v[20:21]
	v_fract_f64_e32 v[22:23], v[38:39]
	v_ldexp_f64 v[22:23], v[22:23], 2
	s_delay_alu instid0(VALU_DEP_1) | instskip(NEXT) | instid1(VALU_DEP_1)
	v_dual_add_f64 v[16:17], v[50:51], -v[16:17] :: v_dual_cndmask_b32 v23, 0, v23, vcc_lo
	v_dual_add_f64 v[16:17], v[34:35], -v[16:17] :: v_dual_cndmask_b32 v22, 0, v22, vcc_lo
	v_add_f64_e32 v[34:35], v[48:49], v[20:21]
	s_delay_alu instid0(VALU_DEP_1) | instskip(SKIP_1) | instid1(VALU_DEP_2)
	v_add_f64_e32 v[38:39], v[16:17], v[34:35]
	v_add_f64_e64 v[66:67], v[34:35], -v[48:49]
	v_add_f64_e32 v[50:51], v[38:39], v[22:23]
	s_delay_alu instid0(VALU_DEP_2) | instskip(SKIP_2) | instid1(VALU_DEP_4)
	v_add_f64_e64 v[80:81], v[34:35], -v[66:67]
	v_add_f64_e64 v[20:21], v[20:21], -v[66:67]
	;; [unrolled: 1-line block ×3, first 2 shown]
	v_cmp_gt_f64_e32 vcc_lo, 0, v[50:51]
	v_add_f64_e64 v[50:51], v[48:49], -v[52:53]
	s_delay_alu instid0(VALU_DEP_3) | instskip(SKIP_1) | instid1(VALU_DEP_3)
	v_add_f64_e64 v[16:17], v[34:35], -v[16:17]
	v_cndmask_b32_e64 v65, 0, 0x40100000, vcc_lo
	v_add_f64_e64 v[70:71], v[48:49], -v[50:51]
	v_add_f64_e64 v[50:51], v[54:55], -v[50:51]
	;; [unrolled: 1-line block ×3, first 2 shown]
	s_delay_alu instid0(VALU_DEP_4) | instskip(NEXT) | instid1(VALU_DEP_4)
	v_add_f64_e32 v[22:23], v[22:23], v[64:65]
	v_add_f64_e64 v[54:55], v[52:53], -v[70:71]
	s_delay_alu instid0(VALU_DEP_3) | instskip(NEXT) | instid1(VALU_DEP_3)
	v_add_f64_e32 v[20:21], v[20:21], v[48:49]
	v_add_f64_e32 v[68:69], v[38:39], v[22:23]
	s_delay_alu instid0(VALU_DEP_3) | instskip(NEXT) | instid1(VALU_DEP_2)
	v_add_f64_e32 v[50:51], v[50:51], v[54:55]
	v_cvt_i32_f64_e32 v7, v[68:69]
	s_delay_alu instid0(VALU_DEP_2) | instskip(NEXT) | instid1(VALU_DEP_2)
	v_add_f64_e32 v[20:21], v[50:51], v[20:21]
	v_cvt_f64_i32_e32 v[66:67], v7
	s_delay_alu instid0(VALU_DEP_2) | instskip(NEXT) | instid1(VALU_DEP_2)
	v_add_f64_e32 v[12:13], v[12:13], v[20:21]
	v_add_f64_e64 v[22:23], v[22:23], -v[66:67]
	s_delay_alu instid0(VALU_DEP_2) | instskip(NEXT) | instid1(VALU_DEP_2)
	v_add_f64_e32 v[12:13], v[16:17], v[12:13]
	v_add_f64_e32 v[48:49], v[38:39], v[22:23]
	s_delay_alu instid0(VALU_DEP_1) | instskip(SKIP_1) | instid1(VALU_DEP_2)
	v_add_f64_e64 v[20:21], v[48:49], -v[22:23]
	v_cmp_le_f64_e32 vcc_lo, 0.5, v[48:49]
	v_add_f64_e64 v[16:17], v[38:39], -v[20:21]
	v_cndmask_b32_e64 v65, 0, 0x3ff00000, vcc_lo
	v_add_co_ci_u32_e64 v7, null, 0, v7, vcc_lo
	s_delay_alu instid0(VALU_DEP_3) | instskip(NEXT) | instid1(VALU_DEP_3)
	v_add_f64_e32 v[12:13], v[12:13], v[16:17]
	v_add_f64_e64 v[16:17], v[48:49], -v[64:65]
	s_delay_alu instid0(VALU_DEP_1) | instskip(NEXT) | instid1(VALU_DEP_1)
	v_add_f64_e32 v[20:21], v[16:17], v[12:13]
	v_mul_f64_e32 v[22:23], 0x3ff921fb54442d18, v[20:21]
	v_add_f64_e64 v[16:17], v[20:21], -v[16:17]
	s_delay_alu instid0(VALU_DEP_2) | instskip(NEXT) | instid1(VALU_DEP_2)
	v_fma_f64 v[34:35], v[20:21], s[6:7], -v[22:23]
	v_add_f64_e64 v[12:13], v[12:13], -v[16:17]
	s_delay_alu instid0(VALU_DEP_2) | instskip(NEXT) | instid1(VALU_DEP_1)
	v_fmamk_f64 v[16:17], v[20:21], 0x3c91a62633145c07, v[34:35]
	v_fmac_f64_e32 v[16:17], 0x3ff921fb54442d18, v[12:13]
	s_delay_alu instid0(VALU_DEP_1) | instskip(NEXT) | instid1(VALU_DEP_1)
	v_add_f64_e32 v[12:13], v[22:23], v[16:17]
	v_add_f64_e64 v[20:21], v[12:13], -v[22:23]
	s_delay_alu instid0(VALU_DEP_1)
	v_add_f64_e64 v[16:17], v[16:17], -v[20:21]
	s_and_not1_saveexec_b32 s5, s5
	s_cbranch_execz .LBB0_79
	s_branch .LBB0_78
.LBB0_72:
	s_or_b32 exec_lo, exec_lo, s2
	s_and_saveexec_b32 s1, s0
	s_delay_alu instid0(SALU_CYCLE_1)
	s_xor_b32 s0, exec_lo, s1
	s_cbranch_execz .LBB0_85
.LBB0_73:
	v_dual_mov_b32 v7, 0 :: v_dual_mov_b32 v5, v36
	s_delay_alu instid0(VALU_DEP_1) | instskip(SKIP_3) | instid1(SALU_CYCLE_1)
	v_lshl_add_u64 v[6:7], v[6:7], 3, v[0:1]
	flat_store_b64 v[6:7], v[2:3]
	s_wait_xcnt 0x0
	s_or_b32 exec_lo, exec_lo, s0
	s_mov_b32 s0, exec_lo
	v_cmpx_lt_i32_e64 v5, v4
	s_cbranch_execnz .LBB0_86
.LBB0_74:
	s_or_b32 exec_lo, exec_lo, s0
	s_delay_alu instid0(SALU_CYCLE_1)
	s_mov_b32 s0, exec_lo
	v_cmpx_lt_i32_e64 v5, v4
	s_cbranch_execz .LBB0_87
.LBB0_75:
	v_dual_mov_b32 v3, 0 :: v_dual_add_nc_u32 v2, s3, v5
	v_add_nc_u32_e32 v5, 0x100, v5
	s_delay_alu instid0(VALU_DEP_2) | instskip(SKIP_3) | instid1(SALU_CYCLE_1)
	v_lshl_add_u64 v[2:3], v[2:3], 3, v[0:1]
	flat_store_b64 v[2:3], v[14:15]
	s_wait_xcnt 0x0
	s_or_b32 exec_lo, exec_lo, s0
	s_mov_b32 s0, exec_lo
	v_cmpx_lt_i32_e64 v5, v4
	s_cbranch_execnz .LBB0_88
.LBB0_76:
	s_or_b32 exec_lo, exec_lo, s0
	s_wait_loadcnt_dscnt 0x0
	s_set_pc_i64 s[30:31]
.LBB0_77:
	s_and_not1_saveexec_b32 s5, s5
	s_cbranch_execz .LBB0_79
.LBB0_78:
	s_mov_b64 s[6:7], 0x3fe45f306dc9c883
	s_delay_alu instid0(SALU_CYCLE_1) | instskip(SKIP_1) | instid1(VALU_DEP_1)
	v_mul_f64_e64 v[12:13], |v[10:11]|, s[6:7]
	s_mov_b64 s[6:7], 0xbff921fb54442d18
	v_rndne_f64_e32 v[20:21], v[12:13]
	s_delay_alu instid0(VALU_DEP_1) | instskip(SKIP_2) | instid1(VALU_DEP_3)
	v_fma_f64 v[12:13], v[20:21], s[6:7], |v[10:11]|
	v_mul_f64_e32 v[16:17], 0xbc91a62633145c00, v[20:21]
	v_cvt_i32_f64_e32 v7, v[20:21]
	v_fmamk_f64 v[38:39], v[20:21], 0xbc91a62633145c00, v[12:13]
	s_delay_alu instid0(VALU_DEP_3) | instskip(NEXT) | instid1(VALU_DEP_1)
	v_add_f64_e32 v[22:23], v[12:13], v[16:17]
	v_add_f64_e64 v[34:35], v[12:13], -v[22:23]
	s_delay_alu instid0(VALU_DEP_3) | instskip(NEXT) | instid1(VALU_DEP_2)
	v_add_f64_e64 v[12:13], v[22:23], -v[38:39]
	v_add_f64_e32 v[22:23], v[34:35], v[16:17]
	v_fmamk_f64 v[16:17], v[20:21], 0x3c91a62633145c00, v[16:17]
	s_delay_alu instid0(VALU_DEP_2) | instskip(NEXT) | instid1(VALU_DEP_1)
	v_add_f64_e32 v[12:13], v[12:13], v[22:23]
	v_add_f64_e64 v[12:13], v[12:13], -v[16:17]
	s_delay_alu instid0(VALU_DEP_1) | instskip(NEXT) | instid1(VALU_DEP_1)
	v_fmamk_f64 v[16:17], v[20:21], 0xb97b839a252049c0, v[12:13]
	v_add_f64_e32 v[12:13], v[38:39], v[16:17]
	s_delay_alu instid0(VALU_DEP_1) | instskip(NEXT) | instid1(VALU_DEP_1)
	v_add_f64_e64 v[22:23], v[12:13], -v[38:39]
	v_add_f64_e64 v[16:17], v[16:17], -v[22:23]
.LBB0_79:
	s_or_b32 exec_lo, exec_lo, s5
                                        ; implicit-def: $vgpr32
                                        ; implicit-def: $vgpr20_vgpr21
                                        ; implicit-def: $vgpr22_vgpr23
	s_and_saveexec_b32 s5, s1
	s_delay_alu instid0(SALU_CYCLE_1)
	s_xor_b32 s1, exec_lo, s5
	s_cbranch_execz .LBB0_81
; %bb.80:
	v_cmp_le_f64_e64 vcc_lo, 0x7b000000, |v[10:11]|
	s_mov_b64 s[6:7], 0x3ff921fb54442d18
	v_dual_mov_b32 v52, 0 :: v_dual_cndmask_b32 v21, v33, v31
	v_cndmask_b32_e32 v20, v10, v30, vcc_lo
	s_delay_alu instid0(VALU_DEP_1) | instskip(SKIP_2) | instid1(VALU_DEP_3)
	v_mul_f64_e32 v[22:23], v[28:29], v[20:21]
	v_mul_f64_e32 v[30:31], v[26:27], v[20:21]
	;; [unrolled: 1-line block ×3, first 2 shown]
	v_fma_f64 v[28:29], v[28:29], v[20:21], -v[22:23]
	s_delay_alu instid0(VALU_DEP_3) | instskip(NEXT) | instid1(VALU_DEP_3)
	v_fma_f64 v[26:27], v[26:27], v[20:21], -v[30:31]
	v_fma_f64 v[20:21], v[24:25], v[20:21], -v[50:51]
	s_delay_alu instid0(VALU_DEP_3) | instskip(NEXT) | instid1(VALU_DEP_1)
	v_add_f64_e32 v[32:33], v[30:31], v[28:29]
	v_add_f64_e64 v[34:35], v[32:33], -v[30:31]
	v_add_f64_e32 v[48:49], v[22:23], v[32:33]
	s_delay_alu instid0(VALU_DEP_2) | instskip(SKIP_1) | instid1(VALU_DEP_3)
	v_add_f64_e64 v[38:39], v[32:33], -v[34:35]
	v_add_f64_e64 v[28:29], v[28:29], -v[34:35]
	v_ldexp_f64 v[34:35], v[48:49], -2
	s_delay_alu instid0(VALU_DEP_3) | instskip(SKIP_1) | instid1(VALU_DEP_3)
	v_add_f64_e64 v[30:31], v[30:31], -v[38:39]
	v_add_f64_e32 v[38:39], v[50:51], v[26:27]
	v_cmp_neq_f64_e64 vcc_lo, 0x7ff00000, |v[34:35]|
	s_delay_alu instid0(VALU_DEP_3) | instskip(SKIP_1) | instid1(VALU_DEP_1)
	v_add_f64_e32 v[28:29], v[28:29], v[30:31]
	v_fract_f64_e32 v[30:31], v[34:35]
	v_ldexp_f64 v[30:31], v[30:31], 2
	s_delay_alu instid0(VALU_DEP_1) | instskip(SKIP_1) | instid1(VALU_DEP_3)
	v_cndmask_b32_e32 v31, 0, v31, vcc_lo
	v_add_f64_e64 v[22:23], v[48:49], -v[22:23]
	v_cndmask_b32_e32 v30, 0, v30, vcc_lo
	s_delay_alu instid0(VALU_DEP_2) | instskip(SKIP_1) | instid1(VALU_DEP_1)
	v_add_f64_e64 v[22:23], v[32:33], -v[22:23]
	v_add_f64_e32 v[32:33], v[38:39], v[28:29]
	v_add_f64_e32 v[34:35], v[22:23], v[32:33]
	v_add_f64_e64 v[54:55], v[32:33], -v[38:39]
	s_delay_alu instid0(VALU_DEP_2) | instskip(NEXT) | instid1(VALU_DEP_2)
	v_add_f64_e32 v[48:49], v[34:35], v[30:31]
	v_add_f64_e64 v[68:69], v[32:33], -v[54:55]
	v_add_f64_e64 v[28:29], v[28:29], -v[54:55]
	;; [unrolled: 1-line block ×3, first 2 shown]
	s_delay_alu instid0(VALU_DEP_4) | instskip(SKIP_1) | instid1(VALU_DEP_3)
	v_cmp_gt_f64_e32 vcc_lo, 0, v[48:49]
	v_add_f64_e64 v[48:49], v[38:39], -v[50:51]
	v_add_f64_e64 v[22:23], v[32:33], -v[22:23]
	v_cndmask_b32_e64 v53, 0, 0x40100000, vcc_lo
	s_delay_alu instid0(VALU_DEP_3) | instskip(SKIP_2) | instid1(VALU_DEP_4)
	v_add_f64_e64 v[66:67], v[38:39], -v[48:49]
	v_add_f64_e64 v[26:27], v[26:27], -v[48:49]
	;; [unrolled: 1-line block ×3, first 2 shown]
	v_add_f64_e32 v[30:31], v[30:31], v[52:53]
	s_delay_alu instid0(VALU_DEP_4) | instskip(NEXT) | instid1(VALU_DEP_3)
	v_add_f64_e64 v[48:49], v[50:51], -v[66:67]
	v_add_f64_e32 v[28:29], v[28:29], v[38:39]
	s_delay_alu instid0(VALU_DEP_3) | instskip(NEXT) | instid1(VALU_DEP_3)
	v_add_f64_e32 v[64:65], v[34:35], v[30:31]
	v_add_f64_e32 v[26:27], v[26:27], v[48:49]
	s_delay_alu instid0(VALU_DEP_2) | instskip(NEXT) | instid1(VALU_DEP_2)
	v_cvt_i32_f64_e32 v37, v[64:65]
	v_add_f64_e32 v[24:25], v[26:27], v[28:29]
	s_delay_alu instid0(VALU_DEP_2) | instskip(NEXT) | instid1(VALU_DEP_2)
	v_cvt_f64_i32_e32 v[54:55], v37
	v_add_f64_e32 v[20:21], v[20:21], v[24:25]
	s_delay_alu instid0(VALU_DEP_2) | instskip(NEXT) | instid1(VALU_DEP_2)
	v_add_f64_e64 v[30:31], v[30:31], -v[54:55]
	v_add_f64_e32 v[20:21], v[22:23], v[20:21]
	s_delay_alu instid0(VALU_DEP_2) | instskip(NEXT) | instid1(VALU_DEP_1)
	v_add_f64_e32 v[26:27], v[34:35], v[30:31]
	v_add_f64_e64 v[24:25], v[26:27], -v[30:31]
	v_cmp_le_f64_e32 vcc_lo, 0.5, v[26:27]
	s_delay_alu instid0(VALU_DEP_2) | instskip(SKIP_2) | instid1(VALU_DEP_3)
	v_add_f64_e64 v[22:23], v[34:35], -v[24:25]
	v_cndmask_b32_e64 v53, 0, 0x3ff00000, vcc_lo
	v_add_co_ci_u32_e64 v32, null, 0, v37, vcc_lo
	v_add_f64_e32 v[20:21], v[20:21], v[22:23]
	s_delay_alu instid0(VALU_DEP_3) | instskip(NEXT) | instid1(VALU_DEP_1)
	v_add_f64_e64 v[22:23], v[26:27], -v[52:53]
	v_add_f64_e32 v[24:25], v[22:23], v[20:21]
	s_delay_alu instid0(VALU_DEP_1) | instskip(SKIP_1) | instid1(VALU_DEP_2)
	v_mul_f64_e32 v[26:27], 0x3ff921fb54442d18, v[24:25]
	v_add_f64_e64 v[22:23], v[24:25], -v[22:23]
	v_fma_f64 v[28:29], v[24:25], s[6:7], -v[26:27]
	s_delay_alu instid0(VALU_DEP_2) | instskip(NEXT) | instid1(VALU_DEP_2)
	v_add_f64_e64 v[20:21], v[20:21], -v[22:23]
	v_fmamk_f64 v[22:23], v[24:25], 0x3c91a62633145c07, v[28:29]
	s_delay_alu instid0(VALU_DEP_1) | instskip(NEXT) | instid1(VALU_DEP_1)
	v_fmac_f64_e32 v[22:23], 0x3ff921fb54442d18, v[20:21]
	v_add_f64_e32 v[20:21], v[26:27], v[22:23]
	s_delay_alu instid0(VALU_DEP_1) | instskip(NEXT) | instid1(VALU_DEP_1)
	v_add_f64_e64 v[24:25], v[20:21], -v[26:27]
	v_add_f64_e64 v[22:23], v[22:23], -v[24:25]
	s_and_not1_saveexec_b32 s1, s1
	s_cbranch_execnz .LBB0_82
	s_branch .LBB0_83
.LBB0_81:
	s_and_not1_saveexec_b32 s1, s1
	s_cbranch_execz .LBB0_83
.LBB0_82:
	s_mov_b64 s[6:7], 0x3fe45f306dc9c883
	s_delay_alu instid0(SALU_CYCLE_1) | instskip(SKIP_1) | instid1(VALU_DEP_1)
	v_mul_f64_e64 v[20:21], |v[10:11]|, s[6:7]
	s_mov_b64 s[6:7], 0xbff921fb54442d18
	v_rndne_f64_e32 v[24:25], v[20:21]
	s_delay_alu instid0(VALU_DEP_1) | instskip(SKIP_2) | instid1(VALU_DEP_3)
	v_fma_f64 v[20:21], v[24:25], s[6:7], |v[10:11]|
	v_mul_f64_e32 v[22:23], 0xbc91a62633145c00, v[24:25]
	v_cvt_i32_f64_e32 v32, v[24:25]
	v_fmamk_f64 v[30:31], v[24:25], 0xbc91a62633145c00, v[20:21]
	s_delay_alu instid0(VALU_DEP_3) | instskip(NEXT) | instid1(VALU_DEP_1)
	v_add_f64_e32 v[26:27], v[20:21], v[22:23]
	v_add_f64_e64 v[28:29], v[20:21], -v[26:27]
	s_delay_alu instid0(VALU_DEP_3) | instskip(NEXT) | instid1(VALU_DEP_2)
	v_add_f64_e64 v[20:21], v[26:27], -v[30:31]
	v_add_f64_e32 v[26:27], v[28:29], v[22:23]
	v_fmamk_f64 v[22:23], v[24:25], 0x3c91a62633145c00, v[22:23]
	s_delay_alu instid0(VALU_DEP_2) | instskip(NEXT) | instid1(VALU_DEP_1)
	v_add_f64_e32 v[20:21], v[20:21], v[26:27]
	v_add_f64_e64 v[20:21], v[20:21], -v[22:23]
	s_delay_alu instid0(VALU_DEP_1) | instskip(NEXT) | instid1(VALU_DEP_1)
	v_fmamk_f64 v[22:23], v[24:25], 0xb97b839a252049c0, v[20:21]
	v_add_f64_e32 v[20:21], v[30:31], v[22:23]
	s_delay_alu instid0(VALU_DEP_1) | instskip(NEXT) | instid1(VALU_DEP_1)
	v_add_f64_e64 v[26:27], v[20:21], -v[30:31]
	v_add_f64_e64 v[22:23], v[22:23], -v[26:27]
.LBB0_83:
	s_or_b32 exec_lo, exec_lo, s1
	v_div_scale_f64 v[24:25], null, v[8:9], v[8:9], 0x40140000
	v_cmp_class_f64_e64 s1, v[10:11], 0x1f8
	s_delay_alu instid0(VALU_DEP_3)
	v_mul_f64_e32 v[86:87], 0.5, v[16:17]
	v_mov_b64_e32 v[64:65], 0xbe927e4fa17f65f6
	v_mov_b64_e32 v[66:67], 0x3efa01a019f4ec90
	;; [unrolled: 1-line block ×6, first 2 shown]
	v_rcp_f64_e32 v[26:27], v[24:25]
	v_nop
	s_delay_alu instid0(TRANS32_DEP_1) | instskip(NEXT) | instid1(VALU_DEP_1)
	v_fma_f64 v[28:29], -v[24:25], v[26:27], 1.0
	v_fmac_f64_e32 v[26:27], v[26:27], v[28:29]
	s_delay_alu instid0(VALU_DEP_1) | instskip(NEXT) | instid1(VALU_DEP_1)
	v_fma_f64 v[28:29], -v[24:25], v[26:27], 1.0
	v_fmac_f64_e32 v[26:27], v[26:27], v[28:29]
	v_div_scale_f64 v[28:29], vcc_lo, 0x40140000, v[8:9], 0x40140000
	s_delay_alu instid0(VALU_DEP_1) | instskip(NEXT) | instid1(VALU_DEP_1)
	v_mul_f64_e32 v[30:31], v[28:29], v[26:27]
	v_fma_f64 v[24:25], -v[24:25], v[30:31], v[28:29]
	s_delay_alu instid0(VALU_DEP_1) | instskip(NEXT) | instid1(VALU_DEP_1)
	v_div_fmas_f64 v[24:25], v[24:25], v[26:27], v[30:31]
	v_div_fixup_f64 v[24:25], v[24:25], v[8:9], 0x40140000
	s_delay_alu instid0(VALU_DEP_1) | instskip(NEXT) | instid1(VALU_DEP_1)
	v_mul_f64_e32 v[26:27], v[24:25], v[24:25]
	v_fmaak_f64 v[34:35], 0, v[26:27], 0x3faa27fa6b70ba40
	v_fmaak_f64 v[28:29], 0, v[26:27], 0x3f48f92c4c6c651b
	;; [unrolled: 1-line block ×4, first 2 shown]
	s_delay_alu instid0(VALU_DEP_4) | instskip(NEXT) | instid1(VALU_DEP_4)
	v_fmaak_f64 v[34:35], v[26:27], v[34:35], 0x4013edb5c66d8fd6
	v_fmaak_f64 v[28:29], v[26:27], v[28:29], 0x3fb2b948a3fec4b6
	s_delay_alu instid0(VALU_DEP_4) | instskip(NEXT) | instid1(VALU_DEP_4)
	v_fmaak_f64 v[30:31], v[26:27], v[30:31], 0x3fb19fdd5948aa83
	v_fmaak_f64 v[38:39], v[26:27], v[38:39], 0x409081cba20e5f6f
	;; [unrolled: 3-line block ×10, first 2 shown]
	s_delay_alu instid0(VALU_DEP_4) | instskip(NEXT) | instid1(VALU_DEP_3)
	v_fmaak_f64 v[34:35], v[26:27], v[34:35], 0x406a760a4c54bb0b
	v_fma_f64 v[30:31], v[26:27], v[30:31], 1.0
	s_delay_alu instid0(VALU_DEP_3) | instskip(NEXT) | instid1(VALU_DEP_3)
	v_fmaak_f64 v[38:39], v[26:27], v[38:39], 0x4075017f6ae75997
	v_fmaak_f64 v[34:35], v[26:27], v[34:35], 0x403934ff4d159eb5
	v_fma_f64 v[26:27], v[26:27], v[28:29], 1.0
	s_delay_alu instid0(VALU_DEP_1) | instskip(NEXT) | instid1(VALU_DEP_1)
	v_div_scale_f64 v[28:29], null, v[30:31], v[30:31], v[26:27]
	v_rcp_f64_e32 v[48:49], v[28:29]
	v_nop
	s_delay_alu instid0(TRANS32_DEP_1) | instskip(NEXT) | instid1(VALU_DEP_1)
	v_fma_f64 v[50:51], -v[28:29], v[48:49], 1.0
	v_fmac_f64_e32 v[48:49], v[48:49], v[50:51]
	s_delay_alu instid0(VALU_DEP_1) | instskip(NEXT) | instid1(VALU_DEP_1)
	v_fma_f64 v[50:51], -v[28:29], v[48:49], 1.0
	v_fmac_f64_e32 v[48:49], v[48:49], v[50:51]
	v_div_scale_f64 v[50:51], vcc_lo, v[26:27], v[30:31], v[26:27]
	s_delay_alu instid0(VALU_DEP_1) | instskip(NEXT) | instid1(VALU_DEP_1)
	v_mul_f64_e32 v[52:53], v[50:51], v[48:49]
	v_fma_f64 v[28:29], -v[28:29], v[52:53], v[50:51]
	s_delay_alu instid0(VALU_DEP_1) | instskip(SKIP_1) | instid1(VALU_DEP_2)
	v_div_fmas_f64 v[28:29], v[28:29], v[48:49], v[52:53]
	v_mov_b64_e32 v[52:53], 0x3e21eeb69037ab78
	v_div_fixup_f64 v[26:27], v[28:29], v[30:31], v[26:27]
	v_mul_f64_e32 v[28:29], v[12:13], v[12:13]
	s_delay_alu instid0(VALU_DEP_1) | instskip(NEXT) | instid1(VALU_DEP_4)
	v_mul_f64_e32 v[30:31], 0.5, v[28:29]
	v_fmamk_f64 v[54:55], v[28:29], 0xbda907db46cc5e42, v[52:53]
	v_mul_f64_e64 v[84:85], v[12:13], -v[28:29]
	s_delay_alu instid0(VALU_DEP_2) | instskip(NEXT) | instid1(VALU_DEP_1)
	v_fmaak_f64 v[54:55], v[28:29], v[54:55], 0xbe927e4fa17f65f6
	v_fmaak_f64 v[54:55], v[28:29], v[54:55], 0x3efa01a019f4ec90
	s_delay_alu instid0(VALU_DEP_1) | instskip(NEXT) | instid1(VALU_DEP_1)
	v_fmaak_f64 v[54:55], v[28:29], v[54:55], 0xbf56c16c16c16967
	v_fmaak_f64 v[54:55], v[28:29], v[54:55], 0x3fa5555555555555
	v_add_f64_e64 v[48:49], -v[30:31], 1.0
	s_delay_alu instid0(VALU_DEP_1) | instskip(NEXT) | instid1(VALU_DEP_1)
	v_add_f64_e64 v[50:51], -v[48:49], 1.0
	v_add_f64_e64 v[30:31], v[50:51], -v[30:31]
	v_mul_f64_e32 v[50:51], v[28:29], v[28:29]
	s_delay_alu instid0(VALU_DEP_2) | instskip(NEXT) | instid1(VALU_DEP_1)
	v_fma_f64 v[30:31], v[12:13], -v[16:17], v[30:31]
	v_fmac_f64_e32 v[30:31], v[50:51], v[54:55]
	v_mov_b64_e32 v[54:55], 0x3ec71de3796cde01
	s_delay_alu instid0(VALU_DEP_2) | instskip(SKIP_1) | instid1(VALU_DEP_1)
	v_add_f64_e32 v[30:31], v[48:49], v[30:31]
	v_mov_b64_e32 v[48:49], 0xbe5ae600b42fdfa7
	v_fmamk_f64 v[50:51], v[28:29], 0x3de5e0b2f9a43bb8, v[48:49]
	s_delay_alu instid0(VALU_DEP_1) | instskip(NEXT) | instid1(VALU_DEP_1)
	v_fmaak_f64 v[50:51], v[28:29], v[50:51], 0x3ec71de3796cde01
	v_fmaak_f64 v[50:51], v[28:29], v[50:51], 0xbf2a01a019e83e5c
	s_delay_alu instid0(VALU_DEP_1) | instskip(NEXT) | instid1(VALU_DEP_1)
	v_fmaak_f64 v[50:51], v[28:29], v[50:51], 0x3f81111111110bb3
	v_fmac_f64_e32 v[86:87], v[84:85], v[50:51]
	s_delay_alu instid0(VALU_DEP_1) | instskip(NEXT) | instid1(VALU_DEP_1)
	v_fma_f64 v[16:17], v[28:29], v[86:87], -v[16:17]
	v_fmac_f64_e32 v[16:17], 0xbfc5555555555555, v[84:85]
	s_delay_alu instid0(VALU_DEP_1) | instskip(SKIP_1) | instid1(VALU_DEP_2)
	v_dual_add_f64 v[12:13], v[12:13], -v[16:17] :: v_dual_bitop2_b32 v16, 1, v7 bitop3:0x40
	v_lshlrev_b32_e32 v7, 30, v7
	v_cmp_eq_u32_e32 vcc_lo, 0, v16
	s_delay_alu instid0(VALU_DEP_2) | instskip(NEXT) | instid1(VALU_DEP_1)
	v_dual_cndmask_b32 v12, v30, v12, vcc_lo :: v_dual_bitop2_b32 v7, v7, v11 bitop3:0x14
	v_dual_cndmask_b32 v13, v31, v13, vcc_lo :: v_dual_cndmask_b32 v10, 0, v12, s1
	s_delay_alu instid0(VALU_DEP_1) | instskip(SKIP_1) | instid1(VALU_DEP_2)
	v_bitop3_b32 v7, v13, v7, 0x80000000 bitop3:0x78
	v_div_scale_f64 v[12:13], null, v[38:39], v[38:39], v[34:35]
	v_cndmask_b32_e64 v11, 0x7ff80000, v7, s1
	s_delay_alu instid0(VALU_DEP_2) | instskip(SKIP_1) | instid1(TRANS32_DEP_1)
	v_rcp_f64_e32 v[16:17], v[12:13]
	v_nop
	v_fma_f64 v[28:29], -v[12:13], v[16:17], 1.0
	s_delay_alu instid0(VALU_DEP_1) | instskip(NEXT) | instid1(VALU_DEP_1)
	v_fmac_f64_e32 v[16:17], v[16:17], v[28:29]
	v_fma_f64 v[28:29], -v[12:13], v[16:17], 1.0
	s_delay_alu instid0(VALU_DEP_1) | instskip(SKIP_1) | instid1(VALU_DEP_1)
	v_fmac_f64_e32 v[16:17], v[16:17], v[28:29]
	v_div_scale_f64 v[28:29], vcc_lo, v[34:35], v[38:39], v[34:35]
	v_mul_f64_e32 v[30:31], v[28:29], v[16:17]
	s_delay_alu instid0(VALU_DEP_1) | instskip(NEXT) | instid1(VALU_DEP_1)
	v_fma_f64 v[12:13], -v[12:13], v[30:31], v[28:29]
	v_div_fmas_f64 v[12:13], v[12:13], v[16:17], v[30:31]
	v_mul_f64_e32 v[16:17], v[20:21], v[20:21]
	s_delay_alu instid0(VALU_DEP_2) | instskip(NEXT) | instid1(VALU_DEP_2)
	v_div_fixup_f64 v[12:13], v[12:13], v[38:39], v[34:35]
	v_fmac_f64_e32 v[52:53], 0xbda907db46cc5e42, v[16:17]
	v_fmac_f64_e32 v[48:49], 0x3de5e0b2f9a43bb8, v[16:17]
	s_delay_alu instid0(VALU_DEP_3) | instskip(SKIP_1) | instid1(VALU_DEP_4)
	v_mul_f64_e32 v[12:13], v[24:25], v[12:13]
	v_mul_f64_e32 v[24:25], 0.5, v[16:17]
	v_fmac_f64_e32 v[64:65], v[16:17], v[52:53]
	s_delay_alu instid0(VALU_DEP_4) | instskip(NEXT) | instid1(VALU_DEP_3)
	v_fmac_f64_e32 v[54:55], v[16:17], v[48:49]
	v_add_f64_e64 v[28:29], -v[24:25], 1.0
	s_delay_alu instid0(VALU_DEP_3) | instskip(NEXT) | instid1(VALU_DEP_3)
	v_fmac_f64_e32 v[66:67], v[16:17], v[64:65]
	v_fmac_f64_e32 v[80:81], v[16:17], v[54:55]
	s_delay_alu instid0(VALU_DEP_3) | instskip(NEXT) | instid1(VALU_DEP_3)
	v_add_f64_e64 v[30:31], -v[28:29], 1.0
	v_fmac_f64_e32 v[68:69], v[16:17], v[66:67]
	s_delay_alu instid0(VALU_DEP_3) | instskip(NEXT) | instid1(VALU_DEP_3)
	v_fmac_f64_e32 v[82:83], v[16:17], v[80:81]
	v_add_f64_e64 v[24:25], v[30:31], -v[24:25]
	v_mul_f64_e32 v[30:31], v[16:17], v[16:17]
	s_delay_alu instid0(VALU_DEP_4) | instskip(NEXT) | instid1(VALU_DEP_3)
	v_fmac_f64_e32 v[70:71], v[16:17], v[68:69]
	v_fma_f64 v[24:25], v[20:21], -v[22:23], v[24:25]
	s_delay_alu instid0(VALU_DEP_1) | instskip(NEXT) | instid1(VALU_DEP_1)
	v_fmac_f64_e32 v[24:25], v[30:31], v[70:71]
	v_add_f64_e32 v[24:25], v[28:29], v[24:25]
	v_mul_f64_e64 v[28:29], v[20:21], -v[16:17]
	v_mul_f64_e32 v[30:31], 0.5, v[22:23]
	s_delay_alu instid0(VALU_DEP_1) | instskip(NEXT) | instid1(VALU_DEP_1)
	v_fmac_f64_e32 v[30:31], v[28:29], v[82:83]
	v_fma_f64 v[16:17], v[16:17], v[30:31], -v[22:23]
	s_delay_alu instid0(VALU_DEP_1) | instskip(NEXT) | instid1(VALU_DEP_1)
	v_fmac_f64_e32 v[16:17], 0xbfc5555555555555, v[28:29]
	v_add_f64_e64 v[16:17], v[20:21], -v[16:17]
	s_delay_alu instid0(VALU_DEP_1) | instskip(SKIP_1) | instid1(VALU_DEP_1)
	v_xor_b32_e32 v7, 0x80000000, v17
	v_and_b32_e32 v17, 1, v32
	v_cmp_eq_u32_e32 vcc_lo, 0, v17
	s_delay_alu instid0(VALU_DEP_3) | instskip(SKIP_2) | instid1(VALU_DEP_3)
	v_dual_lshlrev_b32 v17, 30, v32 :: v_dual_cndmask_b32 v7, v7, v25, vcc_lo
	v_cndmask_b32_e32 v16, v16, v24, vcc_lo
	v_cmp_gt_f64_e32 vcc_lo, 0x10000000, v[8:9]
	v_bitop3_b32 v7, v7, v17, 0x80000000 bitop3:0x78
	s_delay_alu instid0(VALU_DEP_3) | instskip(NEXT) | instid1(VALU_DEP_2)
	v_cndmask_b32_e64 v16, 0, v16, s1
	v_cndmask_b32_e64 v17, 0x7ff80000, v7, s1
	s_delay_alu instid0(VALU_DEP_1) | instskip(SKIP_1) | instid1(VALU_DEP_1)
	v_mul_f64_e32 v[12:13], v[12:13], v[16:17]
	v_cndmask_b32_e64 v7, 0, 0x100, vcc_lo
	v_ldexp_f64 v[8:9], v[8:9], v7
	v_cndmask_b32_e64 v7, 0, 0xffffff80, vcc_lo
	s_delay_alu instid0(VALU_DEP_4) | instskip(NEXT) | instid1(VALU_DEP_3)
	v_fmac_f64_e32 v[12:13], v[26:27], v[10:11]
	v_cmp_class_f64_e64 vcc_lo, v[8:9], 0x260
	s_delay_alu instid0(VALU_DEP_2) | instskip(SKIP_2) | instid1(TRANS32_DEP_1)
	v_mul_f64_e32 v[10:11], 0x3fe9884533d43651, v[12:13]
	v_rsq_f64_e32 v[12:13], v[8:9]
	v_nop
	v_mul_f64_e32 v[16:17], v[8:9], v[12:13]
	v_mul_f64_e32 v[12:13], 0.5, v[12:13]
	s_delay_alu instid0(VALU_DEP_1) | instskip(NEXT) | instid1(VALU_DEP_1)
	v_fma_f64 v[20:21], -v[12:13], v[16:17], 0.5
	v_fmac_f64_e32 v[16:17], v[16:17], v[20:21]
	v_fmac_f64_e32 v[12:13], v[12:13], v[20:21]
	s_delay_alu instid0(VALU_DEP_2) | instskip(NEXT) | instid1(VALU_DEP_1)
	v_fma_f64 v[22:23], -v[16:17], v[16:17], v[8:9]
	v_fmac_f64_e32 v[16:17], v[22:23], v[12:13]
	s_delay_alu instid0(VALU_DEP_1) | instskip(NEXT) | instid1(VALU_DEP_1)
	v_fma_f64 v[20:21], -v[16:17], v[16:17], v[8:9]
	v_fmac_f64_e32 v[16:17], v[20:21], v[12:13]
	s_delay_alu instid0(VALU_DEP_1) | instskip(NEXT) | instid1(VALU_DEP_1)
	v_ldexp_f64 v[12:13], v[16:17], v7
	v_dual_cndmask_b32 v9, v13, v9 :: v_dual_cndmask_b32 v8, v12, v8
	s_delay_alu instid0(VALU_DEP_1) | instskip(NEXT) | instid1(VALU_DEP_1)
	v_div_scale_f64 v[12:13], null, v[8:9], v[8:9], v[10:11]
	v_rcp_f64_e32 v[16:17], v[12:13]
	v_nop
	s_delay_alu instid0(TRANS32_DEP_1) | instskip(NEXT) | instid1(VALU_DEP_1)
	v_fma_f64 v[20:21], -v[12:13], v[16:17], 1.0
	v_fmac_f64_e32 v[16:17], v[16:17], v[20:21]
	s_delay_alu instid0(VALU_DEP_1) | instskip(NEXT) | instid1(VALU_DEP_1)
	v_fma_f64 v[20:21], -v[12:13], v[16:17], 1.0
	v_fmac_f64_e32 v[16:17], v[16:17], v[20:21]
	v_div_scale_f64 v[20:21], vcc_lo, v[10:11], v[8:9], v[10:11]
	s_delay_alu instid0(VALU_DEP_1) | instskip(NEXT) | instid1(VALU_DEP_1)
	v_mul_f64_e32 v[22:23], v[20:21], v[16:17]
	v_fma_f64 v[12:13], -v[12:13], v[22:23], v[20:21]
	s_delay_alu instid0(VALU_DEP_1) | instskip(NEXT) | instid1(VALU_DEP_1)
	v_div_fmas_f64 v[12:13], v[12:13], v[16:17], v[22:23]
	v_div_fixup_f64 v[12:13], v[12:13], v[8:9], v[10:11]
.LBB0_84:
	s_or_b32 exec_lo, exec_lo, s4
	s_delay_alu instid0(SALU_CYCLE_1) | instskip(SKIP_1) | instid1(SALU_CYCLE_1)
	s_or_b32 exec_lo, exec_lo, s2
	s_and_saveexec_b32 s1, s0
	s_xor_b32 s0, exec_lo, s1
	s_cbranch_execnz .LBB0_73
.LBB0_85:
	s_or_b32 exec_lo, exec_lo, s0
	s_delay_alu instid0(SALU_CYCLE_1)
	s_mov_b32 s0, exec_lo
	v_cmpx_lt_i32_e64 v5, v4
	s_cbranch_execz .LBB0_74
.LBB0_86:
	v_dual_mov_b32 v3, 0 :: v_dual_add_nc_u32 v2, s3, v5
	v_add_nc_u32_e32 v5, 0x100, v5
	s_delay_alu instid0(VALU_DEP_2) | instskip(SKIP_3) | instid1(SALU_CYCLE_1)
	v_lshl_add_u64 v[2:3], v[2:3], 3, v[0:1]
	flat_store_b64 v[2:3], v[18:19]
	s_wait_xcnt 0x0
	s_or_b32 exec_lo, exec_lo, s0
	s_mov_b32 s0, exec_lo
	v_cmpx_lt_i32_e64 v5, v4
	s_cbranch_execnz .LBB0_75
.LBB0_87:
	s_or_b32 exec_lo, exec_lo, s0
	s_delay_alu instid0(SALU_CYCLE_1)
	s_mov_b32 s0, exec_lo
	v_cmpx_lt_i32_e64 v5, v4
	s_cbranch_execz .LBB0_76
.LBB0_88:
	v_dual_mov_b32 v3, 0 :: v_dual_add_nc_u32 v2, s3, v5
	s_delay_alu instid0(VALU_DEP_1)
	v_lshl_add_u64 v[0:1], v[2:3], 3, v[0:1]
	flat_store_b64 v[0:1], v[12:13]
	s_wait_xcnt 0x0
	s_or_b32 exec_lo, exec_lo, s0
	s_wait_loadcnt_dscnt 0x0
	s_set_pc_i64 s[30:31]
.Lfunc_end0:
	.size	_ZN2at6native25elementwise_kernel_helperILb0EZZZNS0_12_GLOBAL__N_121bessel_y1_kernel_cudaERNS_18TensorIteratorBaseEENKUlvE_clEvENKUlvE_clEvEUldE_NS0_6memory8policies11unroll_baseILi256ESt5arrayIPcLm2EE23TrivialOffsetCalculatorILi1EjESF_NS8_15LoadWithoutCastENS8_16StoreWithoutCastELi4ELi1EEEEEvT0_T1_, .Lfunc_end0-_ZN2at6native25elementwise_kernel_helperILb0EZZZNS0_12_GLOBAL__N_121bessel_y1_kernel_cudaERNS_18TensorIteratorBaseEENKUlvE_clEvENKUlvE_clEvEUldE_NS0_6memory8policies11unroll_baseILi256ESt5arrayIPcLm2EE23TrivialOffsetCalculatorILi1EjESF_NS8_15LoadWithoutCastENS8_16StoreWithoutCastELi4ELi1EEEEEvT0_T1_
                                        ; -- End function
	.set .L_ZN2at6native25elementwise_kernel_helperILb0EZZZNS0_12_GLOBAL__N_121bessel_y1_kernel_cudaERNS_18TensorIteratorBaseEENKUlvE_clEvENKUlvE_clEvEUldE_NS0_6memory8policies11unroll_baseILi256ESt5arrayIPcLm2EE23TrivialOffsetCalculatorILi1EjESF_NS8_15LoadWithoutCastENS8_16StoreWithoutCastELi4ELi1EEEEEvT0_T1_.num_vgpr, 101
	.set .L_ZN2at6native25elementwise_kernel_helperILb0EZZZNS0_12_GLOBAL__N_121bessel_y1_kernel_cudaERNS_18TensorIteratorBaseEENKUlvE_clEvENKUlvE_clEvEUldE_NS0_6memory8policies11unroll_baseILi256ESt5arrayIPcLm2EE23TrivialOffsetCalculatorILi1EjESF_NS8_15LoadWithoutCastENS8_16StoreWithoutCastELi4ELi1EEEEEvT0_T1_.num_agpr, 0
	.set .L_ZN2at6native25elementwise_kernel_helperILb0EZZZNS0_12_GLOBAL__N_121bessel_y1_kernel_cudaERNS_18TensorIteratorBaseEENKUlvE_clEvENKUlvE_clEvEUldE_NS0_6memory8policies11unroll_baseILi256ESt5arrayIPcLm2EE23TrivialOffsetCalculatorILi1EjESF_NS8_15LoadWithoutCastENS8_16StoreWithoutCastELi4ELi1EEEEEvT0_T1_.numbered_sgpr, 32
	.set .L_ZN2at6native25elementwise_kernel_helperILb0EZZZNS0_12_GLOBAL__N_121bessel_y1_kernel_cudaERNS_18TensorIteratorBaseEENKUlvE_clEvENKUlvE_clEvEUldE_NS0_6memory8policies11unroll_baseILi256ESt5arrayIPcLm2EE23TrivialOffsetCalculatorILi1EjESF_NS8_15LoadWithoutCastENS8_16StoreWithoutCastELi4ELi1EEEEEvT0_T1_.num_named_barrier, 0
	.set .L_ZN2at6native25elementwise_kernel_helperILb0EZZZNS0_12_GLOBAL__N_121bessel_y1_kernel_cudaERNS_18TensorIteratorBaseEENKUlvE_clEvENKUlvE_clEvEUldE_NS0_6memory8policies11unroll_baseILi256ESt5arrayIPcLm2EE23TrivialOffsetCalculatorILi1EjESF_NS8_15LoadWithoutCastENS8_16StoreWithoutCastELi4ELi1EEEEEvT0_T1_.private_seg_size, 0
	.set .L_ZN2at6native25elementwise_kernel_helperILb0EZZZNS0_12_GLOBAL__N_121bessel_y1_kernel_cudaERNS_18TensorIteratorBaseEENKUlvE_clEvENKUlvE_clEvEUldE_NS0_6memory8policies11unroll_baseILi256ESt5arrayIPcLm2EE23TrivialOffsetCalculatorILi1EjESF_NS8_15LoadWithoutCastENS8_16StoreWithoutCastELi4ELi1EEEEEvT0_T1_.uses_vcc, 1
	.set .L_ZN2at6native25elementwise_kernel_helperILb0EZZZNS0_12_GLOBAL__N_121bessel_y1_kernel_cudaERNS_18TensorIteratorBaseEENKUlvE_clEvENKUlvE_clEvEUldE_NS0_6memory8policies11unroll_baseILi256ESt5arrayIPcLm2EE23TrivialOffsetCalculatorILi1EjESF_NS8_15LoadWithoutCastENS8_16StoreWithoutCastELi4ELi1EEEEEvT0_T1_.uses_flat_scratch, 0
	.set .L_ZN2at6native25elementwise_kernel_helperILb0EZZZNS0_12_GLOBAL__N_121bessel_y1_kernel_cudaERNS_18TensorIteratorBaseEENKUlvE_clEvENKUlvE_clEvEUldE_NS0_6memory8policies11unroll_baseILi256ESt5arrayIPcLm2EE23TrivialOffsetCalculatorILi1EjESF_NS8_15LoadWithoutCastENS8_16StoreWithoutCastELi4ELi1EEEEEvT0_T1_.has_dyn_sized_stack, 0
	.set .L_ZN2at6native25elementwise_kernel_helperILb0EZZZNS0_12_GLOBAL__N_121bessel_y1_kernel_cudaERNS_18TensorIteratorBaseEENKUlvE_clEvENKUlvE_clEvEUldE_NS0_6memory8policies11unroll_baseILi256ESt5arrayIPcLm2EE23TrivialOffsetCalculatorILi1EjESF_NS8_15LoadWithoutCastENS8_16StoreWithoutCastELi4ELi1EEEEEvT0_T1_.has_recursion, 0
	.set .L_ZN2at6native25elementwise_kernel_helperILb0EZZZNS0_12_GLOBAL__N_121bessel_y1_kernel_cudaERNS_18TensorIteratorBaseEENKUlvE_clEvENKUlvE_clEvEUldE_NS0_6memory8policies11unroll_baseILi256ESt5arrayIPcLm2EE23TrivialOffsetCalculatorILi1EjESF_NS8_15LoadWithoutCastENS8_16StoreWithoutCastELi4ELi1EEEEEvT0_T1_.has_indirect_call, 0
	.section	.AMDGPU.csdata,"",@progbits
; Function info:
; codeLenInByte = 19468
; TotalNumSgprs: 34
; NumVgprs: 101
; ScratchSize: 0
; MemoryBound: 0
	.text
	.p2align	2                               ; -- Begin function _ZN2at6native25elementwise_kernel_helperILb0EZZZNS0_12_GLOBAL__N_121bessel_y1_kernel_cudaERNS_18TensorIteratorBaseEENKUlvE_clEvENKUlvE_clEvEUldE_NS0_6memory8policies10vectorizedILi4ESt5arrayIPcLm2EELi4EEEEEvT0_T1_
	.type	_ZN2at6native25elementwise_kernel_helperILb0EZZZNS0_12_GLOBAL__N_121bessel_y1_kernel_cudaERNS_18TensorIteratorBaseEENKUlvE_clEvENKUlvE_clEvEUldE_NS0_6memory8policies10vectorizedILi4ESt5arrayIPcLm2EELi4EEEEEvT0_T1_,@function
_ZN2at6native25elementwise_kernel_helperILb0EZZZNS0_12_GLOBAL__N_121bessel_y1_kernel_cudaERNS_18TensorIteratorBaseEENKUlvE_clEvENKUlvE_clEvEUldE_NS0_6memory8policies10vectorizedILi4ESt5arrayIPcLm2EELi4EEEEEvT0_T1_: ; @_ZN2at6native25elementwise_kernel_helperILb0EZZZNS0_12_GLOBAL__N_121bessel_y1_kernel_cudaERNS_18TensorIteratorBaseEENKUlvE_clEvENKUlvE_clEvEUldE_NS0_6memory8policies10vectorizedILi4ESt5arrayIPcLm2EELi4EEEEEvT0_T1_
; %bb.0:
	s_wait_loadcnt_dscnt 0x0
	s_wait_kmcnt 0x0
	s_bfe_u32 s0, ttmp6, 0x4000c
	s_and_b32 s1, ttmp6, 15
	s_add_co_i32 s0, s0, 1
	s_getreg_b32 s2, hwreg(HW_REG_IB_STS2, 6, 4)
	s_mul_i32 s0, ttmp9, s0
	v_and_b32_e32 v4, 0x3ff, v31
	s_add_co_i32 s1, s1, s0
	s_cmp_eq_u32 s2, 0
	v_mov_b32_e32 v15, 0
	s_cselect_b32 s0, ttmp9, s1
	v_lshlrev_b32_e32 v14, 5, v4
	s_lshl_b32 s2, s0, 10
	s_mov_b32 s0, exec_lo
	s_ashr_i32 s3, s2, 31
	s_delay_alu instid0(SALU_CYCLE_1) | instskip(NEXT) | instid1(VALU_DEP_1)
	v_lshl_add_u64 v[2:3], s[2:3], 3, v[2:3]
	v_add_nc_u64_e32 v[6:7], v[2:3], v[14:15]
	s_clause 0x1
	flat_load_b128 v[8:11], v[6:7]
	flat_load_b128 v[2:5], v[6:7] offset:16
                                        ; implicit-def: $vgpr6_vgpr7
	s_wait_loadcnt_dscnt 0x101
	s_wait_xcnt 0x0
	v_cmpx_ge_f64_e32 0x40140000, v[8:9]
	s_xor_b32 s1, exec_lo, s0
	s_cbranch_execz .LBB1_6
; %bb.1:
	v_mov_b64_e32 v[6:7], 0xfff0000000000000
	s_mov_b32 s4, exec_lo
	v_cmpx_neq_f64_e32 0, v[8:9]
	s_cbranch_execz .LBB1_5
; %bb.2:
	v_mov_b64_e32 v[6:7], 0x7ff8000000000000
	s_mov_b32 s5, exec_lo
	v_cmpx_nge_f64_e32 0, v[8:9]
	s_cbranch_execz .LBB1_4
; %bb.3:
	v_frexp_mant_f64_e32 v[6:7], v[8:9]
	s_mov_b64 s[6:7], 0x3fe5555555555555
	v_frexp_exp_i32_f64_e32 v15, v[8:9]
	s_delay_alu instid0(VALU_DEP_2) | instskip(SKIP_2) | instid1(VALU_DEP_3)
	v_cmp_gt_f64_e32 vcc_lo, s[6:7], v[6:7]
	s_mov_b64 s[6:7], 0x3fc3ab76bf559e2b
	v_cndmask_b32_e64 v12, 0, 1, vcc_lo
	v_subrev_co_ci_u32_e64 v15, null, 0, v15, vcc_lo
	s_delay_alu instid0(VALU_DEP_2) | instskip(NEXT) | instid1(VALU_DEP_1)
	v_ldexp_f64 v[6:7], v[6:7], v12
	v_add_f64_e32 v[12:13], 1.0, v[6:7]
	v_add_f64_e32 v[20:21], -1.0, v[6:7]
	s_delay_alu instid0(VALU_DEP_2) | instskip(SKIP_1) | instid1(VALU_DEP_1)
	v_rcp_f64_e32 v[16:17], v[12:13]
	v_add_f64_e32 v[22:23], -1.0, v[12:13]
	v_add_f64_e64 v[6:7], v[6:7], -v[22:23]
	s_delay_alu instid0(TRANS32_DEP_1) | instskip(NEXT) | instid1(VALU_DEP_1)
	v_fma_f64 v[18:19], -v[12:13], v[16:17], 1.0
	v_fmac_f64_e32 v[16:17], v[18:19], v[16:17]
	s_delay_alu instid0(VALU_DEP_1) | instskip(NEXT) | instid1(VALU_DEP_1)
	v_fma_f64 v[18:19], -v[12:13], v[16:17], 1.0
	v_fmac_f64_e32 v[16:17], v[18:19], v[16:17]
	s_delay_alu instid0(VALU_DEP_1) | instskip(NEXT) | instid1(VALU_DEP_1)
	v_mul_f64_e32 v[18:19], v[20:21], v[16:17]
	v_mul_f64_e32 v[24:25], v[12:13], v[18:19]
	s_delay_alu instid0(VALU_DEP_1) | instskip(NEXT) | instid1(VALU_DEP_1)
	v_fma_f64 v[12:13], v[18:19], v[12:13], -v[24:25]
	v_fmac_f64_e32 v[12:13], v[18:19], v[6:7]
	s_delay_alu instid0(VALU_DEP_1) | instskip(NEXT) | instid1(VALU_DEP_1)
	v_add_f64_e32 v[6:7], v[24:25], v[12:13]
	v_add_f64_e64 v[22:23], v[20:21], -v[6:7]
	v_add_f64_e64 v[24:25], v[6:7], -v[24:25]
	s_delay_alu instid0(VALU_DEP_2) | instskip(NEXT) | instid1(VALU_DEP_2)
	v_add_f64_e64 v[20:21], v[20:21], -v[22:23]
	v_add_f64_e64 v[12:13], v[24:25], -v[12:13]
	v_cvt_f64_i32_e32 v[24:25], v15
	s_delay_alu instid0(VALU_DEP_3) | instskip(NEXT) | instid1(VALU_DEP_2)
	v_add_f64_e64 v[6:7], v[20:21], -v[6:7]
	v_mul_f64_e32 v[30:31], 0x3fe62e42fefa39ef, v[24:25]
	s_delay_alu instid0(VALU_DEP_2) | instskip(NEXT) | instid1(VALU_DEP_1)
	v_add_f64_e32 v[6:7], v[12:13], v[6:7]
	v_add_f64_e32 v[6:7], v[22:23], v[6:7]
	s_delay_alu instid0(VALU_DEP_1) | instskip(NEXT) | instid1(VALU_DEP_1)
	v_mul_f64_e32 v[6:7], v[16:17], v[6:7]
	v_add_f64_e32 v[12:13], v[18:19], v[6:7]
	s_delay_alu instid0(VALU_DEP_1) | instskip(NEXT) | instid1(VALU_DEP_1)
	v_mul_f64_e32 v[16:17], v[12:13], v[12:13]
	v_fmaak_f64 v[20:21], s[6:7], v[16:17], 0x3fc385386b47b09a
	v_mul_f64_e32 v[22:23], v[12:13], v[16:17]
	s_mov_b64 s[6:7], 0x3fe62e42fefa39ef
	s_delay_alu instid0(SALU_CYCLE_1) | instskip(NEXT) | instid1(VALU_DEP_3)
	v_fma_f64 v[34:35], v[24:25], s[6:7], -v[30:31]
	v_fmaak_f64 v[20:21], v[16:17], v[20:21], 0x3fc7474dd7f4df2e
	s_delay_alu instid0(VALU_DEP_1) | instskip(NEXT) | instid1(VALU_DEP_1)
	v_fmaak_f64 v[20:21], v[16:17], v[20:21], 0x3fcc71c016291751
	v_fmaak_f64 v[20:21], v[16:17], v[20:21], 0x3fd249249b27acf1
	s_delay_alu instid0(VALU_DEP_1) | instskip(NEXT) | instid1(VALU_DEP_1)
	v_fmaak_f64 v[20:21], v[16:17], v[20:21], 0x3fd99999998ef7b6
	v_fmaak_f64 v[16:17], v[16:17], v[20:21], 0x3fe5555555555780
	v_ldexp_f64 v[20:21], v[12:13], 1
	v_add_f64_e64 v[12:13], v[12:13], -v[18:19]
	v_fmamk_f64 v[24:25], v[24:25], 0x3c7abc9e3b39803f, v[34:35]
	s_delay_alu instid0(VALU_DEP_4) | instskip(SKIP_1) | instid1(VALU_DEP_3)
	v_mul_f64_e32 v[16:17], v[22:23], v[16:17]
	v_mul_f64_e32 v[22:23], v[8:9], v[8:9]
	v_add_f64_e32 v[34:35], v[30:31], v[24:25]
	v_add_f64_e64 v[6:7], v[6:7], -v[12:13]
	s_delay_alu instid0(VALU_DEP_4) | instskip(NEXT) | instid1(VALU_DEP_4)
	v_add_f64_e32 v[18:19], v[20:21], v[16:17]
	v_fmaak_f64 v[26:27], 0, v[22:23], 0x40829269a93f7ac2
	v_fmaak_f64 v[28:29], 0, v[22:23], 0x408366b11b7086e7
	;; [unrolled: 1-line block ×3, first 2 shown]
	v_add_f64_e64 v[30:31], v[34:35], -v[30:31]
	v_ldexp_f64 v[6:7], v[6:7], 1
	v_add_f64_e64 v[12:13], v[18:19], -v[20:21]
	v_fmaak_f64 v[20:21], v[22:23], v[26:27], 0x410cc160be58ef7f
	v_fmaak_f64 v[26:27], v[22:23], v[28:29], 0x410f5eda0dd701b2
	;; [unrolled: 1-line block ×3, first 2 shown]
	v_add_f64_e64 v[24:25], v[24:25], -v[30:31]
	s_delay_alu instid0(VALU_DEP_4) | instskip(NEXT) | instid1(VALU_DEP_4)
	v_fmaak_f64 v[20:21], v[22:23], v[20:21], 0x419184efa9c8acee
	v_fmaak_f64 v[26:27], v[22:23], v[26:27], 0x4193e954dc92a1b1
	s_delay_alu instid0(VALU_DEP_4) | instskip(NEXT) | instid1(VALU_DEP_3)
	v_fmaak_f64 v[28:29], v[22:23], v[28:29], 0xc262d72d58836521
	v_fmaak_f64 v[20:21], v[22:23], v[20:21], 0x421178c3906b7b83
	s_delay_alu instid0(VALU_DEP_3) | instskip(NEXT) | instid1(VALU_DEP_3)
	v_fmaak_f64 v[26:27], v[22:23], v[26:27], 0x4214a13f7befeac1
	v_fmaak_f64 v[28:29], v[22:23], v[28:29], 0x42da0954b0910fef
	s_delay_alu instid0(VALU_DEP_3) | instskip(NEXT) | instid1(VALU_DEP_3)
	;; [unrolled: 3-line block ×4, first 2 shown]
	v_fmaak_f64 v[26:27], v[22:23], v[26:27], 0x43064b0a3eccf45f
	v_fmaak_f64 v[28:29], v[22:23], v[28:29], 0x438679ad0b7366b1
	v_add_f64_e64 v[12:13], v[16:17], -v[12:13]
	v_fmaak_f64 v[16:17], v[22:23], v[32:33], 0x425a52ba0d438c6b
	v_fmaak_f64 v[20:21], v[22:23], v[20:21], 0x436e83e3c547a488
	;; [unrolled: 1-line block ×4, first 2 shown]
	s_delay_alu instid0(VALU_DEP_4) | instskip(NEXT) | instid1(VALU_DEP_4)
	v_fmaak_f64 v[16:17], v[22:23], v[16:17], 0xc2d08a92e6ccf175
	v_fmaak_f64 v[20:21], v[22:23], v[20:21], 0x43cb90f190f6747f
	s_delay_alu instid0(VALU_DEP_2) | instskip(SKIP_1) | instid1(VALU_DEP_3)
	v_fmaak_f64 v[16:17], v[22:23], v[16:17], 0x432a2b42a697c482
	v_fmaak_f64 v[22:23], v[22:23], v[26:27], 0x43d2779576702939
	v_div_scale_f64 v[26:27], null, v[20:21], v[20:21], v[28:29]
	v_div_scale_f64 v[70:71], vcc_lo, v[28:29], v[20:21], v[28:29]
	s_delay_alu instid0(VALU_DEP_3) | instskip(SKIP_1) | instid1(VALU_DEP_4)
	v_div_scale_f64 v[32:33], null, v[22:23], v[22:23], v[16:17]
	v_add_f64_e32 v[6:7], v[6:7], v[12:13]
	v_rcp_f64_e32 v[12:13], v[26:27]
	s_delay_alu instid0(VALU_DEP_2) | instskip(NEXT) | instid1(VALU_DEP_1)
	v_rcp_f64_e32 v[36:37], v[32:33]
	v_add_f64_e32 v[38:39], v[18:19], v[6:7]
	s_delay_alu instid0(TRANS32_DEP_2) | instskip(NEXT) | instid1(TRANS32_DEP_1)
	v_fma_f64 v[48:49], -v[26:27], v[12:13], 1.0
	v_fma_f64 v[50:51], -v[32:33], v[36:37], 1.0
	s_delay_alu instid0(VALU_DEP_3) | instskip(SKIP_1) | instid1(VALU_DEP_4)
	v_add_f64_e32 v[52:53], v[34:35], v[38:39]
	v_add_f64_e64 v[18:19], v[38:39], -v[18:19]
	v_fmac_f64_e32 v[12:13], v[12:13], v[48:49]
	v_div_scale_f64 v[48:49], null, v[8:9], v[8:9], -1.0
	v_fmac_f64_e32 v[36:37], v[36:37], v[50:51]
	v_add_f64_e64 v[50:51], v[52:53], -v[34:35]
	v_add_f64_e64 v[6:7], v[6:7], -v[18:19]
	v_fma_f64 v[54:55], -v[26:27], v[12:13], 1.0
	v_rcp_f64_e32 v[64:65], v[48:49]
	s_delay_alu instid0(VALU_DEP_4) | instskip(NEXT) | instid1(VALU_DEP_4)
	v_fma_f64 v[66:67], -v[32:33], v[36:37], 1.0
	v_add_f64_e64 v[68:69], v[52:53], -v[50:51]
	v_add_f64_e64 v[18:19], v[38:39], -v[50:51]
	s_delay_alu instid0(VALU_DEP_4) | instskip(SKIP_4) | instid1(TRANS32_DEP_1)
	v_fmac_f64_e32 v[12:13], v[12:13], v[54:55]
	v_div_scale_f64 v[54:55], s0, v[16:17], v[22:23], v[16:17]
	v_fmac_f64_e32 v[36:37], v[36:37], v[66:67]
	v_add_f64_e32 v[66:67], v[24:25], v[6:7]
	v_add_f64_e64 v[30:31], v[34:35], -v[68:69]
	v_fma_f64 v[34:35], -v[48:49], v[64:65], 1.0
	v_mul_f64_e32 v[38:39], v[70:71], v[12:13]
	v_mul_f64_e32 v[50:51], v[54:55], v[36:37]
	s_delay_alu instid0(VALU_DEP_4) | instskip(NEXT) | instid1(VALU_DEP_4)
	v_add_f64_e32 v[18:19], v[18:19], v[30:31]
	v_fmac_f64_e32 v[64:65], v[64:65], v[34:35]
	s_delay_alu instid0(VALU_DEP_4) | instskip(NEXT) | instid1(VALU_DEP_4)
	v_fma_f64 v[26:27], -v[26:27], v[38:39], v[70:71]
	v_fma_f64 v[30:31], -v[32:33], v[50:51], v[54:55]
	v_add_f64_e64 v[32:33], v[66:67], -v[24:25]
	v_add_f64_e32 v[18:19], v[66:67], v[18:19]
	v_fma_f64 v[34:35], -v[48:49], v[64:65], 1.0
	v_div_fmas_f64 v[12:13], v[26:27], v[12:13], v[38:39]
	s_mov_b32 vcc_lo, s0
	v_div_fmas_f64 v[26:27], v[30:31], v[36:37], v[50:51]
	v_add_f64_e64 v[30:31], v[66:67], -v[32:33]
	v_div_scale_f64 v[38:39], vcc_lo, -1.0, v[8:9], -1.0
	v_add_f64_e32 v[36:37], v[52:53], v[18:19]
	v_fmac_f64_e32 v[64:65], v[64:65], v[34:35]
	v_add_f64_e64 v[6:7], v[6:7], -v[32:33]
	v_div_fixup_f64 v[12:13], v[12:13], v[20:21], v[28:29]
	v_div_fixup_f64 v[16:17], v[26:27], v[22:23], v[16:17]
	v_add_f64_e64 v[22:23], v[24:25], -v[30:31]
	v_add_f64_e64 v[24:25], v[36:37], -v[52:53]
	v_mul_f64_e32 v[26:27], v[38:39], v[64:65]
	s_delay_alu instid0(VALU_DEP_4) | instskip(NEXT) | instid1(VALU_DEP_4)
	v_mul_f64_e32 v[16:17], v[8:9], v[16:17]
	v_add_f64_e32 v[6:7], v[6:7], v[22:23]
	s_delay_alu instid0(VALU_DEP_4) | instskip(NEXT) | instid1(VALU_DEP_4)
	v_add_f64_e64 v[18:19], v[18:19], -v[24:25]
	v_fma_f64 v[22:23], -v[48:49], v[26:27], v[38:39]
	v_fmaak_f64 v[24:25], v[8:9], v[8:9], 0xc02d5d2b4189822c
	s_delay_alu instid0(VALU_DEP_1) | instskip(NEXT) | instid1(VALU_DEP_4)
	v_mul_f64_e32 v[16:17], v[24:25], v[16:17]
	v_add_f64_e32 v[6:7], v[6:7], v[18:19]
	s_delay_alu instid0(VALU_DEP_4) | instskip(SKIP_1) | instid1(VALU_DEP_1)
	v_div_fmas_f64 v[18:19], v[22:23], v[64:65], v[26:27]
	v_fmaak_f64 v[22:23], v[8:9], v[8:9], 0xc0489bf66072a432
	v_mul_f64_e32 v[16:17], v[22:23], v[16:17]
	s_delay_alu instid0(VALU_DEP_4) | instskip(NEXT) | instid1(VALU_DEP_4)
	v_add_f64_e32 v[6:7], v[36:37], v[6:7]
	v_div_fixup_f64 v[18:19], v[18:19], v[8:9], -1.0
	s_delay_alu instid0(VALU_DEP_1) | instskip(NEXT) | instid1(VALU_DEP_1)
	v_fmac_f64_e32 v[18:19], v[16:17], v[6:7]
	v_mul_f64_e32 v[6:7], 0x3fe45f306dc9c883, v[18:19]
	s_delay_alu instid0(VALU_DEP_1)
	v_fmac_f64_e32 v[6:7], v[8:9], v[12:13]
.LBB1_4:
	s_or_b32 exec_lo, exec_lo, s5
.LBB1_5:
	s_delay_alu instid0(SALU_CYCLE_1)
	s_or_b32 exec_lo, exec_lo, s4
.LBB1_6:
	s_and_not1_saveexec_b32 s1, s1
	s_cbranch_execz .LBB1_16
; %bb.7:
	v_add_f64_e32 v[6:7], 0xc002d97c7f3321d2, v[8:9]
                                        ; implicit-def: $vgpr15
                                        ; implicit-def: $vgpr12_vgpr13
                                        ; implicit-def: $vgpr18_vgpr19
	s_delay_alu instid0(VALU_DEP_1)
	v_cmp_ngt_f64_e64 s0, 0x41d00000, |v[6:7]|
	v_trig_preop_f64 v[26:27], |v[6:7]|, 0
	v_trig_preop_f64 v[24:25], |v[6:7]|, 1
	v_ldexp_f64 v[28:29], |v[6:7]|, 0xffffff80
	v_trig_preop_f64 v[22:23], |v[6:7]|, 2
	v_and_b32_e32 v31, 0x7fffffff, v7
	s_and_saveexec_b32 s4, s0
	s_delay_alu instid0(SALU_CYCLE_1)
	s_xor_b32 s4, exec_lo, s4
	s_cbranch_execz .LBB1_9
; %bb.8:
	v_cmp_le_f64_e64 vcc_lo, 0x7b000000, |v[6:7]|
	s_mov_b64 s[6:7], 0x3ff921fb54442d18
	v_dual_mov_b32 v52, 0 :: v_dual_cndmask_b32 v13, v31, v29
	v_cndmask_b32_e32 v12, v6, v28, vcc_lo
	s_delay_alu instid0(VALU_DEP_1) | instskip(SKIP_2) | instid1(VALU_DEP_3)
	v_mul_f64_e32 v[16:17], v[26:27], v[12:13]
	v_mul_f64_e32 v[18:19], v[24:25], v[12:13]
	;; [unrolled: 1-line block ×3, first 2 shown]
	v_fma_f64 v[20:21], v[26:27], v[12:13], -v[16:17]
	s_delay_alu instid0(VALU_DEP_3) | instskip(NEXT) | instid1(VALU_DEP_3)
	v_fma_f64 v[50:51], v[24:25], v[12:13], -v[18:19]
	v_fma_f64 v[12:13], v[22:23], v[12:13], -v[48:49]
	s_delay_alu instid0(VALU_DEP_3) | instskip(NEXT) | instid1(VALU_DEP_1)
	v_add_f64_e32 v[32:33], v[18:19], v[20:21]
	v_add_f64_e64 v[34:35], v[32:33], -v[18:19]
	v_add_f64_e32 v[38:39], v[16:17], v[32:33]
	s_delay_alu instid0(VALU_DEP_2) | instskip(SKIP_1) | instid1(VALU_DEP_3)
	v_add_f64_e64 v[36:37], v[32:33], -v[34:35]
	v_add_f64_e64 v[20:21], v[20:21], -v[34:35]
	v_ldexp_f64 v[34:35], v[38:39], -2
	v_add_f64_e64 v[16:17], v[38:39], -v[16:17]
	s_delay_alu instid0(VALU_DEP_4) | instskip(SKIP_1) | instid1(VALU_DEP_4)
	v_add_f64_e64 v[18:19], v[18:19], -v[36:37]
	v_add_f64_e32 v[36:37], v[48:49], v[50:51]
	v_cmp_neq_f64_e64 vcc_lo, 0x7ff00000, |v[34:35]|
	s_delay_alu instid0(VALU_DEP_4) | instskip(NEXT) | instid1(VALU_DEP_4)
	v_add_f64_e64 v[16:17], v[32:33], -v[16:17]
	v_add_f64_e32 v[18:19], v[20:21], v[18:19]
	v_fract_f64_e32 v[20:21], v[34:35]
	s_delay_alu instid0(VALU_DEP_2) | instskip(NEXT) | instid1(VALU_DEP_2)
	v_add_f64_e32 v[32:33], v[36:37], v[18:19]
	v_ldexp_f64 v[20:21], v[20:21], 2
	s_delay_alu instid0(VALU_DEP_2) | instskip(NEXT) | instid1(VALU_DEP_2)
	v_add_f64_e32 v[34:35], v[16:17], v[32:33]
	v_dual_cndmask_b32 v21, 0, v21 :: v_dual_cndmask_b32 v20, 0, v20
	v_add_f64_e64 v[54:55], v[32:33], -v[36:37]
	s_delay_alu instid0(VALU_DEP_2) | instskip(SKIP_1) | instid1(VALU_DEP_3)
	v_add_f64_e32 v[38:39], v[34:35], v[20:21]
	v_add_f64_e64 v[16:17], v[34:35], -v[16:17]
	v_add_f64_e64 v[68:69], v[32:33], -v[54:55]
	;; [unrolled: 1-line block ×3, first 2 shown]
	s_delay_alu instid0(VALU_DEP_4) | instskip(SKIP_3) | instid1(VALU_DEP_3)
	v_cmp_gt_f64_e32 vcc_lo, 0, v[38:39]
	v_add_f64_e64 v[38:39], v[36:37], -v[48:49]
	v_add_f64_e64 v[16:17], v[32:33], -v[16:17]
	v_cndmask_b32_e64 v53, 0, 0x40100000, vcc_lo
	v_add_f64_e64 v[66:67], v[36:37], -v[38:39]
	v_add_f64_e64 v[38:39], v[50:51], -v[38:39]
	;; [unrolled: 1-line block ×3, first 2 shown]
	s_delay_alu instid0(VALU_DEP_4) | instskip(NEXT) | instid1(VALU_DEP_4)
	v_add_f64_e32 v[20:21], v[20:21], v[52:53]
	v_add_f64_e64 v[50:51], v[48:49], -v[66:67]
	s_delay_alu instid0(VALU_DEP_3) | instskip(NEXT) | instid1(VALU_DEP_3)
	v_add_f64_e32 v[18:19], v[18:19], v[36:37]
	v_add_f64_e32 v[64:65], v[34:35], v[20:21]
	s_delay_alu instid0(VALU_DEP_3) | instskip(NEXT) | instid1(VALU_DEP_2)
	v_add_f64_e32 v[38:39], v[38:39], v[50:51]
	v_cvt_i32_f64_e32 v15, v[64:65]
	s_delay_alu instid0(VALU_DEP_2) | instskip(NEXT) | instid1(VALU_DEP_2)
	v_add_f64_e32 v[18:19], v[38:39], v[18:19]
	v_cvt_f64_i32_e32 v[54:55], v15
	s_delay_alu instid0(VALU_DEP_2) | instskip(NEXT) | instid1(VALU_DEP_2)
	v_add_f64_e32 v[12:13], v[12:13], v[18:19]
	v_add_f64_e64 v[20:21], v[20:21], -v[54:55]
	s_delay_alu instid0(VALU_DEP_2) | instskip(NEXT) | instid1(VALU_DEP_2)
	v_add_f64_e32 v[12:13], v[16:17], v[12:13]
	v_add_f64_e32 v[36:37], v[34:35], v[20:21]
	s_delay_alu instid0(VALU_DEP_1) | instskip(SKIP_1) | instid1(VALU_DEP_2)
	v_add_f64_e64 v[18:19], v[36:37], -v[20:21]
	v_cmp_le_f64_e32 vcc_lo, 0.5, v[36:37]
	v_add_f64_e64 v[16:17], v[34:35], -v[18:19]
	v_cndmask_b32_e64 v53, 0, 0x3ff00000, vcc_lo
	v_add_co_ci_u32_e64 v15, null, 0, v15, vcc_lo
	s_delay_alu instid0(VALU_DEP_3) | instskip(NEXT) | instid1(VALU_DEP_3)
	v_add_f64_e32 v[12:13], v[12:13], v[16:17]
	v_add_f64_e64 v[16:17], v[36:37], -v[52:53]
	s_delay_alu instid0(VALU_DEP_1) | instskip(NEXT) | instid1(VALU_DEP_1)
	v_add_f64_e32 v[18:19], v[16:17], v[12:13]
	v_mul_f64_e32 v[20:21], 0x3ff921fb54442d18, v[18:19]
	v_add_f64_e64 v[16:17], v[18:19], -v[16:17]
	s_delay_alu instid0(VALU_DEP_2) | instskip(NEXT) | instid1(VALU_DEP_2)
	v_fma_f64 v[32:33], v[18:19], s[6:7], -v[20:21]
	v_add_f64_e64 v[12:13], v[12:13], -v[16:17]
	s_delay_alu instid0(VALU_DEP_2) | instskip(NEXT) | instid1(VALU_DEP_1)
	v_fmamk_f64 v[16:17], v[18:19], 0x3c91a62633145c07, v[32:33]
	v_fmac_f64_e32 v[16:17], 0x3ff921fb54442d18, v[12:13]
	s_delay_alu instid0(VALU_DEP_1) | instskip(NEXT) | instid1(VALU_DEP_1)
	v_add_f64_e32 v[12:13], v[20:21], v[16:17]
	v_add_f64_e64 v[18:19], v[12:13], -v[20:21]
	s_delay_alu instid0(VALU_DEP_1)
	v_add_f64_e64 v[18:19], v[16:17], -v[18:19]
	s_and_not1_saveexec_b32 s4, s4
	s_cbranch_execz .LBB1_11
	s_branch .LBB1_10
.LBB1_9:
	s_and_not1_saveexec_b32 s4, s4
	s_cbranch_execz .LBB1_11
.LBB1_10:
	s_mov_b64 s[6:7], 0x3fe45f306dc9c883
	s_delay_alu instid0(SALU_CYCLE_1) | instskip(SKIP_1) | instid1(VALU_DEP_1)
	v_mul_f64_e64 v[12:13], |v[6:7]|, s[6:7]
	s_mov_b64 s[6:7], 0xbff921fb54442d18
	v_rndne_f64_e32 v[16:17], v[12:13]
	s_delay_alu instid0(VALU_DEP_1) | instskip(SKIP_2) | instid1(VALU_DEP_3)
	v_fma_f64 v[12:13], v[16:17], s[6:7], |v[6:7]|
	v_mul_f64_e32 v[18:19], 0xbc91a62633145c00, v[16:17]
	v_cvt_i32_f64_e32 v15, v[16:17]
	v_fmamk_f64 v[34:35], v[16:17], 0xbc91a62633145c00, v[12:13]
	s_delay_alu instid0(VALU_DEP_3) | instskip(NEXT) | instid1(VALU_DEP_1)
	v_add_f64_e32 v[20:21], v[12:13], v[18:19]
	v_add_f64_e64 v[32:33], v[12:13], -v[20:21]
	s_delay_alu instid0(VALU_DEP_3) | instskip(NEXT) | instid1(VALU_DEP_2)
	v_add_f64_e64 v[12:13], v[20:21], -v[34:35]
	v_add_f64_e32 v[20:21], v[32:33], v[18:19]
	v_fmamk_f64 v[18:19], v[16:17], 0x3c91a62633145c00, v[18:19]
	s_delay_alu instid0(VALU_DEP_2) | instskip(NEXT) | instid1(VALU_DEP_1)
	v_add_f64_e32 v[12:13], v[12:13], v[20:21]
	v_add_f64_e64 v[12:13], v[12:13], -v[18:19]
	s_delay_alu instid0(VALU_DEP_1) | instskip(NEXT) | instid1(VALU_DEP_1)
	v_fmamk_f64 v[18:19], v[16:17], 0xb97b839a252049c0, v[12:13]
	v_add_f64_e32 v[12:13], v[34:35], v[18:19]
	s_delay_alu instid0(VALU_DEP_1) | instskip(NEXT) | instid1(VALU_DEP_1)
	v_add_f64_e64 v[20:21], v[12:13], -v[34:35]
	v_add_f64_e64 v[18:19], v[18:19], -v[20:21]
.LBB1_11:
	s_or_b32 exec_lo, exec_lo, s4
                                        ; implicit-def: $vgpr30
                                        ; implicit-def: $vgpr16_vgpr17
                                        ; implicit-def: $vgpr20_vgpr21
	s_and_saveexec_b32 s4, s0
	s_delay_alu instid0(SALU_CYCLE_1)
	s_xor_b32 s0, exec_lo, s4
	s_cbranch_execz .LBB1_13
; %bb.12:
	v_cmp_le_f64_e64 vcc_lo, 0x7b000000, |v[6:7]|
	s_mov_b64 s[4:5], 0x3ff921fb54442d18
	v_dual_mov_b32 v48, 0 :: v_dual_cndmask_b32 v17, v31, v29
	v_cndmask_b32_e32 v16, v6, v28, vcc_lo
	s_delay_alu instid0(VALU_DEP_1) | instskip(SKIP_2) | instid1(VALU_DEP_3)
	v_mul_f64_e32 v[20:21], v[26:27], v[16:17]
	v_mul_f64_e32 v[28:29], v[24:25], v[16:17]
	;; [unrolled: 1-line block ×3, first 2 shown]
	v_fma_f64 v[26:27], v[26:27], v[16:17], -v[20:21]
	s_delay_alu instid0(VALU_DEP_3) | instskip(NEXT) | instid1(VALU_DEP_3)
	v_fma_f64 v[24:25], v[24:25], v[16:17], -v[28:29]
	v_fma_f64 v[16:17], v[22:23], v[16:17], -v[38:39]
	s_delay_alu instid0(VALU_DEP_3) | instskip(NEXT) | instid1(VALU_DEP_1)
	v_add_f64_e32 v[30:31], v[28:29], v[26:27]
	v_add_f64_e64 v[32:33], v[30:31], -v[28:29]
	v_add_f64_e32 v[36:37], v[20:21], v[30:31]
	s_delay_alu instid0(VALU_DEP_2) | instskip(SKIP_1) | instid1(VALU_DEP_3)
	v_add_f64_e64 v[34:35], v[30:31], -v[32:33]
	v_add_f64_e64 v[26:27], v[26:27], -v[32:33]
	v_ldexp_f64 v[32:33], v[36:37], -2
	s_delay_alu instid0(VALU_DEP_3) | instskip(SKIP_1) | instid1(VALU_DEP_3)
	v_add_f64_e64 v[28:29], v[28:29], -v[34:35]
	v_add_f64_e32 v[34:35], v[38:39], v[24:25]
	v_cmp_neq_f64_e64 vcc_lo, 0x7ff00000, |v[32:33]|
	s_delay_alu instid0(VALU_DEP_3) | instskip(SKIP_1) | instid1(VALU_DEP_1)
	v_add_f64_e32 v[26:27], v[26:27], v[28:29]
	v_fract_f64_e32 v[28:29], v[32:33]
	v_ldexp_f64 v[28:29], v[28:29], 2
	s_delay_alu instid0(VALU_DEP_1) | instskip(SKIP_1) | instid1(VALU_DEP_3)
	v_cndmask_b32_e32 v28, 0, v28, vcc_lo
	v_add_f64_e64 v[20:21], v[36:37], -v[20:21]
	v_cndmask_b32_e32 v29, 0, v29, vcc_lo
	s_delay_alu instid0(VALU_DEP_2) | instskip(SKIP_1) | instid1(VALU_DEP_1)
	v_add_f64_e64 v[20:21], v[30:31], -v[20:21]
	v_add_f64_e32 v[30:31], v[34:35], v[26:27]
	v_add_f64_e32 v[32:33], v[20:21], v[30:31]
	v_add_f64_e64 v[50:51], v[30:31], -v[34:35]
	s_delay_alu instid0(VALU_DEP_2) | instskip(NEXT) | instid1(VALU_DEP_2)
	v_add_f64_e32 v[36:37], v[32:33], v[28:29]
	v_add_f64_e64 v[64:65], v[30:31], -v[50:51]
	v_add_f64_e64 v[26:27], v[26:27], -v[50:51]
	;; [unrolled: 1-line block ×3, first 2 shown]
	s_delay_alu instid0(VALU_DEP_4) | instskip(SKIP_1) | instid1(VALU_DEP_3)
	v_cmp_gt_f64_e32 vcc_lo, 0, v[36:37]
	v_add_f64_e64 v[36:37], v[34:35], -v[38:39]
	v_add_f64_e64 v[20:21], v[30:31], -v[20:21]
	v_cndmask_b32_e64 v49, 0, 0x40100000, vcc_lo
	s_delay_alu instid0(VALU_DEP_3) | instskip(SKIP_2) | instid1(VALU_DEP_4)
	v_add_f64_e64 v[54:55], v[34:35], -v[36:37]
	v_add_f64_e64 v[24:25], v[24:25], -v[36:37]
	;; [unrolled: 1-line block ×3, first 2 shown]
	v_add_f64_e32 v[28:29], v[28:29], v[48:49]
	s_delay_alu instid0(VALU_DEP_4) | instskip(NEXT) | instid1(VALU_DEP_3)
	v_add_f64_e64 v[36:37], v[38:39], -v[54:55]
	v_add_f64_e32 v[26:27], v[26:27], v[34:35]
	s_delay_alu instid0(VALU_DEP_3) | instskip(NEXT) | instid1(VALU_DEP_3)
	v_add_f64_e32 v[52:53], v[32:33], v[28:29]
	v_add_f64_e32 v[24:25], v[24:25], v[36:37]
	s_delay_alu instid0(VALU_DEP_2) | instskip(NEXT) | instid1(VALU_DEP_2)
	v_cvt_i32_f64_e32 v49, v[52:53]
	v_add_f64_e32 v[22:23], v[24:25], v[26:27]
	s_delay_alu instid0(VALU_DEP_2) | instskip(NEXT) | instid1(VALU_DEP_2)
	v_cvt_f64_i32_e32 v[50:51], v49
	v_add_f64_e32 v[16:17], v[16:17], v[22:23]
	s_delay_alu instid0(VALU_DEP_2) | instskip(NEXT) | instid1(VALU_DEP_2)
	v_add_f64_e64 v[28:29], v[28:29], -v[50:51]
	v_add_f64_e32 v[16:17], v[20:21], v[16:17]
	s_delay_alu instid0(VALU_DEP_2) | instskip(NEXT) | instid1(VALU_DEP_1)
	v_add_f64_e32 v[24:25], v[32:33], v[28:29]
	v_add_f64_e64 v[22:23], v[24:25], -v[28:29]
	v_cmp_le_f64_e32 vcc_lo, 0.5, v[24:25]
	s_delay_alu instid0(VALU_DEP_2) | instskip(SKIP_2) | instid1(VALU_DEP_3)
	v_add_f64_e64 v[20:21], v[32:33], -v[22:23]
	v_add_co_ci_u32_e64 v30, null, 0, v49, vcc_lo
	v_cndmask_b32_e64 v49, 0, 0x3ff00000, vcc_lo
	v_add_f64_e32 v[16:17], v[16:17], v[20:21]
	s_delay_alu instid0(VALU_DEP_2) | instskip(NEXT) | instid1(VALU_DEP_1)
	v_add_f64_e64 v[20:21], v[24:25], -v[48:49]
	v_add_f64_e32 v[22:23], v[20:21], v[16:17]
	s_delay_alu instid0(VALU_DEP_1) | instskip(SKIP_1) | instid1(VALU_DEP_2)
	v_mul_f64_e32 v[24:25], 0x3ff921fb54442d18, v[22:23]
	v_add_f64_e64 v[20:21], v[22:23], -v[20:21]
	v_fma_f64 v[26:27], v[22:23], s[4:5], -v[24:25]
	s_delay_alu instid0(VALU_DEP_2) | instskip(NEXT) | instid1(VALU_DEP_2)
	v_add_f64_e64 v[16:17], v[16:17], -v[20:21]
	v_fmamk_f64 v[20:21], v[22:23], 0x3c91a62633145c07, v[26:27]
	s_delay_alu instid0(VALU_DEP_1) | instskip(NEXT) | instid1(VALU_DEP_1)
	v_fmac_f64_e32 v[20:21], 0x3ff921fb54442d18, v[16:17]
	v_add_f64_e32 v[16:17], v[24:25], v[20:21]
	s_delay_alu instid0(VALU_DEP_1) | instskip(NEXT) | instid1(VALU_DEP_1)
	v_add_f64_e64 v[22:23], v[16:17], -v[24:25]
	v_add_f64_e64 v[20:21], v[20:21], -v[22:23]
	s_and_not1_saveexec_b32 s0, s0
	s_cbranch_execnz .LBB1_14
	s_branch .LBB1_15
.LBB1_13:
	s_and_not1_saveexec_b32 s0, s0
	s_cbranch_execz .LBB1_15
.LBB1_14:
	s_mov_b64 s[4:5], 0x3fe45f306dc9c883
	s_delay_alu instid0(SALU_CYCLE_1) | instskip(SKIP_1) | instid1(VALU_DEP_1)
	v_mul_f64_e64 v[16:17], |v[6:7]|, s[4:5]
	s_mov_b64 s[4:5], 0xbff921fb54442d18
	v_rndne_f64_e32 v[22:23], v[16:17]
	s_delay_alu instid0(VALU_DEP_1) | instskip(SKIP_2) | instid1(VALU_DEP_3)
	v_fma_f64 v[16:17], v[22:23], s[4:5], |v[6:7]|
	v_mul_f64_e32 v[20:21], 0xbc91a62633145c00, v[22:23]
	v_cvt_i32_f64_e32 v30, v[22:23]
	v_fmamk_f64 v[28:29], v[22:23], 0xbc91a62633145c00, v[16:17]
	s_delay_alu instid0(VALU_DEP_3) | instskip(NEXT) | instid1(VALU_DEP_1)
	v_add_f64_e32 v[24:25], v[16:17], v[20:21]
	v_add_f64_e64 v[26:27], v[16:17], -v[24:25]
	s_delay_alu instid0(VALU_DEP_3) | instskip(NEXT) | instid1(VALU_DEP_2)
	v_add_f64_e64 v[16:17], v[24:25], -v[28:29]
	v_add_f64_e32 v[24:25], v[26:27], v[20:21]
	v_fmamk_f64 v[20:21], v[22:23], 0x3c91a62633145c00, v[20:21]
	s_delay_alu instid0(VALU_DEP_2) | instskip(NEXT) | instid1(VALU_DEP_1)
	v_add_f64_e32 v[16:17], v[16:17], v[24:25]
	v_add_f64_e64 v[16:17], v[16:17], -v[20:21]
	s_delay_alu instid0(VALU_DEP_1) | instskip(NEXT) | instid1(VALU_DEP_1)
	v_fmamk_f64 v[20:21], v[22:23], 0xb97b839a252049c0, v[16:17]
	v_add_f64_e32 v[16:17], v[28:29], v[20:21]
	s_delay_alu instid0(VALU_DEP_1) | instskip(NEXT) | instid1(VALU_DEP_1)
	v_add_f64_e64 v[24:25], v[16:17], -v[28:29]
	v_add_f64_e64 v[20:21], v[20:21], -v[24:25]
.LBB1_15:
	s_or_b32 exec_lo, exec_lo, s0
	v_div_scale_f64 v[22:23], null, v[8:9], v[8:9], 0x40140000
	v_cmp_class_f64_e64 s0, v[6:7], 0x1f8
	s_delay_alu instid0(VALU_DEP_3)
	v_mul_f64_e32 v[82:83], 0.5, v[18:19]
	v_mov_b64_e32 v[52:53], 0xbe927e4fa17f65f6
	v_mov_b64_e32 v[54:55], 0x3efa01a019f4ec90
	;; [unrolled: 1-line block ×6, first 2 shown]
	v_rcp_f64_e32 v[24:25], v[22:23]
	v_nop
	s_delay_alu instid0(TRANS32_DEP_1) | instskip(NEXT) | instid1(VALU_DEP_1)
	v_fma_f64 v[26:27], -v[22:23], v[24:25], 1.0
	v_fmac_f64_e32 v[24:25], v[24:25], v[26:27]
	s_delay_alu instid0(VALU_DEP_1) | instskip(NEXT) | instid1(VALU_DEP_1)
	v_fma_f64 v[26:27], -v[22:23], v[24:25], 1.0
	v_fmac_f64_e32 v[24:25], v[24:25], v[26:27]
	v_div_scale_f64 v[26:27], vcc_lo, 0x40140000, v[8:9], 0x40140000
	s_delay_alu instid0(VALU_DEP_1) | instskip(NEXT) | instid1(VALU_DEP_1)
	v_mul_f64_e32 v[28:29], v[26:27], v[24:25]
	v_fma_f64 v[22:23], -v[22:23], v[28:29], v[26:27]
	s_delay_alu instid0(VALU_DEP_1) | instskip(NEXT) | instid1(VALU_DEP_1)
	v_div_fmas_f64 v[22:23], v[22:23], v[24:25], v[28:29]
	v_div_fixup_f64 v[22:23], v[22:23], v[8:9], 0x40140000
	s_delay_alu instid0(VALU_DEP_1) | instskip(NEXT) | instid1(VALU_DEP_1)
	v_mul_f64_e32 v[24:25], v[22:23], v[22:23]
	v_fmaak_f64 v[32:33], 0, v[24:25], 0x3faa27fa6b70ba40
	v_fmaak_f64 v[26:27], 0, v[24:25], 0x3f48f92c4c6c651b
	;; [unrolled: 1-line block ×4, first 2 shown]
	s_delay_alu instid0(VALU_DEP_4) | instskip(NEXT) | instid1(VALU_DEP_4)
	v_fmaak_f64 v[32:33], v[24:25], v[32:33], 0x4013edb5c66d8fd6
	v_fmaak_f64 v[26:27], v[24:25], v[26:27], 0x3fb2b948a3fec4b6
	s_delay_alu instid0(VALU_DEP_4) | instskip(NEXT) | instid1(VALU_DEP_4)
	v_fmaak_f64 v[28:29], v[24:25], v[28:29], 0x3fb19fdd5948aa83
	v_fmaak_f64 v[34:35], v[24:25], v[34:35], 0x409081cba20e5f6f
	;; [unrolled: 3-line block ×10, first 2 shown]
	s_delay_alu instid0(VALU_DEP_4) | instskip(NEXT) | instid1(VALU_DEP_3)
	v_fmaak_f64 v[32:33], v[24:25], v[32:33], 0x406a760a4c54bb0b
	v_fma_f64 v[28:29], v[24:25], v[28:29], 1.0
	s_delay_alu instid0(VALU_DEP_3) | instskip(NEXT) | instid1(VALU_DEP_3)
	v_fmaak_f64 v[34:35], v[24:25], v[34:35], 0x4075017f6ae75997
	v_fmaak_f64 v[32:33], v[24:25], v[32:33], 0x403934ff4d159eb5
	v_fma_f64 v[24:25], v[24:25], v[26:27], 1.0
	s_delay_alu instid0(VALU_DEP_1) | instskip(NEXT) | instid1(VALU_DEP_1)
	v_div_scale_f64 v[26:27], null, v[28:29], v[28:29], v[24:25]
	v_rcp_f64_e32 v[36:37], v[26:27]
	v_nop
	s_delay_alu instid0(TRANS32_DEP_1) | instskip(NEXT) | instid1(VALU_DEP_1)
	v_fma_f64 v[38:39], -v[26:27], v[36:37], 1.0
	v_fmac_f64_e32 v[36:37], v[36:37], v[38:39]
	s_delay_alu instid0(VALU_DEP_1) | instskip(NEXT) | instid1(VALU_DEP_1)
	v_fma_f64 v[38:39], -v[26:27], v[36:37], 1.0
	v_fmac_f64_e32 v[36:37], v[36:37], v[38:39]
	v_div_scale_f64 v[38:39], vcc_lo, v[24:25], v[28:29], v[24:25]
	s_delay_alu instid0(VALU_DEP_1) | instskip(NEXT) | instid1(VALU_DEP_1)
	v_mul_f64_e32 v[48:49], v[38:39], v[36:37]
	v_fma_f64 v[26:27], -v[26:27], v[48:49], v[38:39]
	s_delay_alu instid0(VALU_DEP_1) | instskip(SKIP_1) | instid1(VALU_DEP_2)
	v_div_fmas_f64 v[26:27], v[26:27], v[36:37], v[48:49]
	v_mov_b64_e32 v[48:49], 0x3e21eeb69037ab78
	v_div_fixup_f64 v[24:25], v[26:27], v[28:29], v[24:25]
	v_mul_f64_e32 v[26:27], v[12:13], v[12:13]
	s_delay_alu instid0(VALU_DEP_1) | instskip(NEXT) | instid1(VALU_DEP_4)
	v_mul_f64_e32 v[28:29], 0.5, v[26:27]
	v_fmamk_f64 v[50:51], v[26:27], 0xbda907db46cc5e42, v[48:49]
	v_mul_f64_e64 v[80:81], v[12:13], -v[26:27]
	s_delay_alu instid0(VALU_DEP_2) | instskip(NEXT) | instid1(VALU_DEP_1)
	v_fmaak_f64 v[50:51], v[26:27], v[50:51], 0xbe927e4fa17f65f6
	v_fmaak_f64 v[50:51], v[26:27], v[50:51], 0x3efa01a019f4ec90
	s_delay_alu instid0(VALU_DEP_1) | instskip(NEXT) | instid1(VALU_DEP_1)
	v_fmaak_f64 v[50:51], v[26:27], v[50:51], 0xbf56c16c16c16967
	v_fmaak_f64 v[50:51], v[26:27], v[50:51], 0x3fa5555555555555
	v_add_f64_e64 v[36:37], -v[28:29], 1.0
	s_delay_alu instid0(VALU_DEP_1) | instskip(NEXT) | instid1(VALU_DEP_1)
	v_add_f64_e64 v[38:39], -v[36:37], 1.0
	v_add_f64_e64 v[28:29], v[38:39], -v[28:29]
	v_mul_f64_e32 v[38:39], v[26:27], v[26:27]
	s_delay_alu instid0(VALU_DEP_2) | instskip(NEXT) | instid1(VALU_DEP_1)
	v_fma_f64 v[28:29], v[12:13], -v[18:19], v[28:29]
	v_fmac_f64_e32 v[28:29], v[38:39], v[50:51]
	v_mov_b64_e32 v[50:51], 0x3ec71de3796cde01
	s_delay_alu instid0(VALU_DEP_2) | instskip(SKIP_1) | instid1(VALU_DEP_1)
	v_add_f64_e32 v[28:29], v[36:37], v[28:29]
	v_mov_b64_e32 v[36:37], 0xbe5ae600b42fdfa7
	v_fmamk_f64 v[38:39], v[26:27], 0x3de5e0b2f9a43bb8, v[36:37]
	s_delay_alu instid0(VALU_DEP_1) | instskip(NEXT) | instid1(VALU_DEP_1)
	v_fmaak_f64 v[38:39], v[26:27], v[38:39], 0x3ec71de3796cde01
	v_fmaak_f64 v[38:39], v[26:27], v[38:39], 0xbf2a01a019e83e5c
	s_delay_alu instid0(VALU_DEP_1) | instskip(NEXT) | instid1(VALU_DEP_1)
	v_fmaak_f64 v[38:39], v[26:27], v[38:39], 0x3f81111111110bb3
	v_fmac_f64_e32 v[82:83], v[80:81], v[38:39]
	s_delay_alu instid0(VALU_DEP_1) | instskip(NEXT) | instid1(VALU_DEP_1)
	v_fma_f64 v[18:19], v[26:27], v[82:83], -v[18:19]
	v_fmac_f64_e32 v[18:19], 0xbfc5555555555555, v[80:81]
	s_delay_alu instid0(VALU_DEP_1) | instskip(SKIP_1) | instid1(VALU_DEP_1)
	v_add_f64_e64 v[12:13], v[12:13], -v[18:19]
	v_dual_lshlrev_b32 v15, 30, v15 :: v_dual_bitop2_b32 v18, 1, v15 bitop3:0x40
	v_cmp_eq_u32_e32 vcc_lo, 0, v18
	s_delay_alu instid0(VALU_DEP_2) | instskip(NEXT) | instid1(VALU_DEP_4)
	v_dual_cndmask_b32 v13, v29, v13, vcc_lo :: v_dual_bitop2_b32 v15, v15, v7 bitop3:0x14
	v_cndmask_b32_e32 v12, v28, v12, vcc_lo
	s_delay_alu instid0(VALU_DEP_2) | instskip(NEXT) | instid1(VALU_DEP_2)
	v_bitop3_b32 v13, v13, v15, 0x80000000 bitop3:0x78
	v_cndmask_b32_e64 v6, 0, v12, s0
	s_delay_alu instid0(VALU_DEP_2) | instskip(SKIP_1) | instid1(VALU_DEP_1)
	v_cndmask_b32_e64 v7, 0x7ff80000, v13, s0
	v_div_scale_f64 v[12:13], null, v[34:35], v[34:35], v[32:33]
	v_rcp_f64_e32 v[18:19], v[12:13]
	v_nop
	s_delay_alu instid0(TRANS32_DEP_1) | instskip(NEXT) | instid1(VALU_DEP_1)
	v_fma_f64 v[26:27], -v[12:13], v[18:19], 1.0
	v_fmac_f64_e32 v[18:19], v[18:19], v[26:27]
	s_delay_alu instid0(VALU_DEP_1) | instskip(NEXT) | instid1(VALU_DEP_1)
	v_fma_f64 v[26:27], -v[12:13], v[18:19], 1.0
	v_fmac_f64_e32 v[18:19], v[18:19], v[26:27]
	v_div_scale_f64 v[26:27], vcc_lo, v[32:33], v[34:35], v[32:33]
	s_delay_alu instid0(VALU_DEP_1) | instskip(NEXT) | instid1(VALU_DEP_1)
	v_mul_f64_e32 v[28:29], v[26:27], v[18:19]
	v_fma_f64 v[12:13], -v[12:13], v[28:29], v[26:27]
	s_delay_alu instid0(VALU_DEP_1) | instskip(SKIP_1) | instid1(VALU_DEP_2)
	v_div_fmas_f64 v[12:13], v[12:13], v[18:19], v[28:29]
	v_mul_f64_e32 v[18:19], v[16:17], v[16:17]
	v_div_fixup_f64 v[12:13], v[12:13], v[34:35], v[32:33]
	s_delay_alu instid0(VALU_DEP_2) | instskip(SKIP_1) | instid1(VALU_DEP_3)
	v_fmac_f64_e32 v[48:49], 0xbda907db46cc5e42, v[18:19]
	v_fmac_f64_e32 v[36:37], 0x3de5e0b2f9a43bb8, v[18:19]
	v_mul_f64_e32 v[12:13], v[22:23], v[12:13]
	v_mul_f64_e32 v[22:23], 0.5, v[18:19]
	s_delay_alu instid0(VALU_DEP_4) | instskip(NEXT) | instid1(VALU_DEP_4)
	v_fmac_f64_e32 v[52:53], v[18:19], v[48:49]
	v_fmac_f64_e32 v[50:51], v[18:19], v[36:37]
	s_delay_alu instid0(VALU_DEP_3) | instskip(NEXT) | instid1(VALU_DEP_3)
	v_add_f64_e64 v[26:27], -v[22:23], 1.0
	v_fmac_f64_e32 v[54:55], v[18:19], v[52:53]
	s_delay_alu instid0(VALU_DEP_3) | instskip(NEXT) | instid1(VALU_DEP_3)
	v_fmac_f64_e32 v[68:69], v[18:19], v[50:51]
	v_add_f64_e64 v[28:29], -v[26:27], 1.0
	s_delay_alu instid0(VALU_DEP_3) | instskip(NEXT) | instid1(VALU_DEP_3)
	v_fmac_f64_e32 v[64:65], v[18:19], v[54:55]
	v_fmac_f64_e32 v[70:71], v[18:19], v[68:69]
	s_delay_alu instid0(VALU_DEP_3) | instskip(SKIP_1) | instid1(VALU_DEP_4)
	v_add_f64_e64 v[22:23], v[28:29], -v[22:23]
	v_mul_f64_e32 v[28:29], v[18:19], v[18:19]
	v_fmac_f64_e32 v[66:67], v[18:19], v[64:65]
	s_delay_alu instid0(VALU_DEP_3) | instskip(NEXT) | instid1(VALU_DEP_1)
	v_fma_f64 v[22:23], v[16:17], -v[20:21], v[22:23]
	v_fmac_f64_e32 v[22:23], v[28:29], v[66:67]
	v_mul_f64_e32 v[28:29], 0.5, v[20:21]
	s_delay_alu instid0(VALU_DEP_2) | instskip(SKIP_1) | instid1(VALU_DEP_1)
	v_add_f64_e32 v[22:23], v[26:27], v[22:23]
	v_mul_f64_e64 v[26:27], v[16:17], -v[18:19]
	v_fmac_f64_e32 v[28:29], v[26:27], v[70:71]
	s_delay_alu instid0(VALU_DEP_1) | instskip(NEXT) | instid1(VALU_DEP_1)
	v_fma_f64 v[18:19], v[18:19], v[28:29], -v[20:21]
	v_fmac_f64_e32 v[18:19], 0xbfc5555555555555, v[26:27]
	s_delay_alu instid0(VALU_DEP_1) | instskip(NEXT) | instid1(VALU_DEP_1)
	v_add_f64_e64 v[16:17], v[16:17], -v[18:19]
	v_xor_b32_e32 v15, 0x80000000, v17
	v_and_b32_e32 v17, 1, v30
	s_delay_alu instid0(VALU_DEP_1) | instskip(NEXT) | instid1(VALU_DEP_3)
	v_cmp_eq_u32_e32 vcc_lo, 0, v17
	v_dual_lshlrev_b32 v17, 30, v30 :: v_dual_cndmask_b32 v15, v15, v23, vcc_lo
	v_cndmask_b32_e32 v16, v16, v22, vcc_lo
	v_cmp_gt_f64_e32 vcc_lo, 0x10000000, v[8:9]
	s_delay_alu instid0(VALU_DEP_3) | instskip(NEXT) | instid1(VALU_DEP_3)
	v_bitop3_b32 v15, v15, v17, 0x80000000 bitop3:0x78
	v_cndmask_b32_e64 v16, 0, v16, s0
	s_delay_alu instid0(VALU_DEP_2) | instskip(NEXT) | instid1(VALU_DEP_1)
	v_cndmask_b32_e64 v17, 0x7ff80000, v15, s0
	v_mul_f64_e32 v[12:13], v[12:13], v[16:17]
	s_delay_alu instid0(VALU_DEP_1) | instskip(NEXT) | instid1(VALU_DEP_1)
	v_fmac_f64_e32 v[12:13], v[24:25], v[6:7]
	v_mul_f64_e32 v[6:7], 0x3fe9884533d43651, v[12:13]
	v_cndmask_b32_e64 v12, 0, 0x100, vcc_lo
	s_delay_alu instid0(VALU_DEP_1) | instskip(NEXT) | instid1(VALU_DEP_1)
	v_ldexp_f64 v[8:9], v[8:9], v12
	v_rsq_f64_e32 v[12:13], v[8:9]
	v_nop
	s_delay_alu instid0(TRANS32_DEP_1) | instskip(SKIP_1) | instid1(VALU_DEP_1)
	v_mul_f64_e32 v[16:17], v[8:9], v[12:13]
	v_mul_f64_e32 v[12:13], 0.5, v[12:13]
	v_fma_f64 v[18:19], -v[12:13], v[16:17], 0.5
	s_delay_alu instid0(VALU_DEP_1) | instskip(SKIP_1) | instid1(VALU_DEP_2)
	v_fmac_f64_e32 v[16:17], v[16:17], v[18:19]
	v_fmac_f64_e32 v[12:13], v[12:13], v[18:19]
	v_fma_f64 v[20:21], -v[16:17], v[16:17], v[8:9]
	s_delay_alu instid0(VALU_DEP_1) | instskip(NEXT) | instid1(VALU_DEP_1)
	v_fmac_f64_e32 v[16:17], v[20:21], v[12:13]
	v_fma_f64 v[18:19], -v[16:17], v[16:17], v[8:9]
	s_delay_alu instid0(VALU_DEP_1) | instskip(SKIP_2) | instid1(VALU_DEP_2)
	v_fmac_f64_e32 v[16:17], v[18:19], v[12:13]
	v_cndmask_b32_e64 v12, 0, 0xffffff80, vcc_lo
	v_cmp_class_f64_e64 vcc_lo, v[8:9], 0x260
	v_ldexp_f64 v[12:13], v[16:17], v12
	s_delay_alu instid0(VALU_DEP_1) | instskip(NEXT) | instid1(VALU_DEP_1)
	v_dual_cndmask_b32 v9, v13, v9 :: v_dual_cndmask_b32 v8, v12, v8
	v_div_scale_f64 v[12:13], null, v[8:9], v[8:9], v[6:7]
	s_delay_alu instid0(VALU_DEP_1) | instskip(SKIP_1) | instid1(TRANS32_DEP_1)
	v_rcp_f64_e32 v[16:17], v[12:13]
	v_nop
	v_fma_f64 v[18:19], -v[12:13], v[16:17], 1.0
	s_delay_alu instid0(VALU_DEP_1) | instskip(NEXT) | instid1(VALU_DEP_1)
	v_fmac_f64_e32 v[16:17], v[16:17], v[18:19]
	v_fma_f64 v[18:19], -v[12:13], v[16:17], 1.0
	s_delay_alu instid0(VALU_DEP_1) | instskip(SKIP_1) | instid1(VALU_DEP_1)
	v_fmac_f64_e32 v[16:17], v[16:17], v[18:19]
	v_div_scale_f64 v[18:19], vcc_lo, v[6:7], v[8:9], v[6:7]
	v_mul_f64_e32 v[20:21], v[18:19], v[16:17]
	s_delay_alu instid0(VALU_DEP_1) | instskip(NEXT) | instid1(VALU_DEP_1)
	v_fma_f64 v[12:13], -v[12:13], v[20:21], v[18:19]
	v_div_fmas_f64 v[12:13], v[12:13], v[16:17], v[20:21]
	s_delay_alu instid0(VALU_DEP_1)
	v_div_fixup_f64 v[6:7], v[12:13], v[8:9], v[6:7]
.LBB1_16:
	s_or_b32 exec_lo, exec_lo, s1
	s_delay_alu instid0(SALU_CYCLE_1)
	s_mov_b32 s0, exec_lo
	v_cmpx_ge_f64_e32 0x40140000, v[10:11]
	s_xor_b32 s1, exec_lo, s0
	s_cbranch_execz .LBB1_22
; %bb.17:
	v_mov_b64_e32 v[8:9], 0xfff0000000000000
	s_mov_b32 s4, exec_lo
	v_cmpx_neq_f64_e32 0, v[10:11]
	s_cbranch_execz .LBB1_21
; %bb.18:
	v_mov_b64_e32 v[8:9], 0x7ff8000000000000
	s_mov_b32 s5, exec_lo
	v_cmpx_nge_f64_e32 0, v[10:11]
	s_cbranch_execz .LBB1_20
; %bb.19:
	v_frexp_mant_f64_e32 v[8:9], v[10:11]
	s_mov_b64 s[6:7], 0x3fe5555555555555
	v_frexp_exp_i32_f64_e32 v15, v[10:11]
	s_delay_alu instid0(VALU_DEP_2) | instskip(SKIP_2) | instid1(VALU_DEP_3)
	v_cmp_gt_f64_e32 vcc_lo, s[6:7], v[8:9]
	s_mov_b64 s[6:7], 0x3fc3ab76bf559e2b
	v_cndmask_b32_e64 v12, 0, 1, vcc_lo
	v_subrev_co_ci_u32_e64 v15, null, 0, v15, vcc_lo
	s_delay_alu instid0(VALU_DEP_2) | instskip(NEXT) | instid1(VALU_DEP_1)
	v_ldexp_f64 v[8:9], v[8:9], v12
	v_add_f64_e32 v[12:13], 1.0, v[8:9]
	v_add_f64_e32 v[20:21], -1.0, v[8:9]
	s_delay_alu instid0(VALU_DEP_2) | instskip(SKIP_1) | instid1(VALU_DEP_1)
	v_rcp_f64_e32 v[16:17], v[12:13]
	v_add_f64_e32 v[22:23], -1.0, v[12:13]
	v_add_f64_e64 v[8:9], v[8:9], -v[22:23]
	s_delay_alu instid0(TRANS32_DEP_1) | instskip(NEXT) | instid1(VALU_DEP_1)
	v_fma_f64 v[18:19], -v[12:13], v[16:17], 1.0
	v_fmac_f64_e32 v[16:17], v[18:19], v[16:17]
	s_delay_alu instid0(VALU_DEP_1) | instskip(NEXT) | instid1(VALU_DEP_1)
	v_fma_f64 v[18:19], -v[12:13], v[16:17], 1.0
	v_fmac_f64_e32 v[16:17], v[18:19], v[16:17]
	s_delay_alu instid0(VALU_DEP_1) | instskip(NEXT) | instid1(VALU_DEP_1)
	v_mul_f64_e32 v[18:19], v[20:21], v[16:17]
	v_mul_f64_e32 v[24:25], v[12:13], v[18:19]
	s_delay_alu instid0(VALU_DEP_1) | instskip(NEXT) | instid1(VALU_DEP_1)
	v_fma_f64 v[12:13], v[18:19], v[12:13], -v[24:25]
	v_fmac_f64_e32 v[12:13], v[18:19], v[8:9]
	s_delay_alu instid0(VALU_DEP_1) | instskip(NEXT) | instid1(VALU_DEP_1)
	v_add_f64_e32 v[8:9], v[24:25], v[12:13]
	v_add_f64_e64 v[22:23], v[20:21], -v[8:9]
	v_add_f64_e64 v[24:25], v[8:9], -v[24:25]
	s_delay_alu instid0(VALU_DEP_2) | instskip(NEXT) | instid1(VALU_DEP_2)
	v_add_f64_e64 v[20:21], v[20:21], -v[22:23]
	v_add_f64_e64 v[12:13], v[24:25], -v[12:13]
	v_cvt_f64_i32_e32 v[24:25], v15
	s_delay_alu instid0(VALU_DEP_3) | instskip(NEXT) | instid1(VALU_DEP_2)
	v_add_f64_e64 v[8:9], v[20:21], -v[8:9]
	v_mul_f64_e32 v[30:31], 0x3fe62e42fefa39ef, v[24:25]
	s_delay_alu instid0(VALU_DEP_2) | instskip(NEXT) | instid1(VALU_DEP_1)
	v_add_f64_e32 v[8:9], v[12:13], v[8:9]
	v_add_f64_e32 v[8:9], v[22:23], v[8:9]
	s_delay_alu instid0(VALU_DEP_1) | instskip(NEXT) | instid1(VALU_DEP_1)
	v_mul_f64_e32 v[8:9], v[16:17], v[8:9]
	v_add_f64_e32 v[12:13], v[18:19], v[8:9]
	s_delay_alu instid0(VALU_DEP_1) | instskip(NEXT) | instid1(VALU_DEP_1)
	v_mul_f64_e32 v[16:17], v[12:13], v[12:13]
	v_fmaak_f64 v[20:21], s[6:7], v[16:17], 0x3fc385386b47b09a
	v_mul_f64_e32 v[22:23], v[12:13], v[16:17]
	s_mov_b64 s[6:7], 0x3fe62e42fefa39ef
	s_delay_alu instid0(SALU_CYCLE_1) | instskip(NEXT) | instid1(VALU_DEP_3)
	v_fma_f64 v[34:35], v[24:25], s[6:7], -v[30:31]
	v_fmaak_f64 v[20:21], v[16:17], v[20:21], 0x3fc7474dd7f4df2e
	s_delay_alu instid0(VALU_DEP_1) | instskip(NEXT) | instid1(VALU_DEP_1)
	v_fmaak_f64 v[20:21], v[16:17], v[20:21], 0x3fcc71c016291751
	v_fmaak_f64 v[20:21], v[16:17], v[20:21], 0x3fd249249b27acf1
	s_delay_alu instid0(VALU_DEP_1) | instskip(NEXT) | instid1(VALU_DEP_1)
	v_fmaak_f64 v[20:21], v[16:17], v[20:21], 0x3fd99999998ef7b6
	v_fmaak_f64 v[16:17], v[16:17], v[20:21], 0x3fe5555555555780
	v_ldexp_f64 v[20:21], v[12:13], 1
	v_add_f64_e64 v[12:13], v[12:13], -v[18:19]
	v_fmamk_f64 v[24:25], v[24:25], 0x3c7abc9e3b39803f, v[34:35]
	s_delay_alu instid0(VALU_DEP_4) | instskip(SKIP_1) | instid1(VALU_DEP_3)
	v_mul_f64_e32 v[16:17], v[22:23], v[16:17]
	v_mul_f64_e32 v[22:23], v[10:11], v[10:11]
	v_add_f64_e32 v[34:35], v[30:31], v[24:25]
	v_add_f64_e64 v[8:9], v[8:9], -v[12:13]
	s_delay_alu instid0(VALU_DEP_4) | instskip(NEXT) | instid1(VALU_DEP_4)
	v_add_f64_e32 v[18:19], v[20:21], v[16:17]
	v_fmaak_f64 v[26:27], 0, v[22:23], 0x40829269a93f7ac2
	v_fmaak_f64 v[28:29], 0, v[22:23], 0x408366b11b7086e7
	;; [unrolled: 1-line block ×3, first 2 shown]
	v_add_f64_e64 v[30:31], v[34:35], -v[30:31]
	v_ldexp_f64 v[8:9], v[8:9], 1
	v_add_f64_e64 v[12:13], v[18:19], -v[20:21]
	v_fmaak_f64 v[20:21], v[22:23], v[26:27], 0x410cc160be58ef7f
	v_fmaak_f64 v[26:27], v[22:23], v[28:29], 0x410f5eda0dd701b2
	;; [unrolled: 1-line block ×3, first 2 shown]
	v_add_f64_e64 v[24:25], v[24:25], -v[30:31]
	s_delay_alu instid0(VALU_DEP_4) | instskip(NEXT) | instid1(VALU_DEP_4)
	v_fmaak_f64 v[20:21], v[22:23], v[20:21], 0x419184efa9c8acee
	v_fmaak_f64 v[26:27], v[22:23], v[26:27], 0x4193e954dc92a1b1
	s_delay_alu instid0(VALU_DEP_4) | instskip(NEXT) | instid1(VALU_DEP_3)
	v_fmaak_f64 v[28:29], v[22:23], v[28:29], 0xc262d72d58836521
	v_fmaak_f64 v[20:21], v[22:23], v[20:21], 0x421178c3906b7b83
	s_delay_alu instid0(VALU_DEP_3) | instskip(NEXT) | instid1(VALU_DEP_3)
	v_fmaak_f64 v[26:27], v[22:23], v[26:27], 0x4214a13f7befeac1
	v_fmaak_f64 v[28:29], v[22:23], v[28:29], 0x42da0954b0910fef
	s_delay_alu instid0(VALU_DEP_3) | instskip(NEXT) | instid1(VALU_DEP_3)
	;; [unrolled: 3-line block ×4, first 2 shown]
	v_fmaak_f64 v[26:27], v[22:23], v[26:27], 0x43064b0a3eccf45f
	v_fmaak_f64 v[28:29], v[22:23], v[28:29], 0x438679ad0b7366b1
	v_add_f64_e64 v[12:13], v[16:17], -v[12:13]
	v_fmaak_f64 v[16:17], v[22:23], v[32:33], 0x425a52ba0d438c6b
	v_fmaak_f64 v[20:21], v[22:23], v[20:21], 0x436e83e3c547a488
	;; [unrolled: 1-line block ×4, first 2 shown]
	s_delay_alu instid0(VALU_DEP_4) | instskip(NEXT) | instid1(VALU_DEP_4)
	v_fmaak_f64 v[16:17], v[22:23], v[16:17], 0xc2d08a92e6ccf175
	v_fmaak_f64 v[20:21], v[22:23], v[20:21], 0x43cb90f190f6747f
	s_delay_alu instid0(VALU_DEP_2) | instskip(SKIP_1) | instid1(VALU_DEP_3)
	v_fmaak_f64 v[16:17], v[22:23], v[16:17], 0x432a2b42a697c482
	v_fmaak_f64 v[22:23], v[22:23], v[26:27], 0x43d2779576702939
	v_div_scale_f64 v[26:27], null, v[20:21], v[20:21], v[28:29]
	v_div_scale_f64 v[70:71], vcc_lo, v[28:29], v[20:21], v[28:29]
	s_delay_alu instid0(VALU_DEP_3) | instskip(SKIP_1) | instid1(VALU_DEP_4)
	v_div_scale_f64 v[32:33], null, v[22:23], v[22:23], v[16:17]
	v_add_f64_e32 v[8:9], v[8:9], v[12:13]
	v_rcp_f64_e32 v[12:13], v[26:27]
	s_delay_alu instid0(VALU_DEP_2) | instskip(NEXT) | instid1(VALU_DEP_1)
	v_rcp_f64_e32 v[36:37], v[32:33]
	v_add_f64_e32 v[38:39], v[18:19], v[8:9]
	s_delay_alu instid0(TRANS32_DEP_2) | instskip(NEXT) | instid1(TRANS32_DEP_1)
	v_fma_f64 v[48:49], -v[26:27], v[12:13], 1.0
	v_fma_f64 v[50:51], -v[32:33], v[36:37], 1.0
	s_delay_alu instid0(VALU_DEP_3) | instskip(SKIP_1) | instid1(VALU_DEP_4)
	v_add_f64_e32 v[52:53], v[34:35], v[38:39]
	v_add_f64_e64 v[18:19], v[38:39], -v[18:19]
	v_fmac_f64_e32 v[12:13], v[12:13], v[48:49]
	v_div_scale_f64 v[48:49], null, v[10:11], v[10:11], -1.0
	v_fmac_f64_e32 v[36:37], v[36:37], v[50:51]
	v_add_f64_e64 v[50:51], v[52:53], -v[34:35]
	v_add_f64_e64 v[8:9], v[8:9], -v[18:19]
	v_fma_f64 v[54:55], -v[26:27], v[12:13], 1.0
	v_rcp_f64_e32 v[64:65], v[48:49]
	s_delay_alu instid0(VALU_DEP_4) | instskip(NEXT) | instid1(VALU_DEP_4)
	v_fma_f64 v[66:67], -v[32:33], v[36:37], 1.0
	v_add_f64_e64 v[68:69], v[52:53], -v[50:51]
	v_add_f64_e64 v[18:19], v[38:39], -v[50:51]
	s_delay_alu instid0(VALU_DEP_4) | instskip(SKIP_4) | instid1(TRANS32_DEP_1)
	v_fmac_f64_e32 v[12:13], v[12:13], v[54:55]
	v_div_scale_f64 v[54:55], s0, v[16:17], v[22:23], v[16:17]
	v_fmac_f64_e32 v[36:37], v[36:37], v[66:67]
	v_add_f64_e32 v[66:67], v[24:25], v[8:9]
	v_add_f64_e64 v[30:31], v[34:35], -v[68:69]
	v_fma_f64 v[34:35], -v[48:49], v[64:65], 1.0
	v_mul_f64_e32 v[38:39], v[70:71], v[12:13]
	v_mul_f64_e32 v[50:51], v[54:55], v[36:37]
	s_delay_alu instid0(VALU_DEP_4) | instskip(NEXT) | instid1(VALU_DEP_4)
	v_add_f64_e32 v[18:19], v[18:19], v[30:31]
	v_fmac_f64_e32 v[64:65], v[64:65], v[34:35]
	s_delay_alu instid0(VALU_DEP_4) | instskip(NEXT) | instid1(VALU_DEP_4)
	v_fma_f64 v[26:27], -v[26:27], v[38:39], v[70:71]
	v_fma_f64 v[30:31], -v[32:33], v[50:51], v[54:55]
	v_add_f64_e64 v[32:33], v[66:67], -v[24:25]
	v_add_f64_e32 v[18:19], v[66:67], v[18:19]
	v_fma_f64 v[34:35], -v[48:49], v[64:65], 1.0
	v_div_fmas_f64 v[12:13], v[26:27], v[12:13], v[38:39]
	s_mov_b32 vcc_lo, s0
	v_div_fmas_f64 v[26:27], v[30:31], v[36:37], v[50:51]
	v_add_f64_e64 v[30:31], v[66:67], -v[32:33]
	v_div_scale_f64 v[38:39], vcc_lo, -1.0, v[10:11], -1.0
	v_add_f64_e32 v[36:37], v[52:53], v[18:19]
	v_fmac_f64_e32 v[64:65], v[64:65], v[34:35]
	v_add_f64_e64 v[8:9], v[8:9], -v[32:33]
	v_div_fixup_f64 v[12:13], v[12:13], v[20:21], v[28:29]
	v_div_fixup_f64 v[16:17], v[26:27], v[22:23], v[16:17]
	v_add_f64_e64 v[22:23], v[24:25], -v[30:31]
	v_add_f64_e64 v[24:25], v[36:37], -v[52:53]
	v_mul_f64_e32 v[26:27], v[38:39], v[64:65]
	s_delay_alu instid0(VALU_DEP_4) | instskip(NEXT) | instid1(VALU_DEP_4)
	v_mul_f64_e32 v[16:17], v[10:11], v[16:17]
	v_add_f64_e32 v[8:9], v[8:9], v[22:23]
	s_delay_alu instid0(VALU_DEP_4) | instskip(NEXT) | instid1(VALU_DEP_4)
	v_add_f64_e64 v[18:19], v[18:19], -v[24:25]
	v_fma_f64 v[22:23], -v[48:49], v[26:27], v[38:39]
	v_fmaak_f64 v[24:25], v[10:11], v[10:11], 0xc02d5d2b4189822c
	s_delay_alu instid0(VALU_DEP_1) | instskip(NEXT) | instid1(VALU_DEP_4)
	v_mul_f64_e32 v[16:17], v[24:25], v[16:17]
	v_add_f64_e32 v[8:9], v[8:9], v[18:19]
	s_delay_alu instid0(VALU_DEP_4) | instskip(SKIP_1) | instid1(VALU_DEP_1)
	v_div_fmas_f64 v[18:19], v[22:23], v[64:65], v[26:27]
	v_fmaak_f64 v[22:23], v[10:11], v[10:11], 0xc0489bf66072a432
	v_mul_f64_e32 v[16:17], v[22:23], v[16:17]
	s_delay_alu instid0(VALU_DEP_4) | instskip(NEXT) | instid1(VALU_DEP_4)
	v_add_f64_e32 v[8:9], v[36:37], v[8:9]
	v_div_fixup_f64 v[18:19], v[18:19], v[10:11], -1.0
	s_delay_alu instid0(VALU_DEP_1) | instskip(NEXT) | instid1(VALU_DEP_1)
	v_fmac_f64_e32 v[18:19], v[16:17], v[8:9]
	v_mul_f64_e32 v[8:9], 0x3fe45f306dc9c883, v[18:19]
	s_delay_alu instid0(VALU_DEP_1)
	v_fmac_f64_e32 v[8:9], v[10:11], v[12:13]
.LBB1_20:
	s_or_b32 exec_lo, exec_lo, s5
.LBB1_21:
	s_delay_alu instid0(SALU_CYCLE_1)
	s_or_b32 exec_lo, exec_lo, s4
                                        ; implicit-def: $vgpr10_vgpr11
.LBB1_22:
	s_and_not1_saveexec_b32 s1, s1
	s_cbranch_execz .LBB1_32
; %bb.23:
	v_add_f64_e32 v[8:9], 0xc002d97c7f3321d2, v[10:11]
                                        ; implicit-def: $vgpr15
                                        ; implicit-def: $vgpr12_vgpr13
                                        ; implicit-def: $vgpr18_vgpr19
	s_delay_alu instid0(VALU_DEP_1)
	v_cmp_ngt_f64_e64 s0, 0x41d00000, |v[8:9]|
	v_trig_preop_f64 v[26:27], |v[8:9]|, 0
	v_trig_preop_f64 v[24:25], |v[8:9]|, 1
	v_ldexp_f64 v[28:29], |v[8:9]|, 0xffffff80
	v_trig_preop_f64 v[22:23], |v[8:9]|, 2
	v_and_b32_e32 v31, 0x7fffffff, v9
	s_and_saveexec_b32 s4, s0
	s_delay_alu instid0(SALU_CYCLE_1)
	s_xor_b32 s4, exec_lo, s4
	s_cbranch_execz .LBB1_25
; %bb.24:
	v_cmp_le_f64_e64 vcc_lo, 0x7b000000, |v[8:9]|
	s_mov_b64 s[6:7], 0x3ff921fb54442d18
	v_dual_mov_b32 v52, 0 :: v_dual_cndmask_b32 v13, v31, v29
	v_cndmask_b32_e32 v12, v8, v28, vcc_lo
	s_delay_alu instid0(VALU_DEP_1) | instskip(SKIP_2) | instid1(VALU_DEP_3)
	v_mul_f64_e32 v[16:17], v[26:27], v[12:13]
	v_mul_f64_e32 v[18:19], v[24:25], v[12:13]
	;; [unrolled: 1-line block ×3, first 2 shown]
	v_fma_f64 v[20:21], v[26:27], v[12:13], -v[16:17]
	s_delay_alu instid0(VALU_DEP_3) | instskip(NEXT) | instid1(VALU_DEP_3)
	v_fma_f64 v[50:51], v[24:25], v[12:13], -v[18:19]
	v_fma_f64 v[12:13], v[22:23], v[12:13], -v[48:49]
	s_delay_alu instid0(VALU_DEP_3) | instskip(NEXT) | instid1(VALU_DEP_1)
	v_add_f64_e32 v[32:33], v[18:19], v[20:21]
	v_add_f64_e64 v[34:35], v[32:33], -v[18:19]
	v_add_f64_e32 v[38:39], v[16:17], v[32:33]
	s_delay_alu instid0(VALU_DEP_2) | instskip(SKIP_1) | instid1(VALU_DEP_3)
	v_add_f64_e64 v[36:37], v[32:33], -v[34:35]
	v_add_f64_e64 v[20:21], v[20:21], -v[34:35]
	v_ldexp_f64 v[34:35], v[38:39], -2
	v_add_f64_e64 v[16:17], v[38:39], -v[16:17]
	s_delay_alu instid0(VALU_DEP_4) | instskip(SKIP_1) | instid1(VALU_DEP_4)
	v_add_f64_e64 v[18:19], v[18:19], -v[36:37]
	v_add_f64_e32 v[36:37], v[48:49], v[50:51]
	v_cmp_neq_f64_e64 vcc_lo, 0x7ff00000, |v[34:35]|
	s_delay_alu instid0(VALU_DEP_4) | instskip(NEXT) | instid1(VALU_DEP_4)
	v_add_f64_e64 v[16:17], v[32:33], -v[16:17]
	v_add_f64_e32 v[18:19], v[20:21], v[18:19]
	v_fract_f64_e32 v[20:21], v[34:35]
	s_delay_alu instid0(VALU_DEP_2) | instskip(NEXT) | instid1(VALU_DEP_2)
	v_add_f64_e32 v[32:33], v[36:37], v[18:19]
	v_ldexp_f64 v[20:21], v[20:21], 2
	s_delay_alu instid0(VALU_DEP_2) | instskip(NEXT) | instid1(VALU_DEP_2)
	v_add_f64_e32 v[34:35], v[16:17], v[32:33]
	v_dual_cndmask_b32 v21, 0, v21 :: v_dual_cndmask_b32 v20, 0, v20
	v_add_f64_e64 v[54:55], v[32:33], -v[36:37]
	s_delay_alu instid0(VALU_DEP_2) | instskip(SKIP_1) | instid1(VALU_DEP_3)
	v_add_f64_e32 v[38:39], v[34:35], v[20:21]
	v_add_f64_e64 v[16:17], v[34:35], -v[16:17]
	v_add_f64_e64 v[68:69], v[32:33], -v[54:55]
	;; [unrolled: 1-line block ×3, first 2 shown]
	s_delay_alu instid0(VALU_DEP_4) | instskip(SKIP_3) | instid1(VALU_DEP_3)
	v_cmp_gt_f64_e32 vcc_lo, 0, v[38:39]
	v_add_f64_e64 v[38:39], v[36:37], -v[48:49]
	v_add_f64_e64 v[16:17], v[32:33], -v[16:17]
	v_cndmask_b32_e64 v53, 0, 0x40100000, vcc_lo
	v_add_f64_e64 v[66:67], v[36:37], -v[38:39]
	v_add_f64_e64 v[38:39], v[50:51], -v[38:39]
	;; [unrolled: 1-line block ×3, first 2 shown]
	s_delay_alu instid0(VALU_DEP_4) | instskip(NEXT) | instid1(VALU_DEP_4)
	v_add_f64_e32 v[20:21], v[20:21], v[52:53]
	v_add_f64_e64 v[50:51], v[48:49], -v[66:67]
	s_delay_alu instid0(VALU_DEP_3) | instskip(NEXT) | instid1(VALU_DEP_3)
	v_add_f64_e32 v[18:19], v[18:19], v[36:37]
	v_add_f64_e32 v[64:65], v[34:35], v[20:21]
	s_delay_alu instid0(VALU_DEP_3) | instskip(NEXT) | instid1(VALU_DEP_2)
	v_add_f64_e32 v[38:39], v[38:39], v[50:51]
	v_cvt_i32_f64_e32 v15, v[64:65]
	s_delay_alu instid0(VALU_DEP_2) | instskip(NEXT) | instid1(VALU_DEP_2)
	v_add_f64_e32 v[18:19], v[38:39], v[18:19]
	v_cvt_f64_i32_e32 v[54:55], v15
	s_delay_alu instid0(VALU_DEP_2) | instskip(NEXT) | instid1(VALU_DEP_2)
	v_add_f64_e32 v[12:13], v[12:13], v[18:19]
	v_add_f64_e64 v[20:21], v[20:21], -v[54:55]
	s_delay_alu instid0(VALU_DEP_2) | instskip(NEXT) | instid1(VALU_DEP_2)
	v_add_f64_e32 v[12:13], v[16:17], v[12:13]
	v_add_f64_e32 v[36:37], v[34:35], v[20:21]
	s_delay_alu instid0(VALU_DEP_1) | instskip(SKIP_1) | instid1(VALU_DEP_2)
	v_add_f64_e64 v[18:19], v[36:37], -v[20:21]
	v_cmp_le_f64_e32 vcc_lo, 0.5, v[36:37]
	v_add_f64_e64 v[16:17], v[34:35], -v[18:19]
	v_cndmask_b32_e64 v53, 0, 0x3ff00000, vcc_lo
	v_add_co_ci_u32_e64 v15, null, 0, v15, vcc_lo
	s_delay_alu instid0(VALU_DEP_3) | instskip(NEXT) | instid1(VALU_DEP_3)
	v_add_f64_e32 v[12:13], v[12:13], v[16:17]
	v_add_f64_e64 v[16:17], v[36:37], -v[52:53]
	s_delay_alu instid0(VALU_DEP_1) | instskip(NEXT) | instid1(VALU_DEP_1)
	v_add_f64_e32 v[18:19], v[16:17], v[12:13]
	v_mul_f64_e32 v[20:21], 0x3ff921fb54442d18, v[18:19]
	v_add_f64_e64 v[16:17], v[18:19], -v[16:17]
	s_delay_alu instid0(VALU_DEP_2) | instskip(NEXT) | instid1(VALU_DEP_2)
	v_fma_f64 v[32:33], v[18:19], s[6:7], -v[20:21]
	v_add_f64_e64 v[12:13], v[12:13], -v[16:17]
	s_delay_alu instid0(VALU_DEP_2) | instskip(NEXT) | instid1(VALU_DEP_1)
	v_fmamk_f64 v[16:17], v[18:19], 0x3c91a62633145c07, v[32:33]
	v_fmac_f64_e32 v[16:17], 0x3ff921fb54442d18, v[12:13]
	s_delay_alu instid0(VALU_DEP_1) | instskip(NEXT) | instid1(VALU_DEP_1)
	v_add_f64_e32 v[12:13], v[20:21], v[16:17]
	v_add_f64_e64 v[18:19], v[12:13], -v[20:21]
	s_delay_alu instid0(VALU_DEP_1)
	v_add_f64_e64 v[18:19], v[16:17], -v[18:19]
	s_and_not1_saveexec_b32 s4, s4
	s_cbranch_execz .LBB1_27
	s_branch .LBB1_26
.LBB1_25:
	s_and_not1_saveexec_b32 s4, s4
	s_cbranch_execz .LBB1_27
.LBB1_26:
	s_mov_b64 s[6:7], 0x3fe45f306dc9c883
	s_delay_alu instid0(SALU_CYCLE_1) | instskip(SKIP_1) | instid1(VALU_DEP_1)
	v_mul_f64_e64 v[12:13], |v[8:9]|, s[6:7]
	s_mov_b64 s[6:7], 0xbff921fb54442d18
	v_rndne_f64_e32 v[16:17], v[12:13]
	s_delay_alu instid0(VALU_DEP_1) | instskip(SKIP_2) | instid1(VALU_DEP_3)
	v_fma_f64 v[12:13], v[16:17], s[6:7], |v[8:9]|
	v_mul_f64_e32 v[18:19], 0xbc91a62633145c00, v[16:17]
	v_cvt_i32_f64_e32 v15, v[16:17]
	v_fmamk_f64 v[34:35], v[16:17], 0xbc91a62633145c00, v[12:13]
	s_delay_alu instid0(VALU_DEP_3) | instskip(NEXT) | instid1(VALU_DEP_1)
	v_add_f64_e32 v[20:21], v[12:13], v[18:19]
	v_add_f64_e64 v[32:33], v[12:13], -v[20:21]
	s_delay_alu instid0(VALU_DEP_3) | instskip(NEXT) | instid1(VALU_DEP_2)
	v_add_f64_e64 v[12:13], v[20:21], -v[34:35]
	v_add_f64_e32 v[20:21], v[32:33], v[18:19]
	v_fmamk_f64 v[18:19], v[16:17], 0x3c91a62633145c00, v[18:19]
	s_delay_alu instid0(VALU_DEP_2) | instskip(NEXT) | instid1(VALU_DEP_1)
	v_add_f64_e32 v[12:13], v[12:13], v[20:21]
	v_add_f64_e64 v[12:13], v[12:13], -v[18:19]
	s_delay_alu instid0(VALU_DEP_1) | instskip(NEXT) | instid1(VALU_DEP_1)
	v_fmamk_f64 v[18:19], v[16:17], 0xb97b839a252049c0, v[12:13]
	v_add_f64_e32 v[12:13], v[34:35], v[18:19]
	s_delay_alu instid0(VALU_DEP_1) | instskip(NEXT) | instid1(VALU_DEP_1)
	v_add_f64_e64 v[20:21], v[12:13], -v[34:35]
	v_add_f64_e64 v[18:19], v[18:19], -v[20:21]
.LBB1_27:
	s_or_b32 exec_lo, exec_lo, s4
                                        ; implicit-def: $vgpr30
                                        ; implicit-def: $vgpr16_vgpr17
                                        ; implicit-def: $vgpr20_vgpr21
	s_and_saveexec_b32 s4, s0
	s_delay_alu instid0(SALU_CYCLE_1)
	s_xor_b32 s0, exec_lo, s4
	s_cbranch_execz .LBB1_29
; %bb.28:
	v_cmp_le_f64_e64 vcc_lo, 0x7b000000, |v[8:9]|
	s_mov_b64 s[4:5], 0x3ff921fb54442d18
	v_dual_mov_b32 v48, 0 :: v_dual_cndmask_b32 v17, v31, v29
	v_cndmask_b32_e32 v16, v8, v28, vcc_lo
	s_delay_alu instid0(VALU_DEP_1) | instskip(SKIP_2) | instid1(VALU_DEP_3)
	v_mul_f64_e32 v[20:21], v[26:27], v[16:17]
	v_mul_f64_e32 v[28:29], v[24:25], v[16:17]
	;; [unrolled: 1-line block ×3, first 2 shown]
	v_fma_f64 v[26:27], v[26:27], v[16:17], -v[20:21]
	s_delay_alu instid0(VALU_DEP_3) | instskip(NEXT) | instid1(VALU_DEP_3)
	v_fma_f64 v[24:25], v[24:25], v[16:17], -v[28:29]
	v_fma_f64 v[16:17], v[22:23], v[16:17], -v[38:39]
	s_delay_alu instid0(VALU_DEP_3) | instskip(NEXT) | instid1(VALU_DEP_1)
	v_add_f64_e32 v[30:31], v[28:29], v[26:27]
	v_add_f64_e64 v[32:33], v[30:31], -v[28:29]
	v_add_f64_e32 v[36:37], v[20:21], v[30:31]
	s_delay_alu instid0(VALU_DEP_2) | instskip(SKIP_1) | instid1(VALU_DEP_3)
	v_add_f64_e64 v[34:35], v[30:31], -v[32:33]
	v_add_f64_e64 v[26:27], v[26:27], -v[32:33]
	v_ldexp_f64 v[32:33], v[36:37], -2
	s_delay_alu instid0(VALU_DEP_3) | instskip(SKIP_1) | instid1(VALU_DEP_3)
	v_add_f64_e64 v[28:29], v[28:29], -v[34:35]
	v_add_f64_e32 v[34:35], v[38:39], v[24:25]
	v_cmp_neq_f64_e64 vcc_lo, 0x7ff00000, |v[32:33]|
	s_delay_alu instid0(VALU_DEP_3) | instskip(SKIP_1) | instid1(VALU_DEP_1)
	v_add_f64_e32 v[26:27], v[26:27], v[28:29]
	v_fract_f64_e32 v[28:29], v[32:33]
	v_ldexp_f64 v[28:29], v[28:29], 2
	s_delay_alu instid0(VALU_DEP_1) | instskip(SKIP_1) | instid1(VALU_DEP_3)
	v_cndmask_b32_e32 v28, 0, v28, vcc_lo
	v_add_f64_e64 v[20:21], v[36:37], -v[20:21]
	v_cndmask_b32_e32 v29, 0, v29, vcc_lo
	s_delay_alu instid0(VALU_DEP_2) | instskip(SKIP_1) | instid1(VALU_DEP_1)
	v_add_f64_e64 v[20:21], v[30:31], -v[20:21]
	v_add_f64_e32 v[30:31], v[34:35], v[26:27]
	v_add_f64_e32 v[32:33], v[20:21], v[30:31]
	v_add_f64_e64 v[50:51], v[30:31], -v[34:35]
	s_delay_alu instid0(VALU_DEP_2) | instskip(NEXT) | instid1(VALU_DEP_2)
	v_add_f64_e32 v[36:37], v[32:33], v[28:29]
	v_add_f64_e64 v[64:65], v[30:31], -v[50:51]
	v_add_f64_e64 v[26:27], v[26:27], -v[50:51]
	;; [unrolled: 1-line block ×3, first 2 shown]
	s_delay_alu instid0(VALU_DEP_4) | instskip(SKIP_1) | instid1(VALU_DEP_3)
	v_cmp_gt_f64_e32 vcc_lo, 0, v[36:37]
	v_add_f64_e64 v[36:37], v[34:35], -v[38:39]
	v_add_f64_e64 v[20:21], v[30:31], -v[20:21]
	v_cndmask_b32_e64 v49, 0, 0x40100000, vcc_lo
	s_delay_alu instid0(VALU_DEP_3) | instskip(SKIP_2) | instid1(VALU_DEP_4)
	v_add_f64_e64 v[54:55], v[34:35], -v[36:37]
	v_add_f64_e64 v[24:25], v[24:25], -v[36:37]
	;; [unrolled: 1-line block ×3, first 2 shown]
	v_add_f64_e32 v[28:29], v[28:29], v[48:49]
	s_delay_alu instid0(VALU_DEP_4) | instskip(NEXT) | instid1(VALU_DEP_3)
	v_add_f64_e64 v[36:37], v[38:39], -v[54:55]
	v_add_f64_e32 v[26:27], v[26:27], v[34:35]
	s_delay_alu instid0(VALU_DEP_3) | instskip(NEXT) | instid1(VALU_DEP_3)
	v_add_f64_e32 v[52:53], v[32:33], v[28:29]
	v_add_f64_e32 v[24:25], v[24:25], v[36:37]
	s_delay_alu instid0(VALU_DEP_2) | instskip(NEXT) | instid1(VALU_DEP_2)
	v_cvt_i32_f64_e32 v49, v[52:53]
	v_add_f64_e32 v[22:23], v[24:25], v[26:27]
	s_delay_alu instid0(VALU_DEP_2) | instskip(NEXT) | instid1(VALU_DEP_2)
	v_cvt_f64_i32_e32 v[50:51], v49
	v_add_f64_e32 v[16:17], v[16:17], v[22:23]
	s_delay_alu instid0(VALU_DEP_2) | instskip(NEXT) | instid1(VALU_DEP_2)
	v_add_f64_e64 v[28:29], v[28:29], -v[50:51]
	v_add_f64_e32 v[16:17], v[20:21], v[16:17]
	s_delay_alu instid0(VALU_DEP_2) | instskip(NEXT) | instid1(VALU_DEP_1)
	v_add_f64_e32 v[24:25], v[32:33], v[28:29]
	v_add_f64_e64 v[22:23], v[24:25], -v[28:29]
	v_cmp_le_f64_e32 vcc_lo, 0.5, v[24:25]
	s_delay_alu instid0(VALU_DEP_2) | instskip(SKIP_2) | instid1(VALU_DEP_3)
	v_add_f64_e64 v[20:21], v[32:33], -v[22:23]
	v_add_co_ci_u32_e64 v30, null, 0, v49, vcc_lo
	v_cndmask_b32_e64 v49, 0, 0x3ff00000, vcc_lo
	v_add_f64_e32 v[16:17], v[16:17], v[20:21]
	s_delay_alu instid0(VALU_DEP_2) | instskip(NEXT) | instid1(VALU_DEP_1)
	v_add_f64_e64 v[20:21], v[24:25], -v[48:49]
	v_add_f64_e32 v[22:23], v[20:21], v[16:17]
	s_delay_alu instid0(VALU_DEP_1) | instskip(SKIP_1) | instid1(VALU_DEP_2)
	v_mul_f64_e32 v[24:25], 0x3ff921fb54442d18, v[22:23]
	v_add_f64_e64 v[20:21], v[22:23], -v[20:21]
	v_fma_f64 v[26:27], v[22:23], s[4:5], -v[24:25]
	s_delay_alu instid0(VALU_DEP_2) | instskip(NEXT) | instid1(VALU_DEP_2)
	v_add_f64_e64 v[16:17], v[16:17], -v[20:21]
	v_fmamk_f64 v[20:21], v[22:23], 0x3c91a62633145c07, v[26:27]
	s_delay_alu instid0(VALU_DEP_1) | instskip(NEXT) | instid1(VALU_DEP_1)
	v_fmac_f64_e32 v[20:21], 0x3ff921fb54442d18, v[16:17]
	v_add_f64_e32 v[16:17], v[24:25], v[20:21]
	s_delay_alu instid0(VALU_DEP_1) | instskip(NEXT) | instid1(VALU_DEP_1)
	v_add_f64_e64 v[22:23], v[16:17], -v[24:25]
	v_add_f64_e64 v[20:21], v[20:21], -v[22:23]
	s_and_not1_saveexec_b32 s0, s0
	s_cbranch_execnz .LBB1_30
	s_branch .LBB1_31
.LBB1_29:
	s_and_not1_saveexec_b32 s0, s0
	s_cbranch_execz .LBB1_31
.LBB1_30:
	s_mov_b64 s[4:5], 0x3fe45f306dc9c883
	s_delay_alu instid0(SALU_CYCLE_1) | instskip(SKIP_1) | instid1(VALU_DEP_1)
	v_mul_f64_e64 v[16:17], |v[8:9]|, s[4:5]
	s_mov_b64 s[4:5], 0xbff921fb54442d18
	v_rndne_f64_e32 v[22:23], v[16:17]
	s_delay_alu instid0(VALU_DEP_1) | instskip(SKIP_2) | instid1(VALU_DEP_3)
	v_fma_f64 v[16:17], v[22:23], s[4:5], |v[8:9]|
	v_mul_f64_e32 v[20:21], 0xbc91a62633145c00, v[22:23]
	v_cvt_i32_f64_e32 v30, v[22:23]
	v_fmamk_f64 v[28:29], v[22:23], 0xbc91a62633145c00, v[16:17]
	s_delay_alu instid0(VALU_DEP_3) | instskip(NEXT) | instid1(VALU_DEP_1)
	v_add_f64_e32 v[24:25], v[16:17], v[20:21]
	v_add_f64_e64 v[26:27], v[16:17], -v[24:25]
	s_delay_alu instid0(VALU_DEP_3) | instskip(NEXT) | instid1(VALU_DEP_2)
	v_add_f64_e64 v[16:17], v[24:25], -v[28:29]
	v_add_f64_e32 v[24:25], v[26:27], v[20:21]
	v_fmamk_f64 v[20:21], v[22:23], 0x3c91a62633145c00, v[20:21]
	s_delay_alu instid0(VALU_DEP_2) | instskip(NEXT) | instid1(VALU_DEP_1)
	v_add_f64_e32 v[16:17], v[16:17], v[24:25]
	v_add_f64_e64 v[16:17], v[16:17], -v[20:21]
	s_delay_alu instid0(VALU_DEP_1) | instskip(NEXT) | instid1(VALU_DEP_1)
	v_fmamk_f64 v[20:21], v[22:23], 0xb97b839a252049c0, v[16:17]
	v_add_f64_e32 v[16:17], v[28:29], v[20:21]
	s_delay_alu instid0(VALU_DEP_1) | instskip(NEXT) | instid1(VALU_DEP_1)
	v_add_f64_e64 v[24:25], v[16:17], -v[28:29]
	v_add_f64_e64 v[20:21], v[20:21], -v[24:25]
.LBB1_31:
	s_or_b32 exec_lo, exec_lo, s0
	v_div_scale_f64 v[22:23], null, v[10:11], v[10:11], 0x40140000
	v_cmp_class_f64_e64 s0, v[8:9], 0x1f8
	s_delay_alu instid0(VALU_DEP_3)
	v_mul_f64_e32 v[82:83], 0.5, v[18:19]
	v_mov_b64_e32 v[52:53], 0xbe927e4fa17f65f6
	v_mov_b64_e32 v[54:55], 0x3efa01a019f4ec90
	;; [unrolled: 1-line block ×6, first 2 shown]
	v_rcp_f64_e32 v[24:25], v[22:23]
	v_nop
	s_delay_alu instid0(TRANS32_DEP_1) | instskip(NEXT) | instid1(VALU_DEP_1)
	v_fma_f64 v[26:27], -v[22:23], v[24:25], 1.0
	v_fmac_f64_e32 v[24:25], v[24:25], v[26:27]
	s_delay_alu instid0(VALU_DEP_1) | instskip(NEXT) | instid1(VALU_DEP_1)
	v_fma_f64 v[26:27], -v[22:23], v[24:25], 1.0
	v_fmac_f64_e32 v[24:25], v[24:25], v[26:27]
	v_div_scale_f64 v[26:27], vcc_lo, 0x40140000, v[10:11], 0x40140000
	s_delay_alu instid0(VALU_DEP_1) | instskip(NEXT) | instid1(VALU_DEP_1)
	v_mul_f64_e32 v[28:29], v[26:27], v[24:25]
	v_fma_f64 v[22:23], -v[22:23], v[28:29], v[26:27]
	s_delay_alu instid0(VALU_DEP_1) | instskip(NEXT) | instid1(VALU_DEP_1)
	v_div_fmas_f64 v[22:23], v[22:23], v[24:25], v[28:29]
	v_div_fixup_f64 v[22:23], v[22:23], v[10:11], 0x40140000
	s_delay_alu instid0(VALU_DEP_1) | instskip(NEXT) | instid1(VALU_DEP_1)
	v_mul_f64_e32 v[24:25], v[22:23], v[22:23]
	v_fmaak_f64 v[32:33], 0, v[24:25], 0x3faa27fa6b70ba40
	v_fmaak_f64 v[26:27], 0, v[24:25], 0x3f48f92c4c6c651b
	;; [unrolled: 1-line block ×4, first 2 shown]
	s_delay_alu instid0(VALU_DEP_4) | instskip(NEXT) | instid1(VALU_DEP_4)
	v_fmaak_f64 v[32:33], v[24:25], v[32:33], 0x4013edb5c66d8fd6
	v_fmaak_f64 v[26:27], v[24:25], v[26:27], 0x3fb2b948a3fec4b6
	s_delay_alu instid0(VALU_DEP_4) | instskip(NEXT) | instid1(VALU_DEP_4)
	v_fmaak_f64 v[28:29], v[24:25], v[28:29], 0x3fb19fdd5948aa83
	v_fmaak_f64 v[34:35], v[24:25], v[34:35], 0x409081cba20e5f6f
	;; [unrolled: 3-line block ×10, first 2 shown]
	s_delay_alu instid0(VALU_DEP_4) | instskip(NEXT) | instid1(VALU_DEP_3)
	v_fmaak_f64 v[32:33], v[24:25], v[32:33], 0x406a760a4c54bb0b
	v_fma_f64 v[28:29], v[24:25], v[28:29], 1.0
	s_delay_alu instid0(VALU_DEP_3) | instskip(NEXT) | instid1(VALU_DEP_3)
	v_fmaak_f64 v[34:35], v[24:25], v[34:35], 0x4075017f6ae75997
	v_fmaak_f64 v[32:33], v[24:25], v[32:33], 0x403934ff4d159eb5
	v_fma_f64 v[24:25], v[24:25], v[26:27], 1.0
	s_delay_alu instid0(VALU_DEP_1) | instskip(NEXT) | instid1(VALU_DEP_1)
	v_div_scale_f64 v[26:27], null, v[28:29], v[28:29], v[24:25]
	v_rcp_f64_e32 v[36:37], v[26:27]
	v_nop
	s_delay_alu instid0(TRANS32_DEP_1) | instskip(NEXT) | instid1(VALU_DEP_1)
	v_fma_f64 v[38:39], -v[26:27], v[36:37], 1.0
	v_fmac_f64_e32 v[36:37], v[36:37], v[38:39]
	s_delay_alu instid0(VALU_DEP_1) | instskip(NEXT) | instid1(VALU_DEP_1)
	v_fma_f64 v[38:39], -v[26:27], v[36:37], 1.0
	v_fmac_f64_e32 v[36:37], v[36:37], v[38:39]
	v_div_scale_f64 v[38:39], vcc_lo, v[24:25], v[28:29], v[24:25]
	s_delay_alu instid0(VALU_DEP_1) | instskip(NEXT) | instid1(VALU_DEP_1)
	v_mul_f64_e32 v[48:49], v[38:39], v[36:37]
	v_fma_f64 v[26:27], -v[26:27], v[48:49], v[38:39]
	s_delay_alu instid0(VALU_DEP_1) | instskip(SKIP_1) | instid1(VALU_DEP_2)
	v_div_fmas_f64 v[26:27], v[26:27], v[36:37], v[48:49]
	v_mov_b64_e32 v[48:49], 0x3e21eeb69037ab78
	v_div_fixup_f64 v[24:25], v[26:27], v[28:29], v[24:25]
	v_mul_f64_e32 v[26:27], v[12:13], v[12:13]
	s_delay_alu instid0(VALU_DEP_1) | instskip(NEXT) | instid1(VALU_DEP_4)
	v_mul_f64_e32 v[28:29], 0.5, v[26:27]
	v_fmamk_f64 v[50:51], v[26:27], 0xbda907db46cc5e42, v[48:49]
	v_mul_f64_e64 v[80:81], v[12:13], -v[26:27]
	s_delay_alu instid0(VALU_DEP_2) | instskip(NEXT) | instid1(VALU_DEP_1)
	v_fmaak_f64 v[50:51], v[26:27], v[50:51], 0xbe927e4fa17f65f6
	v_fmaak_f64 v[50:51], v[26:27], v[50:51], 0x3efa01a019f4ec90
	s_delay_alu instid0(VALU_DEP_1) | instskip(NEXT) | instid1(VALU_DEP_1)
	v_fmaak_f64 v[50:51], v[26:27], v[50:51], 0xbf56c16c16c16967
	v_fmaak_f64 v[50:51], v[26:27], v[50:51], 0x3fa5555555555555
	v_add_f64_e64 v[36:37], -v[28:29], 1.0
	s_delay_alu instid0(VALU_DEP_1) | instskip(NEXT) | instid1(VALU_DEP_1)
	v_add_f64_e64 v[38:39], -v[36:37], 1.0
	v_add_f64_e64 v[28:29], v[38:39], -v[28:29]
	v_mul_f64_e32 v[38:39], v[26:27], v[26:27]
	s_delay_alu instid0(VALU_DEP_2) | instskip(NEXT) | instid1(VALU_DEP_1)
	v_fma_f64 v[28:29], v[12:13], -v[18:19], v[28:29]
	v_fmac_f64_e32 v[28:29], v[38:39], v[50:51]
	v_mov_b64_e32 v[50:51], 0x3ec71de3796cde01
	s_delay_alu instid0(VALU_DEP_2) | instskip(SKIP_1) | instid1(VALU_DEP_1)
	v_add_f64_e32 v[28:29], v[36:37], v[28:29]
	v_mov_b64_e32 v[36:37], 0xbe5ae600b42fdfa7
	v_fmamk_f64 v[38:39], v[26:27], 0x3de5e0b2f9a43bb8, v[36:37]
	s_delay_alu instid0(VALU_DEP_1) | instskip(NEXT) | instid1(VALU_DEP_1)
	v_fmaak_f64 v[38:39], v[26:27], v[38:39], 0x3ec71de3796cde01
	v_fmaak_f64 v[38:39], v[26:27], v[38:39], 0xbf2a01a019e83e5c
	s_delay_alu instid0(VALU_DEP_1) | instskip(NEXT) | instid1(VALU_DEP_1)
	v_fmaak_f64 v[38:39], v[26:27], v[38:39], 0x3f81111111110bb3
	v_fmac_f64_e32 v[82:83], v[80:81], v[38:39]
	s_delay_alu instid0(VALU_DEP_1) | instskip(NEXT) | instid1(VALU_DEP_1)
	v_fma_f64 v[18:19], v[26:27], v[82:83], -v[18:19]
	v_fmac_f64_e32 v[18:19], 0xbfc5555555555555, v[80:81]
	s_delay_alu instid0(VALU_DEP_1) | instskip(SKIP_1) | instid1(VALU_DEP_1)
	v_add_f64_e64 v[12:13], v[12:13], -v[18:19]
	v_dual_lshlrev_b32 v15, 30, v15 :: v_dual_bitop2_b32 v18, 1, v15 bitop3:0x40
	v_cmp_eq_u32_e32 vcc_lo, 0, v18
	s_delay_alu instid0(VALU_DEP_2) | instskip(NEXT) | instid1(VALU_DEP_4)
	v_xor_b32_e32 v15, v15, v9
	v_dual_cndmask_b32 v13, v29, v13 :: v_dual_cndmask_b32 v12, v28, v12
	s_delay_alu instid0(VALU_DEP_1) | instskip(NEXT) | instid1(VALU_DEP_2)
	v_bitop3_b32 v13, v13, v15, 0x80000000 bitop3:0x78
	v_cndmask_b32_e64 v8, 0, v12, s0
	s_delay_alu instid0(VALU_DEP_2) | instskip(SKIP_1) | instid1(VALU_DEP_1)
	v_cndmask_b32_e64 v9, 0x7ff80000, v13, s0
	v_div_scale_f64 v[12:13], null, v[34:35], v[34:35], v[32:33]
	v_rcp_f64_e32 v[18:19], v[12:13]
	v_nop
	s_delay_alu instid0(TRANS32_DEP_1) | instskip(NEXT) | instid1(VALU_DEP_1)
	v_fma_f64 v[26:27], -v[12:13], v[18:19], 1.0
	v_fmac_f64_e32 v[18:19], v[18:19], v[26:27]
	s_delay_alu instid0(VALU_DEP_1) | instskip(NEXT) | instid1(VALU_DEP_1)
	v_fma_f64 v[26:27], -v[12:13], v[18:19], 1.0
	v_fmac_f64_e32 v[18:19], v[18:19], v[26:27]
	v_div_scale_f64 v[26:27], vcc_lo, v[32:33], v[34:35], v[32:33]
	s_delay_alu instid0(VALU_DEP_1) | instskip(NEXT) | instid1(VALU_DEP_1)
	v_mul_f64_e32 v[28:29], v[26:27], v[18:19]
	v_fma_f64 v[12:13], -v[12:13], v[28:29], v[26:27]
	s_delay_alu instid0(VALU_DEP_1) | instskip(SKIP_1) | instid1(VALU_DEP_2)
	v_div_fmas_f64 v[12:13], v[12:13], v[18:19], v[28:29]
	v_mul_f64_e32 v[18:19], v[16:17], v[16:17]
	v_div_fixup_f64 v[12:13], v[12:13], v[34:35], v[32:33]
	s_delay_alu instid0(VALU_DEP_2) | instskip(SKIP_1) | instid1(VALU_DEP_3)
	v_fmac_f64_e32 v[48:49], 0xbda907db46cc5e42, v[18:19]
	v_fmac_f64_e32 v[36:37], 0x3de5e0b2f9a43bb8, v[18:19]
	v_mul_f64_e32 v[12:13], v[22:23], v[12:13]
	v_mul_f64_e32 v[22:23], 0.5, v[18:19]
	s_delay_alu instid0(VALU_DEP_4) | instskip(NEXT) | instid1(VALU_DEP_4)
	v_fmac_f64_e32 v[52:53], v[18:19], v[48:49]
	v_fmac_f64_e32 v[50:51], v[18:19], v[36:37]
	s_delay_alu instid0(VALU_DEP_3) | instskip(NEXT) | instid1(VALU_DEP_3)
	v_add_f64_e64 v[26:27], -v[22:23], 1.0
	v_fmac_f64_e32 v[54:55], v[18:19], v[52:53]
	s_delay_alu instid0(VALU_DEP_3) | instskip(NEXT) | instid1(VALU_DEP_3)
	v_fmac_f64_e32 v[68:69], v[18:19], v[50:51]
	v_add_f64_e64 v[28:29], -v[26:27], 1.0
	s_delay_alu instid0(VALU_DEP_3) | instskip(NEXT) | instid1(VALU_DEP_3)
	v_fmac_f64_e32 v[64:65], v[18:19], v[54:55]
	v_fmac_f64_e32 v[70:71], v[18:19], v[68:69]
	s_delay_alu instid0(VALU_DEP_3) | instskip(SKIP_1) | instid1(VALU_DEP_4)
	v_add_f64_e64 v[22:23], v[28:29], -v[22:23]
	v_mul_f64_e32 v[28:29], v[18:19], v[18:19]
	v_fmac_f64_e32 v[66:67], v[18:19], v[64:65]
	s_delay_alu instid0(VALU_DEP_3) | instskip(NEXT) | instid1(VALU_DEP_1)
	v_fma_f64 v[22:23], v[16:17], -v[20:21], v[22:23]
	v_fmac_f64_e32 v[22:23], v[28:29], v[66:67]
	v_mul_f64_e32 v[28:29], 0.5, v[20:21]
	s_delay_alu instid0(VALU_DEP_2) | instskip(SKIP_1) | instid1(VALU_DEP_1)
	v_add_f64_e32 v[22:23], v[26:27], v[22:23]
	v_mul_f64_e64 v[26:27], v[16:17], -v[18:19]
	v_fmac_f64_e32 v[28:29], v[26:27], v[70:71]
	s_delay_alu instid0(VALU_DEP_1) | instskip(NEXT) | instid1(VALU_DEP_1)
	v_fma_f64 v[18:19], v[18:19], v[28:29], -v[20:21]
	v_fmac_f64_e32 v[18:19], 0xbfc5555555555555, v[26:27]
	s_delay_alu instid0(VALU_DEP_1) | instskip(NEXT) | instid1(VALU_DEP_1)
	v_add_f64_e64 v[16:17], v[16:17], -v[18:19]
	v_xor_b32_e32 v15, 0x80000000, v17
	v_and_b32_e32 v17, 1, v30
	s_delay_alu instid0(VALU_DEP_1) | instskip(NEXT) | instid1(VALU_DEP_3)
	v_cmp_eq_u32_e32 vcc_lo, 0, v17
	v_dual_lshlrev_b32 v17, 30, v30 :: v_dual_cndmask_b32 v15, v15, v23, vcc_lo
	v_cndmask_b32_e32 v16, v16, v22, vcc_lo
	v_cmp_gt_f64_e32 vcc_lo, 0x10000000, v[10:11]
	s_delay_alu instid0(VALU_DEP_3) | instskip(NEXT) | instid1(VALU_DEP_3)
	v_bitop3_b32 v15, v15, v17, 0x80000000 bitop3:0x78
	v_cndmask_b32_e64 v16, 0, v16, s0
	s_delay_alu instid0(VALU_DEP_2) | instskip(NEXT) | instid1(VALU_DEP_1)
	v_cndmask_b32_e64 v17, 0x7ff80000, v15, s0
	v_mul_f64_e32 v[12:13], v[12:13], v[16:17]
	s_delay_alu instid0(VALU_DEP_1) | instskip(NEXT) | instid1(VALU_DEP_1)
	v_fmac_f64_e32 v[12:13], v[24:25], v[8:9]
	v_mul_f64_e32 v[8:9], 0x3fe9884533d43651, v[12:13]
	v_cndmask_b32_e64 v12, 0, 0x100, vcc_lo
	s_delay_alu instid0(VALU_DEP_1) | instskip(NEXT) | instid1(VALU_DEP_1)
	v_ldexp_f64 v[10:11], v[10:11], v12
	v_rsq_f64_e32 v[12:13], v[10:11]
	v_nop
	s_delay_alu instid0(TRANS32_DEP_1) | instskip(SKIP_1) | instid1(VALU_DEP_1)
	v_mul_f64_e32 v[16:17], v[10:11], v[12:13]
	v_mul_f64_e32 v[12:13], 0.5, v[12:13]
	v_fma_f64 v[18:19], -v[12:13], v[16:17], 0.5
	s_delay_alu instid0(VALU_DEP_1) | instskip(SKIP_1) | instid1(VALU_DEP_2)
	v_fmac_f64_e32 v[16:17], v[16:17], v[18:19]
	v_fmac_f64_e32 v[12:13], v[12:13], v[18:19]
	v_fma_f64 v[20:21], -v[16:17], v[16:17], v[10:11]
	s_delay_alu instid0(VALU_DEP_1) | instskip(NEXT) | instid1(VALU_DEP_1)
	v_fmac_f64_e32 v[16:17], v[20:21], v[12:13]
	v_fma_f64 v[18:19], -v[16:17], v[16:17], v[10:11]
	s_delay_alu instid0(VALU_DEP_1) | instskip(SKIP_2) | instid1(VALU_DEP_2)
	v_fmac_f64_e32 v[16:17], v[18:19], v[12:13]
	v_cndmask_b32_e64 v12, 0, 0xffffff80, vcc_lo
	v_cmp_class_f64_e64 vcc_lo, v[10:11], 0x260
	v_ldexp_f64 v[12:13], v[16:17], v12
	s_delay_alu instid0(VALU_DEP_1) | instskip(NEXT) | instid1(VALU_DEP_1)
	v_dual_cndmask_b32 v11, v13, v11 :: v_dual_cndmask_b32 v10, v12, v10
	v_div_scale_f64 v[12:13], null, v[10:11], v[10:11], v[8:9]
	s_delay_alu instid0(VALU_DEP_1) | instskip(SKIP_1) | instid1(TRANS32_DEP_1)
	v_rcp_f64_e32 v[16:17], v[12:13]
	v_nop
	v_fma_f64 v[18:19], -v[12:13], v[16:17], 1.0
	s_delay_alu instid0(VALU_DEP_1) | instskip(NEXT) | instid1(VALU_DEP_1)
	v_fmac_f64_e32 v[16:17], v[16:17], v[18:19]
	v_fma_f64 v[18:19], -v[12:13], v[16:17], 1.0
	s_delay_alu instid0(VALU_DEP_1) | instskip(SKIP_1) | instid1(VALU_DEP_1)
	v_fmac_f64_e32 v[16:17], v[16:17], v[18:19]
	v_div_scale_f64 v[18:19], vcc_lo, v[8:9], v[10:11], v[8:9]
	v_mul_f64_e32 v[20:21], v[18:19], v[16:17]
	s_delay_alu instid0(VALU_DEP_1) | instskip(NEXT) | instid1(VALU_DEP_1)
	v_fma_f64 v[12:13], -v[12:13], v[20:21], v[18:19]
	v_div_fmas_f64 v[12:13], v[12:13], v[16:17], v[20:21]
	s_delay_alu instid0(VALU_DEP_1)
	v_div_fixup_f64 v[8:9], v[12:13], v[10:11], v[8:9]
.LBB1_32:
	s_or_b32 exec_lo, exec_lo, s1
                                        ; implicit-def: $vgpr10_vgpr11
	s_delay_alu instid0(SALU_CYCLE_1)
	s_mov_b32 s0, exec_lo
	s_wait_loadcnt_dscnt 0x0
	v_cmpx_ge_f64_e32 0x40140000, v[2:3]
	s_xor_b32 s1, exec_lo, s0
	s_cbranch_execz .LBB1_38
; %bb.33:
	v_mov_b64_e32 v[10:11], 0xfff0000000000000
	s_mov_b32 s4, exec_lo
	v_cmpx_neq_f64_e32 0, v[2:3]
	s_cbranch_execz .LBB1_37
; %bb.34:
	v_mov_b64_e32 v[10:11], 0x7ff8000000000000
	s_mov_b32 s5, exec_lo
	v_cmpx_nge_f64_e32 0, v[2:3]
	s_cbranch_execz .LBB1_36
; %bb.35:
	v_frexp_mant_f64_e32 v[10:11], v[2:3]
	s_mov_b64 s[6:7], 0x3fe5555555555555
	v_frexp_exp_i32_f64_e32 v15, v[2:3]
	s_delay_alu instid0(VALU_DEP_2) | instskip(SKIP_2) | instid1(VALU_DEP_3)
	v_cmp_gt_f64_e32 vcc_lo, s[6:7], v[10:11]
	s_mov_b64 s[6:7], 0x3fc3ab76bf559e2b
	v_cndmask_b32_e64 v12, 0, 1, vcc_lo
	v_subrev_co_ci_u32_e64 v15, null, 0, v15, vcc_lo
	s_delay_alu instid0(VALU_DEP_2) | instskip(NEXT) | instid1(VALU_DEP_1)
	v_ldexp_f64 v[10:11], v[10:11], v12
	v_add_f64_e32 v[12:13], 1.0, v[10:11]
	v_add_f64_e32 v[20:21], -1.0, v[10:11]
	s_delay_alu instid0(VALU_DEP_2) | instskip(SKIP_1) | instid1(VALU_DEP_1)
	v_rcp_f64_e32 v[16:17], v[12:13]
	v_add_f64_e32 v[22:23], -1.0, v[12:13]
	v_add_f64_e64 v[10:11], v[10:11], -v[22:23]
	s_delay_alu instid0(TRANS32_DEP_1) | instskip(NEXT) | instid1(VALU_DEP_1)
	v_fma_f64 v[18:19], -v[12:13], v[16:17], 1.0
	v_fmac_f64_e32 v[16:17], v[18:19], v[16:17]
	s_delay_alu instid0(VALU_DEP_1) | instskip(NEXT) | instid1(VALU_DEP_1)
	v_fma_f64 v[18:19], -v[12:13], v[16:17], 1.0
	v_fmac_f64_e32 v[16:17], v[18:19], v[16:17]
	s_delay_alu instid0(VALU_DEP_1) | instskip(NEXT) | instid1(VALU_DEP_1)
	v_mul_f64_e32 v[18:19], v[20:21], v[16:17]
	v_mul_f64_e32 v[24:25], v[12:13], v[18:19]
	s_delay_alu instid0(VALU_DEP_1) | instskip(NEXT) | instid1(VALU_DEP_1)
	v_fma_f64 v[12:13], v[18:19], v[12:13], -v[24:25]
	v_fmac_f64_e32 v[12:13], v[18:19], v[10:11]
	s_delay_alu instid0(VALU_DEP_1) | instskip(NEXT) | instid1(VALU_DEP_1)
	v_add_f64_e32 v[10:11], v[24:25], v[12:13]
	v_add_f64_e64 v[22:23], v[20:21], -v[10:11]
	v_add_f64_e64 v[24:25], v[10:11], -v[24:25]
	s_delay_alu instid0(VALU_DEP_2) | instskip(NEXT) | instid1(VALU_DEP_2)
	v_add_f64_e64 v[20:21], v[20:21], -v[22:23]
	v_add_f64_e64 v[12:13], v[24:25], -v[12:13]
	v_cvt_f64_i32_e32 v[24:25], v15
	s_delay_alu instid0(VALU_DEP_3) | instskip(NEXT) | instid1(VALU_DEP_2)
	v_add_f64_e64 v[10:11], v[20:21], -v[10:11]
	v_mul_f64_e32 v[30:31], 0x3fe62e42fefa39ef, v[24:25]
	s_delay_alu instid0(VALU_DEP_2) | instskip(NEXT) | instid1(VALU_DEP_1)
	v_add_f64_e32 v[10:11], v[12:13], v[10:11]
	v_add_f64_e32 v[10:11], v[22:23], v[10:11]
	s_delay_alu instid0(VALU_DEP_1) | instskip(NEXT) | instid1(VALU_DEP_1)
	v_mul_f64_e32 v[10:11], v[16:17], v[10:11]
	v_add_f64_e32 v[12:13], v[18:19], v[10:11]
	s_delay_alu instid0(VALU_DEP_1) | instskip(NEXT) | instid1(VALU_DEP_1)
	v_mul_f64_e32 v[16:17], v[12:13], v[12:13]
	v_fmaak_f64 v[20:21], s[6:7], v[16:17], 0x3fc385386b47b09a
	v_mul_f64_e32 v[22:23], v[12:13], v[16:17]
	s_mov_b64 s[6:7], 0x3fe62e42fefa39ef
	s_delay_alu instid0(SALU_CYCLE_1) | instskip(NEXT) | instid1(VALU_DEP_3)
	v_fma_f64 v[34:35], v[24:25], s[6:7], -v[30:31]
	v_fmaak_f64 v[20:21], v[16:17], v[20:21], 0x3fc7474dd7f4df2e
	s_delay_alu instid0(VALU_DEP_1) | instskip(NEXT) | instid1(VALU_DEP_1)
	v_fmaak_f64 v[20:21], v[16:17], v[20:21], 0x3fcc71c016291751
	v_fmaak_f64 v[20:21], v[16:17], v[20:21], 0x3fd249249b27acf1
	s_delay_alu instid0(VALU_DEP_1) | instskip(NEXT) | instid1(VALU_DEP_1)
	v_fmaak_f64 v[20:21], v[16:17], v[20:21], 0x3fd99999998ef7b6
	v_fmaak_f64 v[16:17], v[16:17], v[20:21], 0x3fe5555555555780
	v_ldexp_f64 v[20:21], v[12:13], 1
	v_add_f64_e64 v[12:13], v[12:13], -v[18:19]
	v_fmamk_f64 v[24:25], v[24:25], 0x3c7abc9e3b39803f, v[34:35]
	s_delay_alu instid0(VALU_DEP_4) | instskip(SKIP_1) | instid1(VALU_DEP_3)
	v_mul_f64_e32 v[16:17], v[22:23], v[16:17]
	v_mul_f64_e32 v[22:23], v[2:3], v[2:3]
	v_add_f64_e32 v[34:35], v[30:31], v[24:25]
	v_add_f64_e64 v[10:11], v[10:11], -v[12:13]
	s_delay_alu instid0(VALU_DEP_4) | instskip(NEXT) | instid1(VALU_DEP_4)
	v_add_f64_e32 v[18:19], v[20:21], v[16:17]
	v_fmaak_f64 v[26:27], 0, v[22:23], 0x40829269a93f7ac2
	v_fmaak_f64 v[28:29], 0, v[22:23], 0x408366b11b7086e7
	v_fmaak_f64 v[32:33], 0, v[22:23], 0xc1cad23c4cda4fc5
	v_add_f64_e64 v[30:31], v[34:35], -v[30:31]
	v_ldexp_f64 v[10:11], v[10:11], 1
	v_add_f64_e64 v[12:13], v[18:19], -v[20:21]
	v_fmaak_f64 v[20:21], v[22:23], v[26:27], 0x410cc160be58ef7f
	v_fmaak_f64 v[26:27], v[22:23], v[28:29], 0x410f5eda0dd701b2
	;; [unrolled: 1-line block ×3, first 2 shown]
	v_add_f64_e64 v[24:25], v[24:25], -v[30:31]
	s_delay_alu instid0(VALU_DEP_4) | instskip(NEXT) | instid1(VALU_DEP_4)
	v_fmaak_f64 v[20:21], v[22:23], v[20:21], 0x419184efa9c8acee
	v_fmaak_f64 v[26:27], v[22:23], v[26:27], 0x4193e954dc92a1b1
	s_delay_alu instid0(VALU_DEP_4) | instskip(NEXT) | instid1(VALU_DEP_3)
	v_fmaak_f64 v[28:29], v[22:23], v[28:29], 0xc262d72d58836521
	v_fmaak_f64 v[20:21], v[22:23], v[20:21], 0x421178c3906b7b83
	s_delay_alu instid0(VALU_DEP_3) | instskip(NEXT) | instid1(VALU_DEP_3)
	v_fmaak_f64 v[26:27], v[22:23], v[26:27], 0x4214a13f7befeac1
	v_fmaak_f64 v[28:29], v[22:23], v[28:29], 0x42da0954b0910fef
	s_delay_alu instid0(VALU_DEP_3) | instskip(NEXT) | instid1(VALU_DEP_3)
	;; [unrolled: 3-line block ×4, first 2 shown]
	v_fmaak_f64 v[26:27], v[22:23], v[26:27], 0x43064b0a3eccf45f
	v_fmaak_f64 v[28:29], v[22:23], v[28:29], 0x438679ad0b7366b1
	v_add_f64_e64 v[12:13], v[16:17], -v[12:13]
	v_fmaak_f64 v[16:17], v[22:23], v[32:33], 0x425a52ba0d438c6b
	v_fmaak_f64 v[20:21], v[22:23], v[20:21], 0x436e83e3c547a488
	;; [unrolled: 1-line block ×4, first 2 shown]
	s_delay_alu instid0(VALU_DEP_4) | instskip(NEXT) | instid1(VALU_DEP_4)
	v_fmaak_f64 v[16:17], v[22:23], v[16:17], 0xc2d08a92e6ccf175
	v_fmaak_f64 v[20:21], v[22:23], v[20:21], 0x43cb90f190f6747f
	s_delay_alu instid0(VALU_DEP_2) | instskip(SKIP_1) | instid1(VALU_DEP_3)
	v_fmaak_f64 v[16:17], v[22:23], v[16:17], 0x432a2b42a697c482
	v_fmaak_f64 v[22:23], v[22:23], v[26:27], 0x43d2779576702939
	v_div_scale_f64 v[26:27], null, v[20:21], v[20:21], v[28:29]
	v_div_scale_f64 v[70:71], vcc_lo, v[28:29], v[20:21], v[28:29]
	s_delay_alu instid0(VALU_DEP_3) | instskip(SKIP_1) | instid1(VALU_DEP_4)
	v_div_scale_f64 v[32:33], null, v[22:23], v[22:23], v[16:17]
	v_add_f64_e32 v[10:11], v[10:11], v[12:13]
	v_rcp_f64_e32 v[12:13], v[26:27]
	s_delay_alu instid0(VALU_DEP_2) | instskip(NEXT) | instid1(VALU_DEP_1)
	v_rcp_f64_e32 v[36:37], v[32:33]
	v_add_f64_e32 v[38:39], v[18:19], v[10:11]
	s_delay_alu instid0(TRANS32_DEP_2) | instskip(NEXT) | instid1(TRANS32_DEP_1)
	v_fma_f64 v[48:49], -v[26:27], v[12:13], 1.0
	v_fma_f64 v[50:51], -v[32:33], v[36:37], 1.0
	s_delay_alu instid0(VALU_DEP_3) | instskip(SKIP_1) | instid1(VALU_DEP_4)
	v_add_f64_e32 v[52:53], v[34:35], v[38:39]
	v_add_f64_e64 v[18:19], v[38:39], -v[18:19]
	v_fmac_f64_e32 v[12:13], v[12:13], v[48:49]
	v_div_scale_f64 v[48:49], null, v[2:3], v[2:3], -1.0
	v_fmac_f64_e32 v[36:37], v[36:37], v[50:51]
	v_add_f64_e64 v[50:51], v[52:53], -v[34:35]
	v_add_f64_e64 v[10:11], v[10:11], -v[18:19]
	v_fma_f64 v[54:55], -v[26:27], v[12:13], 1.0
	v_rcp_f64_e32 v[64:65], v[48:49]
	s_delay_alu instid0(VALU_DEP_4) | instskip(NEXT) | instid1(VALU_DEP_4)
	v_fma_f64 v[66:67], -v[32:33], v[36:37], 1.0
	v_add_f64_e64 v[68:69], v[52:53], -v[50:51]
	v_add_f64_e64 v[18:19], v[38:39], -v[50:51]
	s_delay_alu instid0(VALU_DEP_4) | instskip(SKIP_4) | instid1(TRANS32_DEP_1)
	v_fmac_f64_e32 v[12:13], v[12:13], v[54:55]
	v_div_scale_f64 v[54:55], s0, v[16:17], v[22:23], v[16:17]
	v_fmac_f64_e32 v[36:37], v[36:37], v[66:67]
	v_add_f64_e32 v[66:67], v[24:25], v[10:11]
	v_add_f64_e64 v[30:31], v[34:35], -v[68:69]
	v_fma_f64 v[34:35], -v[48:49], v[64:65], 1.0
	v_mul_f64_e32 v[38:39], v[70:71], v[12:13]
	v_mul_f64_e32 v[50:51], v[54:55], v[36:37]
	s_delay_alu instid0(VALU_DEP_4) | instskip(NEXT) | instid1(VALU_DEP_4)
	v_add_f64_e32 v[18:19], v[18:19], v[30:31]
	v_fmac_f64_e32 v[64:65], v[64:65], v[34:35]
	s_delay_alu instid0(VALU_DEP_4) | instskip(NEXT) | instid1(VALU_DEP_4)
	v_fma_f64 v[26:27], -v[26:27], v[38:39], v[70:71]
	v_fma_f64 v[30:31], -v[32:33], v[50:51], v[54:55]
	v_add_f64_e64 v[32:33], v[66:67], -v[24:25]
	v_add_f64_e32 v[18:19], v[66:67], v[18:19]
	v_fma_f64 v[34:35], -v[48:49], v[64:65], 1.0
	v_div_fmas_f64 v[12:13], v[26:27], v[12:13], v[38:39]
	s_mov_b32 vcc_lo, s0
	v_div_fmas_f64 v[26:27], v[30:31], v[36:37], v[50:51]
	v_add_f64_e64 v[30:31], v[66:67], -v[32:33]
	v_div_scale_f64 v[38:39], vcc_lo, -1.0, v[2:3], -1.0
	v_add_f64_e32 v[36:37], v[52:53], v[18:19]
	v_fmac_f64_e32 v[64:65], v[64:65], v[34:35]
	v_add_f64_e64 v[10:11], v[10:11], -v[32:33]
	v_div_fixup_f64 v[12:13], v[12:13], v[20:21], v[28:29]
	v_div_fixup_f64 v[16:17], v[26:27], v[22:23], v[16:17]
	v_add_f64_e64 v[22:23], v[24:25], -v[30:31]
	v_add_f64_e64 v[24:25], v[36:37], -v[52:53]
	v_mul_f64_e32 v[26:27], v[38:39], v[64:65]
	s_delay_alu instid0(VALU_DEP_4) | instskip(NEXT) | instid1(VALU_DEP_4)
	v_mul_f64_e32 v[16:17], v[2:3], v[16:17]
	v_add_f64_e32 v[10:11], v[10:11], v[22:23]
	s_delay_alu instid0(VALU_DEP_4) | instskip(NEXT) | instid1(VALU_DEP_4)
	v_add_f64_e64 v[18:19], v[18:19], -v[24:25]
	v_fma_f64 v[22:23], -v[48:49], v[26:27], v[38:39]
	v_fmaak_f64 v[24:25], v[2:3], v[2:3], 0xc02d5d2b4189822c
	s_delay_alu instid0(VALU_DEP_1) | instskip(NEXT) | instid1(VALU_DEP_4)
	v_mul_f64_e32 v[16:17], v[24:25], v[16:17]
	v_add_f64_e32 v[10:11], v[10:11], v[18:19]
	s_delay_alu instid0(VALU_DEP_4) | instskip(SKIP_1) | instid1(VALU_DEP_1)
	v_div_fmas_f64 v[18:19], v[22:23], v[64:65], v[26:27]
	v_fmaak_f64 v[22:23], v[2:3], v[2:3], 0xc0489bf66072a432
	v_mul_f64_e32 v[16:17], v[22:23], v[16:17]
	s_delay_alu instid0(VALU_DEP_4) | instskip(NEXT) | instid1(VALU_DEP_4)
	v_add_f64_e32 v[10:11], v[36:37], v[10:11]
	v_div_fixup_f64 v[18:19], v[18:19], v[2:3], -1.0
	s_delay_alu instid0(VALU_DEP_1) | instskip(NEXT) | instid1(VALU_DEP_1)
	v_fmac_f64_e32 v[18:19], v[16:17], v[10:11]
	v_mul_f64_e32 v[10:11], 0x3fe45f306dc9c883, v[18:19]
	s_delay_alu instid0(VALU_DEP_1)
	v_fmac_f64_e32 v[10:11], v[2:3], v[12:13]
.LBB1_36:
	s_or_b32 exec_lo, exec_lo, s5
.LBB1_37:
	s_delay_alu instid0(SALU_CYCLE_1)
	s_or_b32 exec_lo, exec_lo, s4
.LBB1_38:
	s_and_not1_saveexec_b32 s1, s1
	s_cbranch_execz .LBB1_48
; %bb.39:
	v_add_f64_e32 v[10:11], 0xc002d97c7f3321d2, v[2:3]
                                        ; implicit-def: $vgpr15
                                        ; implicit-def: $vgpr12_vgpr13
                                        ; implicit-def: $vgpr18_vgpr19
	s_delay_alu instid0(VALU_DEP_1)
	v_cmp_ngt_f64_e64 s0, 0x41d00000, |v[10:11]|
	v_trig_preop_f64 v[26:27], |v[10:11]|, 0
	v_trig_preop_f64 v[24:25], |v[10:11]|, 1
	v_ldexp_f64 v[28:29], |v[10:11]|, 0xffffff80
	v_trig_preop_f64 v[22:23], |v[10:11]|, 2
	v_and_b32_e32 v31, 0x7fffffff, v11
	s_and_saveexec_b32 s4, s0
	s_delay_alu instid0(SALU_CYCLE_1)
	s_xor_b32 s4, exec_lo, s4
	s_cbranch_execz .LBB1_41
; %bb.40:
	v_cmp_le_f64_e64 vcc_lo, 0x7b000000, |v[10:11]|
	s_mov_b64 s[6:7], 0x3ff921fb54442d18
	v_dual_mov_b32 v52, 0 :: v_dual_cndmask_b32 v13, v31, v29
	v_cndmask_b32_e32 v12, v10, v28, vcc_lo
	s_delay_alu instid0(VALU_DEP_1) | instskip(SKIP_2) | instid1(VALU_DEP_3)
	v_mul_f64_e32 v[16:17], v[26:27], v[12:13]
	v_mul_f64_e32 v[18:19], v[24:25], v[12:13]
	;; [unrolled: 1-line block ×3, first 2 shown]
	v_fma_f64 v[20:21], v[26:27], v[12:13], -v[16:17]
	s_delay_alu instid0(VALU_DEP_3) | instskip(NEXT) | instid1(VALU_DEP_3)
	v_fma_f64 v[50:51], v[24:25], v[12:13], -v[18:19]
	v_fma_f64 v[12:13], v[22:23], v[12:13], -v[48:49]
	s_delay_alu instid0(VALU_DEP_3) | instskip(NEXT) | instid1(VALU_DEP_1)
	v_add_f64_e32 v[32:33], v[18:19], v[20:21]
	v_add_f64_e64 v[34:35], v[32:33], -v[18:19]
	v_add_f64_e32 v[38:39], v[16:17], v[32:33]
	s_delay_alu instid0(VALU_DEP_2) | instskip(SKIP_1) | instid1(VALU_DEP_3)
	v_add_f64_e64 v[36:37], v[32:33], -v[34:35]
	v_add_f64_e64 v[20:21], v[20:21], -v[34:35]
	v_ldexp_f64 v[34:35], v[38:39], -2
	v_add_f64_e64 v[16:17], v[38:39], -v[16:17]
	s_delay_alu instid0(VALU_DEP_4) | instskip(SKIP_1) | instid1(VALU_DEP_4)
	v_add_f64_e64 v[18:19], v[18:19], -v[36:37]
	v_add_f64_e32 v[36:37], v[48:49], v[50:51]
	v_cmp_neq_f64_e64 vcc_lo, 0x7ff00000, |v[34:35]|
	s_delay_alu instid0(VALU_DEP_4) | instskip(NEXT) | instid1(VALU_DEP_4)
	v_add_f64_e64 v[16:17], v[32:33], -v[16:17]
	v_add_f64_e32 v[18:19], v[20:21], v[18:19]
	v_fract_f64_e32 v[20:21], v[34:35]
	s_delay_alu instid0(VALU_DEP_2) | instskip(NEXT) | instid1(VALU_DEP_2)
	v_add_f64_e32 v[32:33], v[36:37], v[18:19]
	v_ldexp_f64 v[20:21], v[20:21], 2
	s_delay_alu instid0(VALU_DEP_2) | instskip(NEXT) | instid1(VALU_DEP_2)
	v_add_f64_e32 v[34:35], v[16:17], v[32:33]
	v_dual_cndmask_b32 v21, 0, v21 :: v_dual_cndmask_b32 v20, 0, v20
	v_add_f64_e64 v[54:55], v[32:33], -v[36:37]
	s_delay_alu instid0(VALU_DEP_2) | instskip(SKIP_1) | instid1(VALU_DEP_3)
	v_add_f64_e32 v[38:39], v[34:35], v[20:21]
	v_add_f64_e64 v[16:17], v[34:35], -v[16:17]
	v_add_f64_e64 v[68:69], v[32:33], -v[54:55]
	v_add_f64_e64 v[18:19], v[18:19], -v[54:55]
	s_delay_alu instid0(VALU_DEP_4) | instskip(SKIP_3) | instid1(VALU_DEP_3)
	v_cmp_gt_f64_e32 vcc_lo, 0, v[38:39]
	v_add_f64_e64 v[38:39], v[36:37], -v[48:49]
	v_add_f64_e64 v[16:17], v[32:33], -v[16:17]
	v_cndmask_b32_e64 v53, 0, 0x40100000, vcc_lo
	v_add_f64_e64 v[66:67], v[36:37], -v[38:39]
	v_add_f64_e64 v[38:39], v[50:51], -v[38:39]
	;; [unrolled: 1-line block ×3, first 2 shown]
	s_delay_alu instid0(VALU_DEP_4) | instskip(NEXT) | instid1(VALU_DEP_4)
	v_add_f64_e32 v[20:21], v[20:21], v[52:53]
	v_add_f64_e64 v[50:51], v[48:49], -v[66:67]
	s_delay_alu instid0(VALU_DEP_3) | instskip(NEXT) | instid1(VALU_DEP_3)
	v_add_f64_e32 v[18:19], v[18:19], v[36:37]
	v_add_f64_e32 v[64:65], v[34:35], v[20:21]
	s_delay_alu instid0(VALU_DEP_3) | instskip(NEXT) | instid1(VALU_DEP_2)
	v_add_f64_e32 v[38:39], v[38:39], v[50:51]
	v_cvt_i32_f64_e32 v15, v[64:65]
	s_delay_alu instid0(VALU_DEP_2) | instskip(NEXT) | instid1(VALU_DEP_2)
	v_add_f64_e32 v[18:19], v[38:39], v[18:19]
	v_cvt_f64_i32_e32 v[54:55], v15
	s_delay_alu instid0(VALU_DEP_2) | instskip(NEXT) | instid1(VALU_DEP_2)
	v_add_f64_e32 v[12:13], v[12:13], v[18:19]
	v_add_f64_e64 v[20:21], v[20:21], -v[54:55]
	s_delay_alu instid0(VALU_DEP_2) | instskip(NEXT) | instid1(VALU_DEP_2)
	v_add_f64_e32 v[12:13], v[16:17], v[12:13]
	v_add_f64_e32 v[36:37], v[34:35], v[20:21]
	s_delay_alu instid0(VALU_DEP_1) | instskip(SKIP_1) | instid1(VALU_DEP_2)
	v_add_f64_e64 v[18:19], v[36:37], -v[20:21]
	v_cmp_le_f64_e32 vcc_lo, 0.5, v[36:37]
	v_add_f64_e64 v[16:17], v[34:35], -v[18:19]
	v_cndmask_b32_e64 v53, 0, 0x3ff00000, vcc_lo
	v_add_co_ci_u32_e64 v15, null, 0, v15, vcc_lo
	s_delay_alu instid0(VALU_DEP_3) | instskip(NEXT) | instid1(VALU_DEP_3)
	v_add_f64_e32 v[12:13], v[12:13], v[16:17]
	v_add_f64_e64 v[16:17], v[36:37], -v[52:53]
	s_delay_alu instid0(VALU_DEP_1) | instskip(NEXT) | instid1(VALU_DEP_1)
	v_add_f64_e32 v[18:19], v[16:17], v[12:13]
	v_mul_f64_e32 v[20:21], 0x3ff921fb54442d18, v[18:19]
	v_add_f64_e64 v[16:17], v[18:19], -v[16:17]
	s_delay_alu instid0(VALU_DEP_2) | instskip(NEXT) | instid1(VALU_DEP_2)
	v_fma_f64 v[32:33], v[18:19], s[6:7], -v[20:21]
	v_add_f64_e64 v[12:13], v[12:13], -v[16:17]
	s_delay_alu instid0(VALU_DEP_2) | instskip(NEXT) | instid1(VALU_DEP_1)
	v_fmamk_f64 v[16:17], v[18:19], 0x3c91a62633145c07, v[32:33]
	v_fmac_f64_e32 v[16:17], 0x3ff921fb54442d18, v[12:13]
	s_delay_alu instid0(VALU_DEP_1) | instskip(NEXT) | instid1(VALU_DEP_1)
	v_add_f64_e32 v[12:13], v[20:21], v[16:17]
	v_add_f64_e64 v[18:19], v[12:13], -v[20:21]
	s_delay_alu instid0(VALU_DEP_1)
	v_add_f64_e64 v[18:19], v[16:17], -v[18:19]
	s_and_not1_saveexec_b32 s4, s4
	s_cbranch_execz .LBB1_43
	s_branch .LBB1_42
.LBB1_41:
	s_and_not1_saveexec_b32 s4, s4
	s_cbranch_execz .LBB1_43
.LBB1_42:
	s_mov_b64 s[6:7], 0x3fe45f306dc9c883
	s_delay_alu instid0(SALU_CYCLE_1) | instskip(SKIP_1) | instid1(VALU_DEP_1)
	v_mul_f64_e64 v[12:13], |v[10:11]|, s[6:7]
	s_mov_b64 s[6:7], 0xbff921fb54442d18
	v_rndne_f64_e32 v[16:17], v[12:13]
	s_delay_alu instid0(VALU_DEP_1) | instskip(SKIP_2) | instid1(VALU_DEP_3)
	v_fma_f64 v[12:13], v[16:17], s[6:7], |v[10:11]|
	v_mul_f64_e32 v[18:19], 0xbc91a62633145c00, v[16:17]
	v_cvt_i32_f64_e32 v15, v[16:17]
	v_fmamk_f64 v[34:35], v[16:17], 0xbc91a62633145c00, v[12:13]
	s_delay_alu instid0(VALU_DEP_3) | instskip(NEXT) | instid1(VALU_DEP_1)
	v_add_f64_e32 v[20:21], v[12:13], v[18:19]
	v_add_f64_e64 v[32:33], v[12:13], -v[20:21]
	s_delay_alu instid0(VALU_DEP_3) | instskip(NEXT) | instid1(VALU_DEP_2)
	v_add_f64_e64 v[12:13], v[20:21], -v[34:35]
	v_add_f64_e32 v[20:21], v[32:33], v[18:19]
	v_fmamk_f64 v[18:19], v[16:17], 0x3c91a62633145c00, v[18:19]
	s_delay_alu instid0(VALU_DEP_2) | instskip(NEXT) | instid1(VALU_DEP_1)
	v_add_f64_e32 v[12:13], v[12:13], v[20:21]
	v_add_f64_e64 v[12:13], v[12:13], -v[18:19]
	s_delay_alu instid0(VALU_DEP_1) | instskip(NEXT) | instid1(VALU_DEP_1)
	v_fmamk_f64 v[18:19], v[16:17], 0xb97b839a252049c0, v[12:13]
	v_add_f64_e32 v[12:13], v[34:35], v[18:19]
	s_delay_alu instid0(VALU_DEP_1) | instskip(NEXT) | instid1(VALU_DEP_1)
	v_add_f64_e64 v[20:21], v[12:13], -v[34:35]
	v_add_f64_e64 v[18:19], v[18:19], -v[20:21]
.LBB1_43:
	s_or_b32 exec_lo, exec_lo, s4
                                        ; implicit-def: $vgpr30
                                        ; implicit-def: $vgpr16_vgpr17
                                        ; implicit-def: $vgpr20_vgpr21
	s_and_saveexec_b32 s4, s0
	s_delay_alu instid0(SALU_CYCLE_1)
	s_xor_b32 s0, exec_lo, s4
	s_cbranch_execz .LBB1_45
; %bb.44:
	v_cmp_le_f64_e64 vcc_lo, 0x7b000000, |v[10:11]|
	s_mov_b64 s[4:5], 0x3ff921fb54442d18
	v_dual_mov_b32 v48, 0 :: v_dual_cndmask_b32 v17, v31, v29
	v_cndmask_b32_e32 v16, v10, v28, vcc_lo
	s_delay_alu instid0(VALU_DEP_1) | instskip(SKIP_2) | instid1(VALU_DEP_3)
	v_mul_f64_e32 v[20:21], v[26:27], v[16:17]
	v_mul_f64_e32 v[28:29], v[24:25], v[16:17]
	;; [unrolled: 1-line block ×3, first 2 shown]
	v_fma_f64 v[26:27], v[26:27], v[16:17], -v[20:21]
	s_delay_alu instid0(VALU_DEP_3) | instskip(NEXT) | instid1(VALU_DEP_3)
	v_fma_f64 v[24:25], v[24:25], v[16:17], -v[28:29]
	v_fma_f64 v[16:17], v[22:23], v[16:17], -v[38:39]
	s_delay_alu instid0(VALU_DEP_3) | instskip(NEXT) | instid1(VALU_DEP_1)
	v_add_f64_e32 v[30:31], v[28:29], v[26:27]
	v_add_f64_e64 v[32:33], v[30:31], -v[28:29]
	v_add_f64_e32 v[36:37], v[20:21], v[30:31]
	s_delay_alu instid0(VALU_DEP_2) | instskip(SKIP_1) | instid1(VALU_DEP_3)
	v_add_f64_e64 v[34:35], v[30:31], -v[32:33]
	v_add_f64_e64 v[26:27], v[26:27], -v[32:33]
	v_ldexp_f64 v[32:33], v[36:37], -2
	s_delay_alu instid0(VALU_DEP_3) | instskip(SKIP_1) | instid1(VALU_DEP_3)
	v_add_f64_e64 v[28:29], v[28:29], -v[34:35]
	v_add_f64_e32 v[34:35], v[38:39], v[24:25]
	v_cmp_neq_f64_e64 vcc_lo, 0x7ff00000, |v[32:33]|
	s_delay_alu instid0(VALU_DEP_3) | instskip(SKIP_1) | instid1(VALU_DEP_1)
	v_add_f64_e32 v[26:27], v[26:27], v[28:29]
	v_fract_f64_e32 v[28:29], v[32:33]
	v_ldexp_f64 v[28:29], v[28:29], 2
	s_delay_alu instid0(VALU_DEP_1) | instskip(SKIP_1) | instid1(VALU_DEP_3)
	v_cndmask_b32_e32 v28, 0, v28, vcc_lo
	v_add_f64_e64 v[20:21], v[36:37], -v[20:21]
	v_cndmask_b32_e32 v29, 0, v29, vcc_lo
	s_delay_alu instid0(VALU_DEP_2) | instskip(SKIP_1) | instid1(VALU_DEP_1)
	v_add_f64_e64 v[20:21], v[30:31], -v[20:21]
	v_add_f64_e32 v[30:31], v[34:35], v[26:27]
	v_add_f64_e32 v[32:33], v[20:21], v[30:31]
	v_add_f64_e64 v[50:51], v[30:31], -v[34:35]
	s_delay_alu instid0(VALU_DEP_2) | instskip(NEXT) | instid1(VALU_DEP_2)
	v_add_f64_e32 v[36:37], v[32:33], v[28:29]
	v_add_f64_e64 v[64:65], v[30:31], -v[50:51]
	v_add_f64_e64 v[26:27], v[26:27], -v[50:51]
	;; [unrolled: 1-line block ×3, first 2 shown]
	s_delay_alu instid0(VALU_DEP_4) | instskip(SKIP_1) | instid1(VALU_DEP_3)
	v_cmp_gt_f64_e32 vcc_lo, 0, v[36:37]
	v_add_f64_e64 v[36:37], v[34:35], -v[38:39]
	v_add_f64_e64 v[20:21], v[30:31], -v[20:21]
	v_cndmask_b32_e64 v49, 0, 0x40100000, vcc_lo
	s_delay_alu instid0(VALU_DEP_3) | instskip(SKIP_2) | instid1(VALU_DEP_4)
	v_add_f64_e64 v[54:55], v[34:35], -v[36:37]
	v_add_f64_e64 v[24:25], v[24:25], -v[36:37]
	;; [unrolled: 1-line block ×3, first 2 shown]
	v_add_f64_e32 v[28:29], v[28:29], v[48:49]
	s_delay_alu instid0(VALU_DEP_4) | instskip(NEXT) | instid1(VALU_DEP_3)
	v_add_f64_e64 v[36:37], v[38:39], -v[54:55]
	v_add_f64_e32 v[26:27], v[26:27], v[34:35]
	s_delay_alu instid0(VALU_DEP_3) | instskip(NEXT) | instid1(VALU_DEP_3)
	v_add_f64_e32 v[52:53], v[32:33], v[28:29]
	v_add_f64_e32 v[24:25], v[24:25], v[36:37]
	s_delay_alu instid0(VALU_DEP_2) | instskip(NEXT) | instid1(VALU_DEP_2)
	v_cvt_i32_f64_e32 v49, v[52:53]
	v_add_f64_e32 v[22:23], v[24:25], v[26:27]
	s_delay_alu instid0(VALU_DEP_2) | instskip(NEXT) | instid1(VALU_DEP_2)
	v_cvt_f64_i32_e32 v[50:51], v49
	v_add_f64_e32 v[16:17], v[16:17], v[22:23]
	s_delay_alu instid0(VALU_DEP_2) | instskip(NEXT) | instid1(VALU_DEP_2)
	v_add_f64_e64 v[28:29], v[28:29], -v[50:51]
	v_add_f64_e32 v[16:17], v[20:21], v[16:17]
	s_delay_alu instid0(VALU_DEP_2) | instskip(NEXT) | instid1(VALU_DEP_1)
	v_add_f64_e32 v[24:25], v[32:33], v[28:29]
	v_add_f64_e64 v[22:23], v[24:25], -v[28:29]
	v_cmp_le_f64_e32 vcc_lo, 0.5, v[24:25]
	s_delay_alu instid0(VALU_DEP_2) | instskip(SKIP_2) | instid1(VALU_DEP_3)
	v_add_f64_e64 v[20:21], v[32:33], -v[22:23]
	v_add_co_ci_u32_e64 v30, null, 0, v49, vcc_lo
	v_cndmask_b32_e64 v49, 0, 0x3ff00000, vcc_lo
	v_add_f64_e32 v[16:17], v[16:17], v[20:21]
	s_delay_alu instid0(VALU_DEP_2) | instskip(NEXT) | instid1(VALU_DEP_1)
	v_add_f64_e64 v[20:21], v[24:25], -v[48:49]
	v_add_f64_e32 v[22:23], v[20:21], v[16:17]
	s_delay_alu instid0(VALU_DEP_1) | instskip(SKIP_1) | instid1(VALU_DEP_2)
	v_mul_f64_e32 v[24:25], 0x3ff921fb54442d18, v[22:23]
	v_add_f64_e64 v[20:21], v[22:23], -v[20:21]
	v_fma_f64 v[26:27], v[22:23], s[4:5], -v[24:25]
	s_delay_alu instid0(VALU_DEP_2) | instskip(NEXT) | instid1(VALU_DEP_2)
	v_add_f64_e64 v[16:17], v[16:17], -v[20:21]
	v_fmamk_f64 v[20:21], v[22:23], 0x3c91a62633145c07, v[26:27]
	s_delay_alu instid0(VALU_DEP_1) | instskip(NEXT) | instid1(VALU_DEP_1)
	v_fmac_f64_e32 v[20:21], 0x3ff921fb54442d18, v[16:17]
	v_add_f64_e32 v[16:17], v[24:25], v[20:21]
	s_delay_alu instid0(VALU_DEP_1) | instskip(NEXT) | instid1(VALU_DEP_1)
	v_add_f64_e64 v[22:23], v[16:17], -v[24:25]
	v_add_f64_e64 v[20:21], v[20:21], -v[22:23]
	s_and_not1_saveexec_b32 s0, s0
	s_cbranch_execnz .LBB1_46
	s_branch .LBB1_47
.LBB1_45:
	s_and_not1_saveexec_b32 s0, s0
	s_cbranch_execz .LBB1_47
.LBB1_46:
	s_mov_b64 s[4:5], 0x3fe45f306dc9c883
	s_delay_alu instid0(SALU_CYCLE_1) | instskip(SKIP_1) | instid1(VALU_DEP_1)
	v_mul_f64_e64 v[16:17], |v[10:11]|, s[4:5]
	s_mov_b64 s[4:5], 0xbff921fb54442d18
	v_rndne_f64_e32 v[22:23], v[16:17]
	s_delay_alu instid0(VALU_DEP_1) | instskip(SKIP_2) | instid1(VALU_DEP_3)
	v_fma_f64 v[16:17], v[22:23], s[4:5], |v[10:11]|
	v_mul_f64_e32 v[20:21], 0xbc91a62633145c00, v[22:23]
	v_cvt_i32_f64_e32 v30, v[22:23]
	v_fmamk_f64 v[28:29], v[22:23], 0xbc91a62633145c00, v[16:17]
	s_delay_alu instid0(VALU_DEP_3) | instskip(NEXT) | instid1(VALU_DEP_1)
	v_add_f64_e32 v[24:25], v[16:17], v[20:21]
	v_add_f64_e64 v[26:27], v[16:17], -v[24:25]
	s_delay_alu instid0(VALU_DEP_3) | instskip(NEXT) | instid1(VALU_DEP_2)
	v_add_f64_e64 v[16:17], v[24:25], -v[28:29]
	v_add_f64_e32 v[24:25], v[26:27], v[20:21]
	v_fmamk_f64 v[20:21], v[22:23], 0x3c91a62633145c00, v[20:21]
	s_delay_alu instid0(VALU_DEP_2) | instskip(NEXT) | instid1(VALU_DEP_1)
	v_add_f64_e32 v[16:17], v[16:17], v[24:25]
	v_add_f64_e64 v[16:17], v[16:17], -v[20:21]
	s_delay_alu instid0(VALU_DEP_1) | instskip(NEXT) | instid1(VALU_DEP_1)
	v_fmamk_f64 v[20:21], v[22:23], 0xb97b839a252049c0, v[16:17]
	v_add_f64_e32 v[16:17], v[28:29], v[20:21]
	s_delay_alu instid0(VALU_DEP_1) | instskip(NEXT) | instid1(VALU_DEP_1)
	v_add_f64_e64 v[24:25], v[16:17], -v[28:29]
	v_add_f64_e64 v[20:21], v[20:21], -v[24:25]
.LBB1_47:
	s_or_b32 exec_lo, exec_lo, s0
	v_div_scale_f64 v[22:23], null, v[2:3], v[2:3], 0x40140000
	v_cmp_class_f64_e64 s0, v[10:11], 0x1f8
	s_delay_alu instid0(VALU_DEP_3)
	v_mul_f64_e32 v[82:83], 0.5, v[18:19]
	v_mov_b64_e32 v[52:53], 0xbe927e4fa17f65f6
	v_mov_b64_e32 v[54:55], 0x3efa01a019f4ec90
	;; [unrolled: 1-line block ×6, first 2 shown]
	v_rcp_f64_e32 v[24:25], v[22:23]
	v_nop
	s_delay_alu instid0(TRANS32_DEP_1) | instskip(NEXT) | instid1(VALU_DEP_1)
	v_fma_f64 v[26:27], -v[22:23], v[24:25], 1.0
	v_fmac_f64_e32 v[24:25], v[24:25], v[26:27]
	s_delay_alu instid0(VALU_DEP_1) | instskip(NEXT) | instid1(VALU_DEP_1)
	v_fma_f64 v[26:27], -v[22:23], v[24:25], 1.0
	v_fmac_f64_e32 v[24:25], v[24:25], v[26:27]
	v_div_scale_f64 v[26:27], vcc_lo, 0x40140000, v[2:3], 0x40140000
	s_delay_alu instid0(VALU_DEP_1) | instskip(NEXT) | instid1(VALU_DEP_1)
	v_mul_f64_e32 v[28:29], v[26:27], v[24:25]
	v_fma_f64 v[22:23], -v[22:23], v[28:29], v[26:27]
	s_delay_alu instid0(VALU_DEP_1) | instskip(NEXT) | instid1(VALU_DEP_1)
	v_div_fmas_f64 v[22:23], v[22:23], v[24:25], v[28:29]
	v_div_fixup_f64 v[22:23], v[22:23], v[2:3], 0x40140000
	s_delay_alu instid0(VALU_DEP_1) | instskip(NEXT) | instid1(VALU_DEP_1)
	v_mul_f64_e32 v[24:25], v[22:23], v[22:23]
	v_fmaak_f64 v[32:33], 0, v[24:25], 0x3faa27fa6b70ba40
	v_fmaak_f64 v[26:27], 0, v[24:25], 0x3f48f92c4c6c651b
	;; [unrolled: 1-line block ×4, first 2 shown]
	s_delay_alu instid0(VALU_DEP_4) | instskip(NEXT) | instid1(VALU_DEP_4)
	v_fmaak_f64 v[32:33], v[24:25], v[32:33], 0x4013edb5c66d8fd6
	v_fmaak_f64 v[26:27], v[24:25], v[26:27], 0x3fb2b948a3fec4b6
	s_delay_alu instid0(VALU_DEP_4) | instskip(NEXT) | instid1(VALU_DEP_4)
	v_fmaak_f64 v[28:29], v[24:25], v[28:29], 0x3fb19fdd5948aa83
	v_fmaak_f64 v[34:35], v[24:25], v[34:35], 0x409081cba20e5f6f
	;; [unrolled: 3-line block ×10, first 2 shown]
	s_delay_alu instid0(VALU_DEP_4) | instskip(NEXT) | instid1(VALU_DEP_3)
	v_fmaak_f64 v[32:33], v[24:25], v[32:33], 0x406a760a4c54bb0b
	v_fma_f64 v[28:29], v[24:25], v[28:29], 1.0
	s_delay_alu instid0(VALU_DEP_3) | instskip(NEXT) | instid1(VALU_DEP_3)
	v_fmaak_f64 v[34:35], v[24:25], v[34:35], 0x4075017f6ae75997
	v_fmaak_f64 v[32:33], v[24:25], v[32:33], 0x403934ff4d159eb5
	v_fma_f64 v[24:25], v[24:25], v[26:27], 1.0
	s_delay_alu instid0(VALU_DEP_1) | instskip(NEXT) | instid1(VALU_DEP_1)
	v_div_scale_f64 v[26:27], null, v[28:29], v[28:29], v[24:25]
	v_rcp_f64_e32 v[36:37], v[26:27]
	v_nop
	s_delay_alu instid0(TRANS32_DEP_1) | instskip(NEXT) | instid1(VALU_DEP_1)
	v_fma_f64 v[38:39], -v[26:27], v[36:37], 1.0
	v_fmac_f64_e32 v[36:37], v[36:37], v[38:39]
	s_delay_alu instid0(VALU_DEP_1) | instskip(NEXT) | instid1(VALU_DEP_1)
	v_fma_f64 v[38:39], -v[26:27], v[36:37], 1.0
	v_fmac_f64_e32 v[36:37], v[36:37], v[38:39]
	v_div_scale_f64 v[38:39], vcc_lo, v[24:25], v[28:29], v[24:25]
	s_delay_alu instid0(VALU_DEP_1) | instskip(NEXT) | instid1(VALU_DEP_1)
	v_mul_f64_e32 v[48:49], v[38:39], v[36:37]
	v_fma_f64 v[26:27], -v[26:27], v[48:49], v[38:39]
	s_delay_alu instid0(VALU_DEP_1) | instskip(SKIP_1) | instid1(VALU_DEP_2)
	v_div_fmas_f64 v[26:27], v[26:27], v[36:37], v[48:49]
	v_mov_b64_e32 v[48:49], 0x3e21eeb69037ab78
	v_div_fixup_f64 v[24:25], v[26:27], v[28:29], v[24:25]
	v_mul_f64_e32 v[26:27], v[12:13], v[12:13]
	s_delay_alu instid0(VALU_DEP_1) | instskip(NEXT) | instid1(VALU_DEP_4)
	v_mul_f64_e32 v[28:29], 0.5, v[26:27]
	v_fmamk_f64 v[50:51], v[26:27], 0xbda907db46cc5e42, v[48:49]
	v_mul_f64_e64 v[80:81], v[12:13], -v[26:27]
	s_delay_alu instid0(VALU_DEP_2) | instskip(NEXT) | instid1(VALU_DEP_1)
	v_fmaak_f64 v[50:51], v[26:27], v[50:51], 0xbe927e4fa17f65f6
	v_fmaak_f64 v[50:51], v[26:27], v[50:51], 0x3efa01a019f4ec90
	s_delay_alu instid0(VALU_DEP_1) | instskip(NEXT) | instid1(VALU_DEP_1)
	v_fmaak_f64 v[50:51], v[26:27], v[50:51], 0xbf56c16c16c16967
	v_fmaak_f64 v[50:51], v[26:27], v[50:51], 0x3fa5555555555555
	v_add_f64_e64 v[36:37], -v[28:29], 1.0
	s_delay_alu instid0(VALU_DEP_1) | instskip(NEXT) | instid1(VALU_DEP_1)
	v_add_f64_e64 v[38:39], -v[36:37], 1.0
	v_add_f64_e64 v[28:29], v[38:39], -v[28:29]
	v_mul_f64_e32 v[38:39], v[26:27], v[26:27]
	s_delay_alu instid0(VALU_DEP_2) | instskip(NEXT) | instid1(VALU_DEP_1)
	v_fma_f64 v[28:29], v[12:13], -v[18:19], v[28:29]
	v_fmac_f64_e32 v[28:29], v[38:39], v[50:51]
	v_mov_b64_e32 v[50:51], 0x3ec71de3796cde01
	s_delay_alu instid0(VALU_DEP_2) | instskip(SKIP_1) | instid1(VALU_DEP_1)
	v_add_f64_e32 v[28:29], v[36:37], v[28:29]
	v_mov_b64_e32 v[36:37], 0xbe5ae600b42fdfa7
	v_fmamk_f64 v[38:39], v[26:27], 0x3de5e0b2f9a43bb8, v[36:37]
	s_delay_alu instid0(VALU_DEP_1) | instskip(NEXT) | instid1(VALU_DEP_1)
	v_fmaak_f64 v[38:39], v[26:27], v[38:39], 0x3ec71de3796cde01
	v_fmaak_f64 v[38:39], v[26:27], v[38:39], 0xbf2a01a019e83e5c
	s_delay_alu instid0(VALU_DEP_1) | instskip(NEXT) | instid1(VALU_DEP_1)
	v_fmaak_f64 v[38:39], v[26:27], v[38:39], 0x3f81111111110bb3
	v_fmac_f64_e32 v[82:83], v[80:81], v[38:39]
	s_delay_alu instid0(VALU_DEP_1) | instskip(NEXT) | instid1(VALU_DEP_1)
	v_fma_f64 v[18:19], v[26:27], v[82:83], -v[18:19]
	v_fmac_f64_e32 v[18:19], 0xbfc5555555555555, v[80:81]
	s_delay_alu instid0(VALU_DEP_1) | instskip(SKIP_1) | instid1(VALU_DEP_1)
	v_add_f64_e64 v[12:13], v[12:13], -v[18:19]
	v_dual_lshlrev_b32 v15, 30, v15 :: v_dual_bitop2_b32 v18, 1, v15 bitop3:0x40
	v_cmp_eq_u32_e32 vcc_lo, 0, v18
	s_delay_alu instid0(VALU_DEP_2) | instskip(NEXT) | instid1(VALU_DEP_4)
	v_dual_cndmask_b32 v13, v29, v13, vcc_lo :: v_dual_bitop2_b32 v15, v15, v11 bitop3:0x14
	v_cndmask_b32_e32 v12, v28, v12, vcc_lo
	s_delay_alu instid0(VALU_DEP_2) | instskip(NEXT) | instid1(VALU_DEP_2)
	v_bitop3_b32 v13, v13, v15, 0x80000000 bitop3:0x78
	v_cndmask_b32_e64 v10, 0, v12, s0
	s_delay_alu instid0(VALU_DEP_2) | instskip(SKIP_1) | instid1(VALU_DEP_1)
	v_cndmask_b32_e64 v11, 0x7ff80000, v13, s0
	v_div_scale_f64 v[12:13], null, v[34:35], v[34:35], v[32:33]
	v_rcp_f64_e32 v[18:19], v[12:13]
	v_nop
	s_delay_alu instid0(TRANS32_DEP_1) | instskip(NEXT) | instid1(VALU_DEP_1)
	v_fma_f64 v[26:27], -v[12:13], v[18:19], 1.0
	v_fmac_f64_e32 v[18:19], v[18:19], v[26:27]
	s_delay_alu instid0(VALU_DEP_1) | instskip(NEXT) | instid1(VALU_DEP_1)
	v_fma_f64 v[26:27], -v[12:13], v[18:19], 1.0
	v_fmac_f64_e32 v[18:19], v[18:19], v[26:27]
	v_div_scale_f64 v[26:27], vcc_lo, v[32:33], v[34:35], v[32:33]
	s_delay_alu instid0(VALU_DEP_1) | instskip(NEXT) | instid1(VALU_DEP_1)
	v_mul_f64_e32 v[28:29], v[26:27], v[18:19]
	v_fma_f64 v[12:13], -v[12:13], v[28:29], v[26:27]
	s_delay_alu instid0(VALU_DEP_1) | instskip(SKIP_1) | instid1(VALU_DEP_2)
	v_div_fmas_f64 v[12:13], v[12:13], v[18:19], v[28:29]
	v_mul_f64_e32 v[18:19], v[16:17], v[16:17]
	v_div_fixup_f64 v[12:13], v[12:13], v[34:35], v[32:33]
	s_delay_alu instid0(VALU_DEP_2) | instskip(SKIP_1) | instid1(VALU_DEP_3)
	v_fmac_f64_e32 v[48:49], 0xbda907db46cc5e42, v[18:19]
	v_fmac_f64_e32 v[36:37], 0x3de5e0b2f9a43bb8, v[18:19]
	v_mul_f64_e32 v[12:13], v[22:23], v[12:13]
	v_mul_f64_e32 v[22:23], 0.5, v[18:19]
	s_delay_alu instid0(VALU_DEP_4) | instskip(NEXT) | instid1(VALU_DEP_4)
	v_fmac_f64_e32 v[52:53], v[18:19], v[48:49]
	v_fmac_f64_e32 v[50:51], v[18:19], v[36:37]
	s_delay_alu instid0(VALU_DEP_3) | instskip(NEXT) | instid1(VALU_DEP_3)
	v_add_f64_e64 v[26:27], -v[22:23], 1.0
	v_fmac_f64_e32 v[54:55], v[18:19], v[52:53]
	s_delay_alu instid0(VALU_DEP_3) | instskip(NEXT) | instid1(VALU_DEP_3)
	v_fmac_f64_e32 v[68:69], v[18:19], v[50:51]
	v_add_f64_e64 v[28:29], -v[26:27], 1.0
	s_delay_alu instid0(VALU_DEP_3) | instskip(NEXT) | instid1(VALU_DEP_3)
	v_fmac_f64_e32 v[64:65], v[18:19], v[54:55]
	v_fmac_f64_e32 v[70:71], v[18:19], v[68:69]
	s_delay_alu instid0(VALU_DEP_3) | instskip(SKIP_1) | instid1(VALU_DEP_4)
	v_add_f64_e64 v[22:23], v[28:29], -v[22:23]
	v_mul_f64_e32 v[28:29], v[18:19], v[18:19]
	v_fmac_f64_e32 v[66:67], v[18:19], v[64:65]
	s_delay_alu instid0(VALU_DEP_3) | instskip(NEXT) | instid1(VALU_DEP_1)
	v_fma_f64 v[22:23], v[16:17], -v[20:21], v[22:23]
	v_fmac_f64_e32 v[22:23], v[28:29], v[66:67]
	v_mul_f64_e32 v[28:29], 0.5, v[20:21]
	s_delay_alu instid0(VALU_DEP_2) | instskip(SKIP_1) | instid1(VALU_DEP_1)
	v_add_f64_e32 v[22:23], v[26:27], v[22:23]
	v_mul_f64_e64 v[26:27], v[16:17], -v[18:19]
	v_fmac_f64_e32 v[28:29], v[26:27], v[70:71]
	s_delay_alu instid0(VALU_DEP_1) | instskip(NEXT) | instid1(VALU_DEP_1)
	v_fma_f64 v[18:19], v[18:19], v[28:29], -v[20:21]
	v_fmac_f64_e32 v[18:19], 0xbfc5555555555555, v[26:27]
	s_delay_alu instid0(VALU_DEP_1) | instskip(NEXT) | instid1(VALU_DEP_1)
	v_add_f64_e64 v[16:17], v[16:17], -v[18:19]
	v_xor_b32_e32 v15, 0x80000000, v17
	v_and_b32_e32 v17, 1, v30
	s_delay_alu instid0(VALU_DEP_1) | instskip(NEXT) | instid1(VALU_DEP_3)
	v_cmp_eq_u32_e32 vcc_lo, 0, v17
	v_dual_lshlrev_b32 v17, 30, v30 :: v_dual_cndmask_b32 v15, v15, v23, vcc_lo
	v_cndmask_b32_e32 v16, v16, v22, vcc_lo
	v_cmp_gt_f64_e32 vcc_lo, 0x10000000, v[2:3]
	s_delay_alu instid0(VALU_DEP_3) | instskip(NEXT) | instid1(VALU_DEP_3)
	v_bitop3_b32 v15, v15, v17, 0x80000000 bitop3:0x78
	v_cndmask_b32_e64 v16, 0, v16, s0
	s_delay_alu instid0(VALU_DEP_2) | instskip(NEXT) | instid1(VALU_DEP_1)
	v_cndmask_b32_e64 v17, 0x7ff80000, v15, s0
	v_mul_f64_e32 v[12:13], v[12:13], v[16:17]
	s_delay_alu instid0(VALU_DEP_1) | instskip(NEXT) | instid1(VALU_DEP_1)
	v_fmac_f64_e32 v[12:13], v[24:25], v[10:11]
	v_mul_f64_e32 v[10:11], 0x3fe9884533d43651, v[12:13]
	v_cndmask_b32_e64 v12, 0, 0x100, vcc_lo
	s_delay_alu instid0(VALU_DEP_1) | instskip(NEXT) | instid1(VALU_DEP_1)
	v_ldexp_f64 v[2:3], v[2:3], v12
	v_rsq_f64_e32 v[12:13], v[2:3]
	v_nop
	s_delay_alu instid0(TRANS32_DEP_1) | instskip(SKIP_1) | instid1(VALU_DEP_1)
	v_mul_f64_e32 v[16:17], v[2:3], v[12:13]
	v_mul_f64_e32 v[12:13], 0.5, v[12:13]
	v_fma_f64 v[18:19], -v[12:13], v[16:17], 0.5
	s_delay_alu instid0(VALU_DEP_1) | instskip(SKIP_1) | instid1(VALU_DEP_2)
	v_fmac_f64_e32 v[16:17], v[16:17], v[18:19]
	v_fmac_f64_e32 v[12:13], v[12:13], v[18:19]
	v_fma_f64 v[20:21], -v[16:17], v[16:17], v[2:3]
	s_delay_alu instid0(VALU_DEP_1) | instskip(NEXT) | instid1(VALU_DEP_1)
	v_fmac_f64_e32 v[16:17], v[20:21], v[12:13]
	v_fma_f64 v[18:19], -v[16:17], v[16:17], v[2:3]
	s_delay_alu instid0(VALU_DEP_1) | instskip(SKIP_2) | instid1(VALU_DEP_2)
	v_fmac_f64_e32 v[16:17], v[18:19], v[12:13]
	v_cndmask_b32_e64 v12, 0, 0xffffff80, vcc_lo
	v_cmp_class_f64_e64 vcc_lo, v[2:3], 0x260
	v_ldexp_f64 v[12:13], v[16:17], v12
	s_delay_alu instid0(VALU_DEP_1) | instskip(NEXT) | instid1(VALU_DEP_1)
	v_dual_cndmask_b32 v3, v13, v3 :: v_dual_cndmask_b32 v2, v12, v2
	v_div_scale_f64 v[12:13], null, v[2:3], v[2:3], v[10:11]
	s_delay_alu instid0(VALU_DEP_1) | instskip(SKIP_1) | instid1(TRANS32_DEP_1)
	v_rcp_f64_e32 v[16:17], v[12:13]
	v_nop
	v_fma_f64 v[18:19], -v[12:13], v[16:17], 1.0
	s_delay_alu instid0(VALU_DEP_1) | instskip(NEXT) | instid1(VALU_DEP_1)
	v_fmac_f64_e32 v[16:17], v[16:17], v[18:19]
	v_fma_f64 v[18:19], -v[12:13], v[16:17], 1.0
	s_delay_alu instid0(VALU_DEP_1) | instskip(SKIP_1) | instid1(VALU_DEP_1)
	v_fmac_f64_e32 v[16:17], v[16:17], v[18:19]
	v_div_scale_f64 v[18:19], vcc_lo, v[10:11], v[2:3], v[10:11]
	v_mul_f64_e32 v[20:21], v[18:19], v[16:17]
	s_delay_alu instid0(VALU_DEP_1) | instskip(NEXT) | instid1(VALU_DEP_1)
	v_fma_f64 v[12:13], -v[12:13], v[20:21], v[18:19]
	v_div_fmas_f64 v[12:13], v[12:13], v[16:17], v[20:21]
	s_delay_alu instid0(VALU_DEP_1)
	v_div_fixup_f64 v[10:11], v[12:13], v[2:3], v[10:11]
.LBB1_48:
	s_or_b32 exec_lo, exec_lo, s1
	s_delay_alu instid0(SALU_CYCLE_1)
	s_mov_b32 s0, exec_lo
	v_cmpx_ge_f64_e32 0x40140000, v[4:5]
	s_xor_b32 s1, exec_lo, s0
	s_cbranch_execz .LBB1_54
; %bb.49:
	v_mov_b64_e32 v[12:13], 0xfff0000000000000
	s_mov_b32 s4, exec_lo
	v_cmpx_neq_f64_e32 0, v[4:5]
	s_cbranch_execz .LBB1_53
; %bb.50:
	v_mov_b64_e32 v[12:13], 0x7ff8000000000000
	s_mov_b32 s5, exec_lo
	v_cmpx_nge_f64_e32 0, v[4:5]
	s_cbranch_execz .LBB1_52
; %bb.51:
	v_frexp_mant_f64_e32 v[2:3], v[4:5]
	s_mov_b64 s[6:7], 0x3fe5555555555555
	v_frexp_exp_i32_f64_e32 v15, v[4:5]
	s_delay_alu instid0(VALU_DEP_2) | instskip(SKIP_2) | instid1(VALU_DEP_3)
	v_cmp_gt_f64_e32 vcc_lo, s[6:7], v[2:3]
	s_mov_b64 s[6:7], 0x3fc3ab76bf559e2b
	v_cndmask_b32_e64 v12, 0, 1, vcc_lo
	v_subrev_co_ci_u32_e64 v15, null, 0, v15, vcc_lo
	s_delay_alu instid0(VALU_DEP_2) | instskip(NEXT) | instid1(VALU_DEP_1)
	v_ldexp_f64 v[2:3], v[2:3], v12
	v_add_f64_e32 v[12:13], 1.0, v[2:3]
	v_add_f64_e32 v[20:21], -1.0, v[2:3]
	s_delay_alu instid0(VALU_DEP_2) | instskip(SKIP_1) | instid1(VALU_DEP_1)
	v_rcp_f64_e32 v[16:17], v[12:13]
	v_add_f64_e32 v[22:23], -1.0, v[12:13]
	v_add_f64_e64 v[2:3], v[2:3], -v[22:23]
	s_delay_alu instid0(TRANS32_DEP_1) | instskip(NEXT) | instid1(VALU_DEP_1)
	v_fma_f64 v[18:19], -v[12:13], v[16:17], 1.0
	v_fmac_f64_e32 v[16:17], v[18:19], v[16:17]
	s_delay_alu instid0(VALU_DEP_1) | instskip(NEXT) | instid1(VALU_DEP_1)
	v_fma_f64 v[18:19], -v[12:13], v[16:17], 1.0
	v_fmac_f64_e32 v[16:17], v[18:19], v[16:17]
	s_delay_alu instid0(VALU_DEP_1) | instskip(NEXT) | instid1(VALU_DEP_1)
	v_mul_f64_e32 v[18:19], v[20:21], v[16:17]
	v_mul_f64_e32 v[24:25], v[12:13], v[18:19]
	s_delay_alu instid0(VALU_DEP_1) | instskip(NEXT) | instid1(VALU_DEP_1)
	v_fma_f64 v[12:13], v[18:19], v[12:13], -v[24:25]
	v_fmac_f64_e32 v[12:13], v[18:19], v[2:3]
	s_delay_alu instid0(VALU_DEP_1) | instskip(NEXT) | instid1(VALU_DEP_1)
	v_add_f64_e32 v[2:3], v[24:25], v[12:13]
	v_add_f64_e64 v[22:23], v[20:21], -v[2:3]
	v_add_f64_e64 v[24:25], v[2:3], -v[24:25]
	s_delay_alu instid0(VALU_DEP_2) | instskip(NEXT) | instid1(VALU_DEP_2)
	v_add_f64_e64 v[20:21], v[20:21], -v[22:23]
	v_add_f64_e64 v[12:13], v[24:25], -v[12:13]
	v_cvt_f64_i32_e32 v[24:25], v15
	s_delay_alu instid0(VALU_DEP_3) | instskip(NEXT) | instid1(VALU_DEP_2)
	v_add_f64_e64 v[2:3], v[20:21], -v[2:3]
	v_mul_f64_e32 v[30:31], 0x3fe62e42fefa39ef, v[24:25]
	s_delay_alu instid0(VALU_DEP_2) | instskip(NEXT) | instid1(VALU_DEP_1)
	v_add_f64_e32 v[2:3], v[12:13], v[2:3]
	v_add_f64_e32 v[2:3], v[22:23], v[2:3]
	s_delay_alu instid0(VALU_DEP_1) | instskip(NEXT) | instid1(VALU_DEP_1)
	v_mul_f64_e32 v[2:3], v[16:17], v[2:3]
	v_add_f64_e32 v[12:13], v[18:19], v[2:3]
	s_delay_alu instid0(VALU_DEP_1) | instskip(NEXT) | instid1(VALU_DEP_1)
	v_mul_f64_e32 v[16:17], v[12:13], v[12:13]
	v_fmaak_f64 v[20:21], s[6:7], v[16:17], 0x3fc385386b47b09a
	v_mul_f64_e32 v[22:23], v[12:13], v[16:17]
	s_mov_b64 s[6:7], 0x3fe62e42fefa39ef
	s_delay_alu instid0(SALU_CYCLE_1) | instskip(NEXT) | instid1(VALU_DEP_3)
	v_fma_f64 v[34:35], v[24:25], s[6:7], -v[30:31]
	v_fmaak_f64 v[20:21], v[16:17], v[20:21], 0x3fc7474dd7f4df2e
	s_delay_alu instid0(VALU_DEP_1) | instskip(NEXT) | instid1(VALU_DEP_1)
	v_fmaak_f64 v[20:21], v[16:17], v[20:21], 0x3fcc71c016291751
	v_fmaak_f64 v[20:21], v[16:17], v[20:21], 0x3fd249249b27acf1
	s_delay_alu instid0(VALU_DEP_1) | instskip(NEXT) | instid1(VALU_DEP_1)
	v_fmaak_f64 v[20:21], v[16:17], v[20:21], 0x3fd99999998ef7b6
	v_fmaak_f64 v[16:17], v[16:17], v[20:21], 0x3fe5555555555780
	v_ldexp_f64 v[20:21], v[12:13], 1
	v_add_f64_e64 v[12:13], v[12:13], -v[18:19]
	v_fmamk_f64 v[24:25], v[24:25], 0x3c7abc9e3b39803f, v[34:35]
	s_delay_alu instid0(VALU_DEP_4) | instskip(SKIP_1) | instid1(VALU_DEP_3)
	v_mul_f64_e32 v[16:17], v[22:23], v[16:17]
	v_mul_f64_e32 v[22:23], v[4:5], v[4:5]
	v_add_f64_e32 v[34:35], v[30:31], v[24:25]
	v_add_f64_e64 v[2:3], v[2:3], -v[12:13]
	s_delay_alu instid0(VALU_DEP_4) | instskip(NEXT) | instid1(VALU_DEP_4)
	v_add_f64_e32 v[18:19], v[20:21], v[16:17]
	v_fmaak_f64 v[26:27], 0, v[22:23], 0x40829269a93f7ac2
	v_fmaak_f64 v[28:29], 0, v[22:23], 0x408366b11b7086e7
	;; [unrolled: 1-line block ×3, first 2 shown]
	v_add_f64_e64 v[30:31], v[34:35], -v[30:31]
	v_ldexp_f64 v[2:3], v[2:3], 1
	v_add_f64_e64 v[12:13], v[18:19], -v[20:21]
	v_fmaak_f64 v[20:21], v[22:23], v[26:27], 0x410cc160be58ef7f
	v_fmaak_f64 v[26:27], v[22:23], v[28:29], 0x410f5eda0dd701b2
	;; [unrolled: 1-line block ×3, first 2 shown]
	v_add_f64_e64 v[24:25], v[24:25], -v[30:31]
	s_delay_alu instid0(VALU_DEP_4) | instskip(NEXT) | instid1(VALU_DEP_4)
	v_fmaak_f64 v[20:21], v[22:23], v[20:21], 0x419184efa9c8acee
	v_fmaak_f64 v[26:27], v[22:23], v[26:27], 0x4193e954dc92a1b1
	s_delay_alu instid0(VALU_DEP_4) | instskip(NEXT) | instid1(VALU_DEP_3)
	v_fmaak_f64 v[28:29], v[22:23], v[28:29], 0xc262d72d58836521
	v_fmaak_f64 v[20:21], v[22:23], v[20:21], 0x421178c3906b7b83
	s_delay_alu instid0(VALU_DEP_3) | instskip(NEXT) | instid1(VALU_DEP_3)
	v_fmaak_f64 v[26:27], v[22:23], v[26:27], 0x4214a13f7befeac1
	v_fmaak_f64 v[28:29], v[22:23], v[28:29], 0x42da0954b0910fef
	s_delay_alu instid0(VALU_DEP_3) | instskip(NEXT) | instid1(VALU_DEP_3)
	;; [unrolled: 3-line block ×4, first 2 shown]
	v_fmaak_f64 v[26:27], v[22:23], v[26:27], 0x43064b0a3eccf45f
	v_fmaak_f64 v[28:29], v[22:23], v[28:29], 0x438679ad0b7366b1
	v_add_f64_e64 v[12:13], v[16:17], -v[12:13]
	v_fmaak_f64 v[16:17], v[22:23], v[32:33], 0x425a52ba0d438c6b
	v_fmaak_f64 v[20:21], v[22:23], v[20:21], 0x436e83e3c547a488
	;; [unrolled: 1-line block ×4, first 2 shown]
	s_delay_alu instid0(VALU_DEP_4) | instskip(NEXT) | instid1(VALU_DEP_4)
	v_fmaak_f64 v[16:17], v[22:23], v[16:17], 0xc2d08a92e6ccf175
	v_fmaak_f64 v[20:21], v[22:23], v[20:21], 0x43cb90f190f6747f
	s_delay_alu instid0(VALU_DEP_2) | instskip(SKIP_1) | instid1(VALU_DEP_3)
	v_fmaak_f64 v[16:17], v[22:23], v[16:17], 0x432a2b42a697c482
	v_fmaak_f64 v[22:23], v[22:23], v[26:27], 0x43d2779576702939
	v_div_scale_f64 v[26:27], null, v[20:21], v[20:21], v[28:29]
	v_div_scale_f64 v[70:71], vcc_lo, v[28:29], v[20:21], v[28:29]
	s_delay_alu instid0(VALU_DEP_3) | instskip(SKIP_1) | instid1(VALU_DEP_4)
	v_div_scale_f64 v[32:33], null, v[22:23], v[22:23], v[16:17]
	v_add_f64_e32 v[2:3], v[2:3], v[12:13]
	v_rcp_f64_e32 v[12:13], v[26:27]
	s_delay_alu instid0(VALU_DEP_2) | instskip(NEXT) | instid1(VALU_DEP_1)
	v_rcp_f64_e32 v[36:37], v[32:33]
	v_add_f64_e32 v[38:39], v[18:19], v[2:3]
	s_delay_alu instid0(TRANS32_DEP_2) | instskip(NEXT) | instid1(TRANS32_DEP_1)
	v_fma_f64 v[48:49], -v[26:27], v[12:13], 1.0
	v_fma_f64 v[50:51], -v[32:33], v[36:37], 1.0
	s_delay_alu instid0(VALU_DEP_3) | instskip(SKIP_1) | instid1(VALU_DEP_4)
	v_add_f64_e32 v[52:53], v[34:35], v[38:39]
	v_add_f64_e64 v[18:19], v[38:39], -v[18:19]
	v_fmac_f64_e32 v[12:13], v[12:13], v[48:49]
	v_div_scale_f64 v[48:49], null, v[4:5], v[4:5], -1.0
	v_fmac_f64_e32 v[36:37], v[36:37], v[50:51]
	v_add_f64_e64 v[50:51], v[52:53], -v[34:35]
	v_add_f64_e64 v[2:3], v[2:3], -v[18:19]
	v_fma_f64 v[54:55], -v[26:27], v[12:13], 1.0
	v_rcp_f64_e32 v[64:65], v[48:49]
	s_delay_alu instid0(VALU_DEP_4) | instskip(NEXT) | instid1(VALU_DEP_4)
	v_fma_f64 v[66:67], -v[32:33], v[36:37], 1.0
	v_add_f64_e64 v[68:69], v[52:53], -v[50:51]
	v_add_f64_e64 v[18:19], v[38:39], -v[50:51]
	s_delay_alu instid0(VALU_DEP_4) | instskip(SKIP_4) | instid1(TRANS32_DEP_1)
	v_fmac_f64_e32 v[12:13], v[12:13], v[54:55]
	v_div_scale_f64 v[54:55], s0, v[16:17], v[22:23], v[16:17]
	v_fmac_f64_e32 v[36:37], v[36:37], v[66:67]
	v_add_f64_e32 v[66:67], v[24:25], v[2:3]
	v_add_f64_e64 v[30:31], v[34:35], -v[68:69]
	v_fma_f64 v[34:35], -v[48:49], v[64:65], 1.0
	v_mul_f64_e32 v[38:39], v[70:71], v[12:13]
	v_mul_f64_e32 v[50:51], v[54:55], v[36:37]
	s_delay_alu instid0(VALU_DEP_4) | instskip(NEXT) | instid1(VALU_DEP_4)
	v_add_f64_e32 v[18:19], v[18:19], v[30:31]
	v_fmac_f64_e32 v[64:65], v[64:65], v[34:35]
	s_delay_alu instid0(VALU_DEP_4) | instskip(NEXT) | instid1(VALU_DEP_4)
	v_fma_f64 v[26:27], -v[26:27], v[38:39], v[70:71]
	v_fma_f64 v[30:31], -v[32:33], v[50:51], v[54:55]
	v_add_f64_e64 v[32:33], v[66:67], -v[24:25]
	v_add_f64_e32 v[18:19], v[66:67], v[18:19]
	v_fma_f64 v[34:35], -v[48:49], v[64:65], 1.0
	v_div_fmas_f64 v[12:13], v[26:27], v[12:13], v[38:39]
	s_mov_b32 vcc_lo, s0
	v_div_fmas_f64 v[26:27], v[30:31], v[36:37], v[50:51]
	v_add_f64_e64 v[30:31], v[66:67], -v[32:33]
	v_div_scale_f64 v[38:39], vcc_lo, -1.0, v[4:5], -1.0
	v_add_f64_e32 v[36:37], v[52:53], v[18:19]
	v_fmac_f64_e32 v[64:65], v[64:65], v[34:35]
	v_add_f64_e64 v[2:3], v[2:3], -v[32:33]
	v_div_fixup_f64 v[16:17], v[26:27], v[22:23], v[16:17]
	v_add_f64_e64 v[22:23], v[24:25], -v[30:31]
	v_add_f64_e64 v[24:25], v[36:37], -v[52:53]
	v_mul_f64_e32 v[26:27], v[38:39], v[64:65]
	s_delay_alu instid0(VALU_DEP_4) | instskip(NEXT) | instid1(VALU_DEP_4)
	v_mul_f64_e32 v[16:17], v[4:5], v[16:17]
	v_add_f64_e32 v[2:3], v[2:3], v[22:23]
	s_delay_alu instid0(VALU_DEP_4) | instskip(NEXT) | instid1(VALU_DEP_4)
	v_add_f64_e64 v[18:19], v[18:19], -v[24:25]
	v_fma_f64 v[22:23], -v[48:49], v[26:27], v[38:39]
	v_fmaak_f64 v[24:25], v[4:5], v[4:5], 0xc02d5d2b4189822c
	s_delay_alu instid0(VALU_DEP_1) | instskip(NEXT) | instid1(VALU_DEP_4)
	v_mul_f64_e32 v[16:17], v[24:25], v[16:17]
	v_add_f64_e32 v[2:3], v[2:3], v[18:19]
	s_delay_alu instid0(VALU_DEP_4) | instskip(SKIP_1) | instid1(VALU_DEP_1)
	v_div_fmas_f64 v[18:19], v[22:23], v[64:65], v[26:27]
	v_fmaak_f64 v[22:23], v[4:5], v[4:5], 0xc0489bf66072a432
	v_mul_f64_e32 v[16:17], v[22:23], v[16:17]
	s_delay_alu instid0(VALU_DEP_4) | instskip(NEXT) | instid1(VALU_DEP_4)
	v_add_f64_e32 v[2:3], v[36:37], v[2:3]
	v_div_fixup_f64 v[18:19], v[18:19], v[4:5], -1.0
	s_delay_alu instid0(VALU_DEP_1) | instskip(SKIP_1) | instid1(VALU_DEP_2)
	v_fmac_f64_e32 v[18:19], v[16:17], v[2:3]
	v_div_fixup_f64 v[2:3], v[12:13], v[20:21], v[28:29]
	v_mul_f64_e32 v[12:13], 0x3fe45f306dc9c883, v[18:19]
	s_delay_alu instid0(VALU_DEP_1)
	v_fmac_f64_e32 v[12:13], v[4:5], v[2:3]
.LBB1_52:
	s_or_b32 exec_lo, exec_lo, s5
.LBB1_53:
	s_delay_alu instid0(SALU_CYCLE_1)
	s_or_b32 exec_lo, exec_lo, s4
                                        ; implicit-def: $vgpr4_vgpr5
.LBB1_54:
	s_and_not1_saveexec_b32 s1, s1
	s_cbranch_execz .LBB1_64
; %bb.55:
	v_add_f64_e32 v[2:3], 0xc002d97c7f3321d2, v[4:5]
                                        ; implicit-def: $vgpr15
                                        ; implicit-def: $vgpr12_vgpr13
                                        ; implicit-def: $vgpr18_vgpr19
	s_delay_alu instid0(VALU_DEP_1)
	v_cmp_ngt_f64_e64 s0, 0x41d00000, |v[2:3]|
	v_trig_preop_f64 v[26:27], |v[2:3]|, 0
	v_trig_preop_f64 v[24:25], |v[2:3]|, 1
	v_ldexp_f64 v[28:29], |v[2:3]|, 0xffffff80
	v_trig_preop_f64 v[22:23], |v[2:3]|, 2
	v_and_b32_e32 v31, 0x7fffffff, v3
	s_and_saveexec_b32 s4, s0
	s_delay_alu instid0(SALU_CYCLE_1)
	s_xor_b32 s4, exec_lo, s4
	s_cbranch_execz .LBB1_57
; %bb.56:
	v_cmp_le_f64_e64 vcc_lo, 0x7b000000, |v[2:3]|
	s_mov_b64 s[6:7], 0x3ff921fb54442d18
	v_dual_mov_b32 v52, 0 :: v_dual_cndmask_b32 v13, v31, v29
	v_cndmask_b32_e32 v12, v2, v28, vcc_lo
	s_delay_alu instid0(VALU_DEP_1) | instskip(SKIP_2) | instid1(VALU_DEP_3)
	v_mul_f64_e32 v[16:17], v[26:27], v[12:13]
	v_mul_f64_e32 v[18:19], v[24:25], v[12:13]
	;; [unrolled: 1-line block ×3, first 2 shown]
	v_fma_f64 v[20:21], v[26:27], v[12:13], -v[16:17]
	s_delay_alu instid0(VALU_DEP_3) | instskip(NEXT) | instid1(VALU_DEP_3)
	v_fma_f64 v[50:51], v[24:25], v[12:13], -v[18:19]
	v_fma_f64 v[12:13], v[22:23], v[12:13], -v[48:49]
	s_delay_alu instid0(VALU_DEP_3) | instskip(NEXT) | instid1(VALU_DEP_1)
	v_add_f64_e32 v[32:33], v[18:19], v[20:21]
	v_add_f64_e64 v[34:35], v[32:33], -v[18:19]
	v_add_f64_e32 v[38:39], v[16:17], v[32:33]
	s_delay_alu instid0(VALU_DEP_2) | instskip(SKIP_1) | instid1(VALU_DEP_3)
	v_add_f64_e64 v[36:37], v[32:33], -v[34:35]
	v_add_f64_e64 v[20:21], v[20:21], -v[34:35]
	v_ldexp_f64 v[34:35], v[38:39], -2
	v_add_f64_e64 v[16:17], v[38:39], -v[16:17]
	s_delay_alu instid0(VALU_DEP_4) | instskip(SKIP_1) | instid1(VALU_DEP_4)
	v_add_f64_e64 v[18:19], v[18:19], -v[36:37]
	v_add_f64_e32 v[36:37], v[48:49], v[50:51]
	v_cmp_neq_f64_e64 vcc_lo, 0x7ff00000, |v[34:35]|
	s_delay_alu instid0(VALU_DEP_4) | instskip(NEXT) | instid1(VALU_DEP_4)
	v_add_f64_e64 v[16:17], v[32:33], -v[16:17]
	v_add_f64_e32 v[18:19], v[20:21], v[18:19]
	v_fract_f64_e32 v[20:21], v[34:35]
	s_delay_alu instid0(VALU_DEP_2) | instskip(NEXT) | instid1(VALU_DEP_2)
	v_add_f64_e32 v[32:33], v[36:37], v[18:19]
	v_ldexp_f64 v[20:21], v[20:21], 2
	s_delay_alu instid0(VALU_DEP_2) | instskip(NEXT) | instid1(VALU_DEP_2)
	v_add_f64_e32 v[34:35], v[16:17], v[32:33]
	v_dual_cndmask_b32 v21, 0, v21 :: v_dual_cndmask_b32 v20, 0, v20
	v_add_f64_e64 v[54:55], v[32:33], -v[36:37]
	s_delay_alu instid0(VALU_DEP_2) | instskip(SKIP_1) | instid1(VALU_DEP_3)
	v_add_f64_e32 v[38:39], v[34:35], v[20:21]
	v_add_f64_e64 v[16:17], v[34:35], -v[16:17]
	v_add_f64_e64 v[68:69], v[32:33], -v[54:55]
	;; [unrolled: 1-line block ×3, first 2 shown]
	s_delay_alu instid0(VALU_DEP_4) | instskip(SKIP_3) | instid1(VALU_DEP_3)
	v_cmp_gt_f64_e32 vcc_lo, 0, v[38:39]
	v_add_f64_e64 v[38:39], v[36:37], -v[48:49]
	v_add_f64_e64 v[16:17], v[32:33], -v[16:17]
	v_cndmask_b32_e64 v53, 0, 0x40100000, vcc_lo
	v_add_f64_e64 v[66:67], v[36:37], -v[38:39]
	v_add_f64_e64 v[38:39], v[50:51], -v[38:39]
	;; [unrolled: 1-line block ×3, first 2 shown]
	s_delay_alu instid0(VALU_DEP_4) | instskip(NEXT) | instid1(VALU_DEP_4)
	v_add_f64_e32 v[20:21], v[20:21], v[52:53]
	v_add_f64_e64 v[50:51], v[48:49], -v[66:67]
	s_delay_alu instid0(VALU_DEP_3) | instskip(NEXT) | instid1(VALU_DEP_3)
	v_add_f64_e32 v[18:19], v[18:19], v[36:37]
	v_add_f64_e32 v[64:65], v[34:35], v[20:21]
	s_delay_alu instid0(VALU_DEP_3) | instskip(NEXT) | instid1(VALU_DEP_2)
	v_add_f64_e32 v[38:39], v[38:39], v[50:51]
	v_cvt_i32_f64_e32 v15, v[64:65]
	s_delay_alu instid0(VALU_DEP_2) | instskip(NEXT) | instid1(VALU_DEP_2)
	v_add_f64_e32 v[18:19], v[38:39], v[18:19]
	v_cvt_f64_i32_e32 v[54:55], v15
	s_delay_alu instid0(VALU_DEP_2) | instskip(NEXT) | instid1(VALU_DEP_2)
	v_add_f64_e32 v[12:13], v[12:13], v[18:19]
	v_add_f64_e64 v[20:21], v[20:21], -v[54:55]
	s_delay_alu instid0(VALU_DEP_2) | instskip(NEXT) | instid1(VALU_DEP_2)
	v_add_f64_e32 v[12:13], v[16:17], v[12:13]
	v_add_f64_e32 v[36:37], v[34:35], v[20:21]
	s_delay_alu instid0(VALU_DEP_1) | instskip(SKIP_1) | instid1(VALU_DEP_2)
	v_add_f64_e64 v[18:19], v[36:37], -v[20:21]
	v_cmp_le_f64_e32 vcc_lo, 0.5, v[36:37]
	v_add_f64_e64 v[16:17], v[34:35], -v[18:19]
	v_cndmask_b32_e64 v53, 0, 0x3ff00000, vcc_lo
	v_add_co_ci_u32_e64 v15, null, 0, v15, vcc_lo
	s_delay_alu instid0(VALU_DEP_3) | instskip(NEXT) | instid1(VALU_DEP_3)
	v_add_f64_e32 v[12:13], v[12:13], v[16:17]
	v_add_f64_e64 v[16:17], v[36:37], -v[52:53]
	s_delay_alu instid0(VALU_DEP_1) | instskip(NEXT) | instid1(VALU_DEP_1)
	v_add_f64_e32 v[18:19], v[16:17], v[12:13]
	v_mul_f64_e32 v[20:21], 0x3ff921fb54442d18, v[18:19]
	v_add_f64_e64 v[16:17], v[18:19], -v[16:17]
	s_delay_alu instid0(VALU_DEP_2) | instskip(NEXT) | instid1(VALU_DEP_2)
	v_fma_f64 v[32:33], v[18:19], s[6:7], -v[20:21]
	v_add_f64_e64 v[12:13], v[12:13], -v[16:17]
	s_delay_alu instid0(VALU_DEP_2) | instskip(NEXT) | instid1(VALU_DEP_1)
	v_fmamk_f64 v[16:17], v[18:19], 0x3c91a62633145c07, v[32:33]
	v_fmac_f64_e32 v[16:17], 0x3ff921fb54442d18, v[12:13]
	s_delay_alu instid0(VALU_DEP_1) | instskip(NEXT) | instid1(VALU_DEP_1)
	v_add_f64_e32 v[12:13], v[20:21], v[16:17]
	v_add_f64_e64 v[18:19], v[12:13], -v[20:21]
	s_delay_alu instid0(VALU_DEP_1)
	v_add_f64_e64 v[18:19], v[16:17], -v[18:19]
	s_and_not1_saveexec_b32 s4, s4
	s_cbranch_execz .LBB1_59
	s_branch .LBB1_58
.LBB1_57:
	s_and_not1_saveexec_b32 s4, s4
	s_cbranch_execz .LBB1_59
.LBB1_58:
	s_mov_b64 s[6:7], 0x3fe45f306dc9c883
	s_delay_alu instid0(SALU_CYCLE_1) | instskip(SKIP_1) | instid1(VALU_DEP_1)
	v_mul_f64_e64 v[12:13], |v[2:3]|, s[6:7]
	s_mov_b64 s[6:7], 0xbff921fb54442d18
	v_rndne_f64_e32 v[16:17], v[12:13]
	s_delay_alu instid0(VALU_DEP_1) | instskip(SKIP_2) | instid1(VALU_DEP_3)
	v_fma_f64 v[12:13], v[16:17], s[6:7], |v[2:3]|
	v_mul_f64_e32 v[18:19], 0xbc91a62633145c00, v[16:17]
	v_cvt_i32_f64_e32 v15, v[16:17]
	v_fmamk_f64 v[34:35], v[16:17], 0xbc91a62633145c00, v[12:13]
	s_delay_alu instid0(VALU_DEP_3) | instskip(NEXT) | instid1(VALU_DEP_1)
	v_add_f64_e32 v[20:21], v[12:13], v[18:19]
	v_add_f64_e64 v[32:33], v[12:13], -v[20:21]
	s_delay_alu instid0(VALU_DEP_3) | instskip(NEXT) | instid1(VALU_DEP_2)
	v_add_f64_e64 v[12:13], v[20:21], -v[34:35]
	v_add_f64_e32 v[20:21], v[32:33], v[18:19]
	v_fmamk_f64 v[18:19], v[16:17], 0x3c91a62633145c00, v[18:19]
	s_delay_alu instid0(VALU_DEP_2) | instskip(NEXT) | instid1(VALU_DEP_1)
	v_add_f64_e32 v[12:13], v[12:13], v[20:21]
	v_add_f64_e64 v[12:13], v[12:13], -v[18:19]
	s_delay_alu instid0(VALU_DEP_1) | instskip(NEXT) | instid1(VALU_DEP_1)
	v_fmamk_f64 v[18:19], v[16:17], 0xb97b839a252049c0, v[12:13]
	v_add_f64_e32 v[12:13], v[34:35], v[18:19]
	s_delay_alu instid0(VALU_DEP_1) | instskip(NEXT) | instid1(VALU_DEP_1)
	v_add_f64_e64 v[20:21], v[12:13], -v[34:35]
	v_add_f64_e64 v[18:19], v[18:19], -v[20:21]
.LBB1_59:
	s_or_b32 exec_lo, exec_lo, s4
                                        ; implicit-def: $vgpr30
                                        ; implicit-def: $vgpr16_vgpr17
                                        ; implicit-def: $vgpr20_vgpr21
	s_and_saveexec_b32 s4, s0
	s_delay_alu instid0(SALU_CYCLE_1)
	s_xor_b32 s0, exec_lo, s4
	s_cbranch_execz .LBB1_61
; %bb.60:
	v_cmp_le_f64_e64 vcc_lo, 0x7b000000, |v[2:3]|
	s_mov_b64 s[4:5], 0x3ff921fb54442d18
	v_dual_mov_b32 v48, 0 :: v_dual_cndmask_b32 v17, v31, v29
	v_cndmask_b32_e32 v16, v2, v28, vcc_lo
	s_delay_alu instid0(VALU_DEP_1) | instskip(SKIP_2) | instid1(VALU_DEP_3)
	v_mul_f64_e32 v[20:21], v[26:27], v[16:17]
	v_mul_f64_e32 v[28:29], v[24:25], v[16:17]
	;; [unrolled: 1-line block ×3, first 2 shown]
	v_fma_f64 v[26:27], v[26:27], v[16:17], -v[20:21]
	s_delay_alu instid0(VALU_DEP_3) | instskip(NEXT) | instid1(VALU_DEP_3)
	v_fma_f64 v[24:25], v[24:25], v[16:17], -v[28:29]
	v_fma_f64 v[16:17], v[22:23], v[16:17], -v[38:39]
	s_delay_alu instid0(VALU_DEP_3) | instskip(NEXT) | instid1(VALU_DEP_1)
	v_add_f64_e32 v[30:31], v[28:29], v[26:27]
	v_add_f64_e64 v[32:33], v[30:31], -v[28:29]
	v_add_f64_e32 v[36:37], v[20:21], v[30:31]
	s_delay_alu instid0(VALU_DEP_2) | instskip(SKIP_1) | instid1(VALU_DEP_3)
	v_add_f64_e64 v[34:35], v[30:31], -v[32:33]
	v_add_f64_e64 v[26:27], v[26:27], -v[32:33]
	v_ldexp_f64 v[32:33], v[36:37], -2
	s_delay_alu instid0(VALU_DEP_3) | instskip(SKIP_1) | instid1(VALU_DEP_3)
	v_add_f64_e64 v[28:29], v[28:29], -v[34:35]
	v_add_f64_e32 v[34:35], v[38:39], v[24:25]
	v_cmp_neq_f64_e64 vcc_lo, 0x7ff00000, |v[32:33]|
	s_delay_alu instid0(VALU_DEP_3) | instskip(SKIP_1) | instid1(VALU_DEP_1)
	v_add_f64_e32 v[26:27], v[26:27], v[28:29]
	v_fract_f64_e32 v[28:29], v[32:33]
	v_ldexp_f64 v[28:29], v[28:29], 2
	s_delay_alu instid0(VALU_DEP_1) | instskip(SKIP_1) | instid1(VALU_DEP_3)
	v_cndmask_b32_e32 v28, 0, v28, vcc_lo
	v_add_f64_e64 v[20:21], v[36:37], -v[20:21]
	v_cndmask_b32_e32 v29, 0, v29, vcc_lo
	s_delay_alu instid0(VALU_DEP_2) | instskip(SKIP_1) | instid1(VALU_DEP_1)
	v_add_f64_e64 v[20:21], v[30:31], -v[20:21]
	v_add_f64_e32 v[30:31], v[34:35], v[26:27]
	v_add_f64_e32 v[32:33], v[20:21], v[30:31]
	v_add_f64_e64 v[50:51], v[30:31], -v[34:35]
	s_delay_alu instid0(VALU_DEP_2) | instskip(NEXT) | instid1(VALU_DEP_2)
	v_add_f64_e32 v[36:37], v[32:33], v[28:29]
	v_add_f64_e64 v[64:65], v[30:31], -v[50:51]
	v_add_f64_e64 v[26:27], v[26:27], -v[50:51]
	;; [unrolled: 1-line block ×3, first 2 shown]
	s_delay_alu instid0(VALU_DEP_4) | instskip(SKIP_1) | instid1(VALU_DEP_3)
	v_cmp_gt_f64_e32 vcc_lo, 0, v[36:37]
	v_add_f64_e64 v[36:37], v[34:35], -v[38:39]
	v_add_f64_e64 v[20:21], v[30:31], -v[20:21]
	v_cndmask_b32_e64 v49, 0, 0x40100000, vcc_lo
	s_delay_alu instid0(VALU_DEP_3) | instskip(SKIP_2) | instid1(VALU_DEP_4)
	v_add_f64_e64 v[54:55], v[34:35], -v[36:37]
	v_add_f64_e64 v[24:25], v[24:25], -v[36:37]
	;; [unrolled: 1-line block ×3, first 2 shown]
	v_add_f64_e32 v[28:29], v[28:29], v[48:49]
	s_delay_alu instid0(VALU_DEP_4) | instskip(NEXT) | instid1(VALU_DEP_3)
	v_add_f64_e64 v[36:37], v[38:39], -v[54:55]
	v_add_f64_e32 v[26:27], v[26:27], v[34:35]
	s_delay_alu instid0(VALU_DEP_3) | instskip(NEXT) | instid1(VALU_DEP_3)
	v_add_f64_e32 v[52:53], v[32:33], v[28:29]
	v_add_f64_e32 v[24:25], v[24:25], v[36:37]
	s_delay_alu instid0(VALU_DEP_2) | instskip(NEXT) | instid1(VALU_DEP_2)
	v_cvt_i32_f64_e32 v49, v[52:53]
	v_add_f64_e32 v[22:23], v[24:25], v[26:27]
	s_delay_alu instid0(VALU_DEP_2) | instskip(NEXT) | instid1(VALU_DEP_2)
	v_cvt_f64_i32_e32 v[50:51], v49
	v_add_f64_e32 v[16:17], v[16:17], v[22:23]
	s_delay_alu instid0(VALU_DEP_2) | instskip(NEXT) | instid1(VALU_DEP_2)
	v_add_f64_e64 v[28:29], v[28:29], -v[50:51]
	v_add_f64_e32 v[16:17], v[20:21], v[16:17]
	s_delay_alu instid0(VALU_DEP_2) | instskip(NEXT) | instid1(VALU_DEP_1)
	v_add_f64_e32 v[24:25], v[32:33], v[28:29]
	v_add_f64_e64 v[22:23], v[24:25], -v[28:29]
	v_cmp_le_f64_e32 vcc_lo, 0.5, v[24:25]
	s_delay_alu instid0(VALU_DEP_2) | instskip(SKIP_2) | instid1(VALU_DEP_3)
	v_add_f64_e64 v[20:21], v[32:33], -v[22:23]
	v_add_co_ci_u32_e64 v30, null, 0, v49, vcc_lo
	v_cndmask_b32_e64 v49, 0, 0x3ff00000, vcc_lo
	v_add_f64_e32 v[16:17], v[16:17], v[20:21]
	s_delay_alu instid0(VALU_DEP_2) | instskip(NEXT) | instid1(VALU_DEP_1)
	v_add_f64_e64 v[20:21], v[24:25], -v[48:49]
	v_add_f64_e32 v[22:23], v[20:21], v[16:17]
	s_delay_alu instid0(VALU_DEP_1) | instskip(SKIP_1) | instid1(VALU_DEP_2)
	v_mul_f64_e32 v[24:25], 0x3ff921fb54442d18, v[22:23]
	v_add_f64_e64 v[20:21], v[22:23], -v[20:21]
	v_fma_f64 v[26:27], v[22:23], s[4:5], -v[24:25]
	s_delay_alu instid0(VALU_DEP_2) | instskip(NEXT) | instid1(VALU_DEP_2)
	v_add_f64_e64 v[16:17], v[16:17], -v[20:21]
	v_fmamk_f64 v[20:21], v[22:23], 0x3c91a62633145c07, v[26:27]
	s_delay_alu instid0(VALU_DEP_1) | instskip(NEXT) | instid1(VALU_DEP_1)
	v_fmac_f64_e32 v[20:21], 0x3ff921fb54442d18, v[16:17]
	v_add_f64_e32 v[16:17], v[24:25], v[20:21]
	s_delay_alu instid0(VALU_DEP_1) | instskip(NEXT) | instid1(VALU_DEP_1)
	v_add_f64_e64 v[22:23], v[16:17], -v[24:25]
	v_add_f64_e64 v[20:21], v[20:21], -v[22:23]
	s_and_not1_saveexec_b32 s0, s0
	s_cbranch_execnz .LBB1_62
	s_branch .LBB1_63
.LBB1_61:
	s_and_not1_saveexec_b32 s0, s0
	s_cbranch_execz .LBB1_63
.LBB1_62:
	s_mov_b64 s[4:5], 0x3fe45f306dc9c883
	s_delay_alu instid0(SALU_CYCLE_1) | instskip(SKIP_1) | instid1(VALU_DEP_1)
	v_mul_f64_e64 v[16:17], |v[2:3]|, s[4:5]
	s_mov_b64 s[4:5], 0xbff921fb54442d18
	v_rndne_f64_e32 v[22:23], v[16:17]
	s_delay_alu instid0(VALU_DEP_1) | instskip(SKIP_2) | instid1(VALU_DEP_3)
	v_fma_f64 v[16:17], v[22:23], s[4:5], |v[2:3]|
	v_mul_f64_e32 v[20:21], 0xbc91a62633145c00, v[22:23]
	v_cvt_i32_f64_e32 v30, v[22:23]
	v_fmamk_f64 v[28:29], v[22:23], 0xbc91a62633145c00, v[16:17]
	s_delay_alu instid0(VALU_DEP_3) | instskip(NEXT) | instid1(VALU_DEP_1)
	v_add_f64_e32 v[24:25], v[16:17], v[20:21]
	v_add_f64_e64 v[26:27], v[16:17], -v[24:25]
	s_delay_alu instid0(VALU_DEP_3) | instskip(NEXT) | instid1(VALU_DEP_2)
	v_add_f64_e64 v[16:17], v[24:25], -v[28:29]
	v_add_f64_e32 v[24:25], v[26:27], v[20:21]
	v_fmamk_f64 v[20:21], v[22:23], 0x3c91a62633145c00, v[20:21]
	s_delay_alu instid0(VALU_DEP_2) | instskip(NEXT) | instid1(VALU_DEP_1)
	v_add_f64_e32 v[16:17], v[16:17], v[24:25]
	v_add_f64_e64 v[16:17], v[16:17], -v[20:21]
	s_delay_alu instid0(VALU_DEP_1) | instskip(NEXT) | instid1(VALU_DEP_1)
	v_fmamk_f64 v[20:21], v[22:23], 0xb97b839a252049c0, v[16:17]
	v_add_f64_e32 v[16:17], v[28:29], v[20:21]
	s_delay_alu instid0(VALU_DEP_1) | instskip(NEXT) | instid1(VALU_DEP_1)
	v_add_f64_e64 v[24:25], v[16:17], -v[28:29]
	v_add_f64_e64 v[20:21], v[20:21], -v[24:25]
.LBB1_63:
	s_or_b32 exec_lo, exec_lo, s0
	v_div_scale_f64 v[22:23], null, v[4:5], v[4:5], 0x40140000
	v_cmp_class_f64_e64 s0, v[2:3], 0x1f8
	s_delay_alu instid0(VALU_DEP_3)
	v_mul_f64_e32 v[82:83], 0.5, v[18:19]
	v_mov_b64_e32 v[52:53], 0xbe927e4fa17f65f6
	v_mov_b64_e32 v[54:55], 0x3efa01a019f4ec90
	;; [unrolled: 1-line block ×6, first 2 shown]
	v_rcp_f64_e32 v[24:25], v[22:23]
	v_nop
	s_delay_alu instid0(TRANS32_DEP_1) | instskip(NEXT) | instid1(VALU_DEP_1)
	v_fma_f64 v[26:27], -v[22:23], v[24:25], 1.0
	v_fmac_f64_e32 v[24:25], v[24:25], v[26:27]
	s_delay_alu instid0(VALU_DEP_1) | instskip(NEXT) | instid1(VALU_DEP_1)
	v_fma_f64 v[26:27], -v[22:23], v[24:25], 1.0
	v_fmac_f64_e32 v[24:25], v[24:25], v[26:27]
	v_div_scale_f64 v[26:27], vcc_lo, 0x40140000, v[4:5], 0x40140000
	s_delay_alu instid0(VALU_DEP_1) | instskip(NEXT) | instid1(VALU_DEP_1)
	v_mul_f64_e32 v[28:29], v[26:27], v[24:25]
	v_fma_f64 v[22:23], -v[22:23], v[28:29], v[26:27]
	s_delay_alu instid0(VALU_DEP_1) | instskip(NEXT) | instid1(VALU_DEP_1)
	v_div_fmas_f64 v[22:23], v[22:23], v[24:25], v[28:29]
	v_div_fixup_f64 v[22:23], v[22:23], v[4:5], 0x40140000
	s_delay_alu instid0(VALU_DEP_1) | instskip(NEXT) | instid1(VALU_DEP_1)
	v_mul_f64_e32 v[24:25], v[22:23], v[22:23]
	v_fmaak_f64 v[32:33], 0, v[24:25], 0x3faa27fa6b70ba40
	v_fmaak_f64 v[26:27], 0, v[24:25], 0x3f48f92c4c6c651b
	;; [unrolled: 1-line block ×4, first 2 shown]
	s_delay_alu instid0(VALU_DEP_4) | instskip(NEXT) | instid1(VALU_DEP_4)
	v_fmaak_f64 v[32:33], v[24:25], v[32:33], 0x4013edb5c66d8fd6
	v_fmaak_f64 v[26:27], v[24:25], v[26:27], 0x3fb2b948a3fec4b6
	s_delay_alu instid0(VALU_DEP_4) | instskip(NEXT) | instid1(VALU_DEP_4)
	v_fmaak_f64 v[28:29], v[24:25], v[28:29], 0x3fb19fdd5948aa83
	v_fmaak_f64 v[34:35], v[24:25], v[34:35], 0x409081cba20e5f6f
	;; [unrolled: 3-line block ×10, first 2 shown]
	s_delay_alu instid0(VALU_DEP_4) | instskip(NEXT) | instid1(VALU_DEP_3)
	v_fmaak_f64 v[32:33], v[24:25], v[32:33], 0x406a760a4c54bb0b
	v_fma_f64 v[28:29], v[24:25], v[28:29], 1.0
	s_delay_alu instid0(VALU_DEP_3) | instskip(NEXT) | instid1(VALU_DEP_3)
	v_fmaak_f64 v[34:35], v[24:25], v[34:35], 0x4075017f6ae75997
	v_fmaak_f64 v[32:33], v[24:25], v[32:33], 0x403934ff4d159eb5
	v_fma_f64 v[24:25], v[24:25], v[26:27], 1.0
	s_delay_alu instid0(VALU_DEP_1) | instskip(NEXT) | instid1(VALU_DEP_1)
	v_div_scale_f64 v[26:27], null, v[28:29], v[28:29], v[24:25]
	v_rcp_f64_e32 v[36:37], v[26:27]
	v_nop
	s_delay_alu instid0(TRANS32_DEP_1) | instskip(NEXT) | instid1(VALU_DEP_1)
	v_fma_f64 v[38:39], -v[26:27], v[36:37], 1.0
	v_fmac_f64_e32 v[36:37], v[36:37], v[38:39]
	s_delay_alu instid0(VALU_DEP_1) | instskip(NEXT) | instid1(VALU_DEP_1)
	v_fma_f64 v[38:39], -v[26:27], v[36:37], 1.0
	v_fmac_f64_e32 v[36:37], v[36:37], v[38:39]
	v_div_scale_f64 v[38:39], vcc_lo, v[24:25], v[28:29], v[24:25]
	s_delay_alu instid0(VALU_DEP_1) | instskip(NEXT) | instid1(VALU_DEP_1)
	v_mul_f64_e32 v[48:49], v[38:39], v[36:37]
	v_fma_f64 v[26:27], -v[26:27], v[48:49], v[38:39]
	s_delay_alu instid0(VALU_DEP_1) | instskip(SKIP_1) | instid1(VALU_DEP_2)
	v_div_fmas_f64 v[26:27], v[26:27], v[36:37], v[48:49]
	v_mov_b64_e32 v[48:49], 0x3e21eeb69037ab78
	v_div_fixup_f64 v[24:25], v[26:27], v[28:29], v[24:25]
	v_mul_f64_e32 v[26:27], v[12:13], v[12:13]
	s_delay_alu instid0(VALU_DEP_1) | instskip(NEXT) | instid1(VALU_DEP_4)
	v_mul_f64_e32 v[28:29], 0.5, v[26:27]
	v_fmamk_f64 v[50:51], v[26:27], 0xbda907db46cc5e42, v[48:49]
	v_mul_f64_e64 v[80:81], v[12:13], -v[26:27]
	s_delay_alu instid0(VALU_DEP_2) | instskip(NEXT) | instid1(VALU_DEP_1)
	v_fmaak_f64 v[50:51], v[26:27], v[50:51], 0xbe927e4fa17f65f6
	v_fmaak_f64 v[50:51], v[26:27], v[50:51], 0x3efa01a019f4ec90
	s_delay_alu instid0(VALU_DEP_1) | instskip(NEXT) | instid1(VALU_DEP_1)
	v_fmaak_f64 v[50:51], v[26:27], v[50:51], 0xbf56c16c16c16967
	v_fmaak_f64 v[50:51], v[26:27], v[50:51], 0x3fa5555555555555
	v_add_f64_e64 v[36:37], -v[28:29], 1.0
	s_delay_alu instid0(VALU_DEP_1) | instskip(NEXT) | instid1(VALU_DEP_1)
	v_add_f64_e64 v[38:39], -v[36:37], 1.0
	v_add_f64_e64 v[28:29], v[38:39], -v[28:29]
	v_mul_f64_e32 v[38:39], v[26:27], v[26:27]
	s_delay_alu instid0(VALU_DEP_2) | instskip(NEXT) | instid1(VALU_DEP_1)
	v_fma_f64 v[28:29], v[12:13], -v[18:19], v[28:29]
	v_fmac_f64_e32 v[28:29], v[38:39], v[50:51]
	v_mov_b64_e32 v[50:51], 0x3ec71de3796cde01
	s_delay_alu instid0(VALU_DEP_2) | instskip(SKIP_1) | instid1(VALU_DEP_1)
	v_add_f64_e32 v[28:29], v[36:37], v[28:29]
	v_mov_b64_e32 v[36:37], 0xbe5ae600b42fdfa7
	v_fmamk_f64 v[38:39], v[26:27], 0x3de5e0b2f9a43bb8, v[36:37]
	s_delay_alu instid0(VALU_DEP_1) | instskip(NEXT) | instid1(VALU_DEP_1)
	v_fmaak_f64 v[38:39], v[26:27], v[38:39], 0x3ec71de3796cde01
	v_fmaak_f64 v[38:39], v[26:27], v[38:39], 0xbf2a01a019e83e5c
	s_delay_alu instid0(VALU_DEP_1) | instskip(NEXT) | instid1(VALU_DEP_1)
	v_fmaak_f64 v[38:39], v[26:27], v[38:39], 0x3f81111111110bb3
	v_fmac_f64_e32 v[82:83], v[80:81], v[38:39]
	s_delay_alu instid0(VALU_DEP_1) | instskip(NEXT) | instid1(VALU_DEP_1)
	v_fma_f64 v[18:19], v[26:27], v[82:83], -v[18:19]
	v_fmac_f64_e32 v[18:19], 0xbfc5555555555555, v[80:81]
	s_delay_alu instid0(VALU_DEP_1) | instskip(SKIP_1) | instid1(VALU_DEP_1)
	v_add_f64_e64 v[12:13], v[12:13], -v[18:19]
	v_dual_lshlrev_b32 v15, 30, v15 :: v_dual_bitop2_b32 v18, 1, v15 bitop3:0x40
	v_cmp_eq_u32_e32 vcc_lo, 0, v18
	s_delay_alu instid0(VALU_DEP_2) | instskip(NEXT) | instid1(VALU_DEP_4)
	v_dual_cndmask_b32 v13, v29, v13, vcc_lo :: v_dual_bitop2_b32 v15, v15, v3 bitop3:0x14
	v_cndmask_b32_e32 v12, v28, v12, vcc_lo
	s_delay_alu instid0(VALU_DEP_2) | instskip(NEXT) | instid1(VALU_DEP_2)
	v_bitop3_b32 v13, v13, v15, 0x80000000 bitop3:0x78
	v_cndmask_b32_e64 v2, 0, v12, s0
	s_delay_alu instid0(VALU_DEP_2) | instskip(SKIP_1) | instid1(VALU_DEP_1)
	v_cndmask_b32_e64 v3, 0x7ff80000, v13, s0
	v_div_scale_f64 v[12:13], null, v[34:35], v[34:35], v[32:33]
	v_rcp_f64_e32 v[18:19], v[12:13]
	v_nop
	s_delay_alu instid0(TRANS32_DEP_1) | instskip(NEXT) | instid1(VALU_DEP_1)
	v_fma_f64 v[26:27], -v[12:13], v[18:19], 1.0
	v_fmac_f64_e32 v[18:19], v[18:19], v[26:27]
	s_delay_alu instid0(VALU_DEP_1) | instskip(NEXT) | instid1(VALU_DEP_1)
	v_fma_f64 v[26:27], -v[12:13], v[18:19], 1.0
	v_fmac_f64_e32 v[18:19], v[18:19], v[26:27]
	v_div_scale_f64 v[26:27], vcc_lo, v[32:33], v[34:35], v[32:33]
	s_delay_alu instid0(VALU_DEP_1) | instskip(NEXT) | instid1(VALU_DEP_1)
	v_mul_f64_e32 v[28:29], v[26:27], v[18:19]
	v_fma_f64 v[12:13], -v[12:13], v[28:29], v[26:27]
	s_delay_alu instid0(VALU_DEP_1) | instskip(SKIP_1) | instid1(VALU_DEP_2)
	v_div_fmas_f64 v[12:13], v[12:13], v[18:19], v[28:29]
	v_mul_f64_e32 v[18:19], v[16:17], v[16:17]
	v_div_fixup_f64 v[12:13], v[12:13], v[34:35], v[32:33]
	s_delay_alu instid0(VALU_DEP_2) | instskip(SKIP_1) | instid1(VALU_DEP_3)
	v_fmac_f64_e32 v[48:49], 0xbda907db46cc5e42, v[18:19]
	v_fmac_f64_e32 v[36:37], 0x3de5e0b2f9a43bb8, v[18:19]
	v_mul_f64_e32 v[12:13], v[22:23], v[12:13]
	v_mul_f64_e32 v[22:23], 0.5, v[18:19]
	s_delay_alu instid0(VALU_DEP_4) | instskip(NEXT) | instid1(VALU_DEP_4)
	v_fmac_f64_e32 v[52:53], v[18:19], v[48:49]
	v_fmac_f64_e32 v[50:51], v[18:19], v[36:37]
	s_delay_alu instid0(VALU_DEP_3) | instskip(NEXT) | instid1(VALU_DEP_3)
	v_add_f64_e64 v[26:27], -v[22:23], 1.0
	v_fmac_f64_e32 v[54:55], v[18:19], v[52:53]
	s_delay_alu instid0(VALU_DEP_3) | instskip(NEXT) | instid1(VALU_DEP_3)
	v_fmac_f64_e32 v[68:69], v[18:19], v[50:51]
	v_add_f64_e64 v[28:29], -v[26:27], 1.0
	s_delay_alu instid0(VALU_DEP_3) | instskip(NEXT) | instid1(VALU_DEP_3)
	v_fmac_f64_e32 v[64:65], v[18:19], v[54:55]
	v_fmac_f64_e32 v[70:71], v[18:19], v[68:69]
	s_delay_alu instid0(VALU_DEP_3) | instskip(SKIP_1) | instid1(VALU_DEP_4)
	v_add_f64_e64 v[22:23], v[28:29], -v[22:23]
	v_mul_f64_e32 v[28:29], v[18:19], v[18:19]
	v_fmac_f64_e32 v[66:67], v[18:19], v[64:65]
	s_delay_alu instid0(VALU_DEP_3) | instskip(NEXT) | instid1(VALU_DEP_1)
	v_fma_f64 v[22:23], v[16:17], -v[20:21], v[22:23]
	v_fmac_f64_e32 v[22:23], v[28:29], v[66:67]
	v_mul_f64_e32 v[28:29], 0.5, v[20:21]
	s_delay_alu instid0(VALU_DEP_2) | instskip(SKIP_1) | instid1(VALU_DEP_1)
	v_add_f64_e32 v[22:23], v[26:27], v[22:23]
	v_mul_f64_e64 v[26:27], v[16:17], -v[18:19]
	v_fmac_f64_e32 v[28:29], v[26:27], v[70:71]
	s_delay_alu instid0(VALU_DEP_1) | instskip(NEXT) | instid1(VALU_DEP_1)
	v_fma_f64 v[18:19], v[18:19], v[28:29], -v[20:21]
	v_fmac_f64_e32 v[18:19], 0xbfc5555555555555, v[26:27]
	s_delay_alu instid0(VALU_DEP_1) | instskip(NEXT) | instid1(VALU_DEP_1)
	v_add_f64_e64 v[16:17], v[16:17], -v[18:19]
	v_xor_b32_e32 v15, 0x80000000, v17
	v_and_b32_e32 v17, 1, v30
	s_delay_alu instid0(VALU_DEP_1) | instskip(NEXT) | instid1(VALU_DEP_3)
	v_cmp_eq_u32_e32 vcc_lo, 0, v17
	v_dual_lshlrev_b32 v17, 30, v30 :: v_dual_cndmask_b32 v15, v15, v23, vcc_lo
	v_cndmask_b32_e32 v16, v16, v22, vcc_lo
	v_cmp_gt_f64_e32 vcc_lo, 0x10000000, v[4:5]
	s_delay_alu instid0(VALU_DEP_3) | instskip(NEXT) | instid1(VALU_DEP_3)
	v_bitop3_b32 v15, v15, v17, 0x80000000 bitop3:0x78
	v_cndmask_b32_e64 v16, 0, v16, s0
	s_delay_alu instid0(VALU_DEP_2) | instskip(NEXT) | instid1(VALU_DEP_1)
	v_cndmask_b32_e64 v17, 0x7ff80000, v15, s0
	v_mul_f64_e32 v[12:13], v[12:13], v[16:17]
	s_delay_alu instid0(VALU_DEP_1) | instskip(NEXT) | instid1(VALU_DEP_1)
	v_fmac_f64_e32 v[12:13], v[24:25], v[2:3]
	v_mul_f64_e32 v[2:3], 0x3fe9884533d43651, v[12:13]
	v_cndmask_b32_e64 v12, 0, 0x100, vcc_lo
	s_delay_alu instid0(VALU_DEP_1) | instskip(NEXT) | instid1(VALU_DEP_1)
	v_ldexp_f64 v[4:5], v[4:5], v12
	v_rsq_f64_e32 v[12:13], v[4:5]
	v_nop
	s_delay_alu instid0(TRANS32_DEP_1) | instskip(SKIP_1) | instid1(VALU_DEP_1)
	v_mul_f64_e32 v[16:17], v[4:5], v[12:13]
	v_mul_f64_e32 v[12:13], 0.5, v[12:13]
	v_fma_f64 v[18:19], -v[12:13], v[16:17], 0.5
	s_delay_alu instid0(VALU_DEP_1) | instskip(SKIP_1) | instid1(VALU_DEP_2)
	v_fmac_f64_e32 v[16:17], v[16:17], v[18:19]
	v_fmac_f64_e32 v[12:13], v[12:13], v[18:19]
	v_fma_f64 v[20:21], -v[16:17], v[16:17], v[4:5]
	s_delay_alu instid0(VALU_DEP_1) | instskip(NEXT) | instid1(VALU_DEP_1)
	v_fmac_f64_e32 v[16:17], v[20:21], v[12:13]
	v_fma_f64 v[18:19], -v[16:17], v[16:17], v[4:5]
	s_delay_alu instid0(VALU_DEP_1) | instskip(SKIP_2) | instid1(VALU_DEP_2)
	v_fmac_f64_e32 v[16:17], v[18:19], v[12:13]
	v_cndmask_b32_e64 v12, 0, 0xffffff80, vcc_lo
	v_cmp_class_f64_e64 vcc_lo, v[4:5], 0x260
	v_ldexp_f64 v[12:13], v[16:17], v12
	s_delay_alu instid0(VALU_DEP_1) | instskip(NEXT) | instid1(VALU_DEP_1)
	v_dual_cndmask_b32 v5, v13, v5 :: v_dual_cndmask_b32 v4, v12, v4
	v_div_scale_f64 v[12:13], null, v[4:5], v[4:5], v[2:3]
	s_delay_alu instid0(VALU_DEP_1) | instskip(SKIP_1) | instid1(TRANS32_DEP_1)
	v_rcp_f64_e32 v[16:17], v[12:13]
	v_nop
	v_fma_f64 v[18:19], -v[12:13], v[16:17], 1.0
	s_delay_alu instid0(VALU_DEP_1) | instskip(NEXT) | instid1(VALU_DEP_1)
	v_fmac_f64_e32 v[16:17], v[16:17], v[18:19]
	v_fma_f64 v[18:19], -v[12:13], v[16:17], 1.0
	s_delay_alu instid0(VALU_DEP_1) | instskip(SKIP_1) | instid1(VALU_DEP_1)
	v_fmac_f64_e32 v[16:17], v[16:17], v[18:19]
	v_div_scale_f64 v[18:19], vcc_lo, v[2:3], v[4:5], v[2:3]
	v_mul_f64_e32 v[20:21], v[18:19], v[16:17]
	s_delay_alu instid0(VALU_DEP_1) | instskip(NEXT) | instid1(VALU_DEP_1)
	v_fma_f64 v[12:13], -v[12:13], v[20:21], v[18:19]
	v_div_fmas_f64 v[12:13], v[12:13], v[16:17], v[20:21]
	s_delay_alu instid0(VALU_DEP_1)
	v_div_fixup_f64 v[12:13], v[12:13], v[4:5], v[2:3]
.LBB1_64:
	s_or_b32 exec_lo, exec_lo, s1
	v_lshl_add_u64 v[0:1], s[2:3], 3, v[0:1]
	v_mov_b32_e32 v15, 0
	s_delay_alu instid0(VALU_DEP_1)
	v_add_nc_u64_e32 v[0:1], v[0:1], v[14:15]
	s_clause 0x1
	flat_store_b128 v[0:1], v[6:9]
	flat_store_b128 v[0:1], v[10:13] offset:16
	s_wait_dscnt 0x0
	s_set_pc_i64 s[30:31]
.Lfunc_end1:
	.size	_ZN2at6native25elementwise_kernel_helperILb0EZZZNS0_12_GLOBAL__N_121bessel_y1_kernel_cudaERNS_18TensorIteratorBaseEENKUlvE_clEvENKUlvE_clEvEUldE_NS0_6memory8policies10vectorizedILi4ESt5arrayIPcLm2EELi4EEEEEvT0_T1_, .Lfunc_end1-_ZN2at6native25elementwise_kernel_helperILb0EZZZNS0_12_GLOBAL__N_121bessel_y1_kernel_cudaERNS_18TensorIteratorBaseEENKUlvE_clEvENKUlvE_clEvEUldE_NS0_6memory8policies10vectorizedILi4ESt5arrayIPcLm2EELi4EEEEEvT0_T1_
                                        ; -- End function
	.set .L_ZN2at6native25elementwise_kernel_helperILb0EZZZNS0_12_GLOBAL__N_121bessel_y1_kernel_cudaERNS_18TensorIteratorBaseEENKUlvE_clEvENKUlvE_clEvEUldE_NS0_6memory8policies10vectorizedILi4ESt5arrayIPcLm2EELi4EEEEEvT0_T1_.num_vgpr, 84
	.set .L_ZN2at6native25elementwise_kernel_helperILb0EZZZNS0_12_GLOBAL__N_121bessel_y1_kernel_cudaERNS_18TensorIteratorBaseEENKUlvE_clEvENKUlvE_clEvEUldE_NS0_6memory8policies10vectorizedILi4ESt5arrayIPcLm2EELi4EEEEEvT0_T1_.num_agpr, 0
	.set .L_ZN2at6native25elementwise_kernel_helperILb0EZZZNS0_12_GLOBAL__N_121bessel_y1_kernel_cudaERNS_18TensorIteratorBaseEENKUlvE_clEvENKUlvE_clEvEUldE_NS0_6memory8policies10vectorizedILi4ESt5arrayIPcLm2EELi4EEEEEvT0_T1_.numbered_sgpr, 32
	.set .L_ZN2at6native25elementwise_kernel_helperILb0EZZZNS0_12_GLOBAL__N_121bessel_y1_kernel_cudaERNS_18TensorIteratorBaseEENKUlvE_clEvENKUlvE_clEvEUldE_NS0_6memory8policies10vectorizedILi4ESt5arrayIPcLm2EELi4EEEEEvT0_T1_.num_named_barrier, 0
	.set .L_ZN2at6native25elementwise_kernel_helperILb0EZZZNS0_12_GLOBAL__N_121bessel_y1_kernel_cudaERNS_18TensorIteratorBaseEENKUlvE_clEvENKUlvE_clEvEUldE_NS0_6memory8policies10vectorizedILi4ESt5arrayIPcLm2EELi4EEEEEvT0_T1_.private_seg_size, 0
	.set .L_ZN2at6native25elementwise_kernel_helperILb0EZZZNS0_12_GLOBAL__N_121bessel_y1_kernel_cudaERNS_18TensorIteratorBaseEENKUlvE_clEvENKUlvE_clEvEUldE_NS0_6memory8policies10vectorizedILi4ESt5arrayIPcLm2EELi4EEEEEvT0_T1_.uses_vcc, 1
	.set .L_ZN2at6native25elementwise_kernel_helperILb0EZZZNS0_12_GLOBAL__N_121bessel_y1_kernel_cudaERNS_18TensorIteratorBaseEENKUlvE_clEvENKUlvE_clEvEUldE_NS0_6memory8policies10vectorizedILi4ESt5arrayIPcLm2EELi4EEEEEvT0_T1_.uses_flat_scratch, 1
	.set .L_ZN2at6native25elementwise_kernel_helperILb0EZZZNS0_12_GLOBAL__N_121bessel_y1_kernel_cudaERNS_18TensorIteratorBaseEENKUlvE_clEvENKUlvE_clEvEUldE_NS0_6memory8policies10vectorizedILi4ESt5arrayIPcLm2EELi4EEEEEvT0_T1_.has_dyn_sized_stack, 0
	.set .L_ZN2at6native25elementwise_kernel_helperILb0EZZZNS0_12_GLOBAL__N_121bessel_y1_kernel_cudaERNS_18TensorIteratorBaseEENKUlvE_clEvENKUlvE_clEvEUldE_NS0_6memory8policies10vectorizedILi4ESt5arrayIPcLm2EELi4EEEEEvT0_T1_.has_recursion, 0
	.set .L_ZN2at6native25elementwise_kernel_helperILb0EZZZNS0_12_GLOBAL__N_121bessel_y1_kernel_cudaERNS_18TensorIteratorBaseEENKUlvE_clEvENKUlvE_clEvEUldE_NS0_6memory8policies10vectorizedILi4ESt5arrayIPcLm2EELi4EEEEEvT0_T1_.has_indirect_call, 0
	.section	.AMDGPU.csdata,"",@progbits
; Function info:
; codeLenInByte = 18892
; TotalNumSgprs: 34
; NumVgprs: 84
; ScratchSize: 0
; MemoryBound: 0
	.section	.text._ZN2at6native29vectorized_elementwise_kernelILi16EZZZNS0_12_GLOBAL__N_121bessel_y1_kernel_cudaERNS_18TensorIteratorBaseEENKUlvE_clEvENKUlvE_clEvEUldE_St5arrayIPcLm2EEEEviT0_T1_,"axG",@progbits,_ZN2at6native29vectorized_elementwise_kernelILi16EZZZNS0_12_GLOBAL__N_121bessel_y1_kernel_cudaERNS_18TensorIteratorBaseEENKUlvE_clEvENKUlvE_clEvEUldE_St5arrayIPcLm2EEEEviT0_T1_,comdat
	.globl	_ZN2at6native29vectorized_elementwise_kernelILi16EZZZNS0_12_GLOBAL__N_121bessel_y1_kernel_cudaERNS_18TensorIteratorBaseEENKUlvE_clEvENKUlvE_clEvEUldE_St5arrayIPcLm2EEEEviT0_T1_ ; -- Begin function _ZN2at6native29vectorized_elementwise_kernelILi16EZZZNS0_12_GLOBAL__N_121bessel_y1_kernel_cudaERNS_18TensorIteratorBaseEENKUlvE_clEvENKUlvE_clEvEUldE_St5arrayIPcLm2EEEEviT0_T1_
	.p2align	8
	.type	_ZN2at6native29vectorized_elementwise_kernelILi16EZZZNS0_12_GLOBAL__N_121bessel_y1_kernel_cudaERNS_18TensorIteratorBaseEENKUlvE_clEvENKUlvE_clEvEUldE_St5arrayIPcLm2EEEEviT0_T1_,@function
_ZN2at6native29vectorized_elementwise_kernelILi16EZZZNS0_12_GLOBAL__N_121bessel_y1_kernel_cudaERNS_18TensorIteratorBaseEENKUlvE_clEvENKUlvE_clEvEUldE_St5arrayIPcLm2EEEEviT0_T1_: ; @_ZN2at6native29vectorized_elementwise_kernelILi16EZZZNS0_12_GLOBAL__N_121bessel_y1_kernel_cudaERNS_18TensorIteratorBaseEENKUlvE_clEvENKUlvE_clEvEUldE_St5arrayIPcLm2EEEEviT0_T1_
; %bb.0:
	s_clause 0x1
	s_load_b32 s2, s[0:1], 0x0
	s_load_b128 s[8:11], s[0:1], 0x8
	s_wait_xcnt 0x0
	s_bfe_u32 s0, ttmp6, 0x4000c
	s_and_b32 s1, ttmp6, 15
	s_add_co_i32 s0, s0, 1
	s_getreg_b32 s3, hwreg(HW_REG_IB_STS2, 6, 4)
	s_mul_i32 s0, ttmp9, s0
	v_mov_b32_e32 v40, v0
	s_add_co_i32 s1, s1, s0
	s_cmp_eq_u32 s3, 0
	s_mov_b32 s32, 0
	s_cselect_b32 s0, ttmp9, s1
	s_delay_alu instid0(SALU_CYCLE_1)
	s_lshl_b32 s0, s0, 10
	s_wait_kmcnt 0x0
	s_sub_co_i32 s12, s2, s0
	s_mov_b32 s0, -1
	s_cmp_gt_i32 s12, 0x3ff
	s_cbranch_scc1 .LBB2_3
; %bb.1:
	s_and_not1_b32 vcc_lo, exec_lo, s0
	s_cbranch_vccz .LBB2_4
.LBB2_2:
	s_endpgm
.LBB2_3:
	v_dual_mov_b32 v31, v40 :: v_dual_mov_b32 v0, s8
	v_dual_mov_b32 v1, s9 :: v_dual_mov_b32 v2, s10
	v_mov_b32_e32 v3, s11
	s_get_pc_i64 s[0:1]
	s_add_nc_u64 s[0:1], s[0:1], _ZN2at6native25elementwise_kernel_helperILb0EZZZNS0_12_GLOBAL__N_121bessel_y1_kernel_cudaERNS_18TensorIteratorBaseEENKUlvE_clEvENKUlvE_clEvEUldE_NS0_6memory8policies10vectorizedILi4ESt5arrayIPcLm2EELi4EEEEEvT0_T1_@rel64+4
	s_delay_alu instid0(SALU_CYCLE_1)
	s_swap_pc_i64 s[30:31], s[0:1]
	s_cbranch_execnz .LBB2_2
.LBB2_4:
	v_dual_mov_b32 v31, v40 :: v_dual_mov_b32 v0, s8
	v_dual_mov_b32 v1, s9 :: v_dual_mov_b32 v2, s10
	;; [unrolled: 1-line block ×3, first 2 shown]
	s_get_pc_i64 s[0:1]
	s_add_nc_u64 s[0:1], s[0:1], _ZN2at6native25elementwise_kernel_helperILb0EZZZNS0_12_GLOBAL__N_121bessel_y1_kernel_cudaERNS_18TensorIteratorBaseEENKUlvE_clEvENKUlvE_clEvEUldE_NS0_6memory8policies11unroll_baseILi256ESt5arrayIPcLm2EE23TrivialOffsetCalculatorILi1EjESF_NS8_15LoadWithoutCastENS8_16StoreWithoutCastELi4ELi1EEEEEvT0_T1_@rel64+4
	s_delay_alu instid0(SALU_CYCLE_1)
	s_swap_pc_i64 s[30:31], s[0:1]
	s_endpgm
	.section	.rodata,"a",@progbits
	.p2align	6, 0x0
	.amdhsa_kernel _ZN2at6native29vectorized_elementwise_kernelILi16EZZZNS0_12_GLOBAL__N_121bessel_y1_kernel_cudaERNS_18TensorIteratorBaseEENKUlvE_clEvENKUlvE_clEvEUldE_St5arrayIPcLm2EEEEviT0_T1_
		.amdhsa_group_segment_fixed_size 0
		.amdhsa_private_segment_fixed_size 0
		.amdhsa_kernarg_size 24
		.amdhsa_user_sgpr_count 2
		.amdhsa_user_sgpr_dispatch_ptr 0
		.amdhsa_user_sgpr_queue_ptr 0
		.amdhsa_user_sgpr_kernarg_segment_ptr 1
		.amdhsa_user_sgpr_dispatch_id 0
		.amdhsa_user_sgpr_kernarg_preload_length 0
		.amdhsa_user_sgpr_kernarg_preload_offset 0
		.amdhsa_user_sgpr_private_segment_size 0
		.amdhsa_wavefront_size32 1
		.amdhsa_uses_dynamic_stack 0
		.amdhsa_enable_private_segment 0
		.amdhsa_system_sgpr_workgroup_id_x 1
		.amdhsa_system_sgpr_workgroup_id_y 0
		.amdhsa_system_sgpr_workgroup_id_z 0
		.amdhsa_system_sgpr_workgroup_info 0
		.amdhsa_system_vgpr_workitem_id 0
		.amdhsa_next_free_vgpr 101
		.amdhsa_next_free_sgpr 33
		.amdhsa_named_barrier_count 0
		.amdhsa_reserve_vcc 1
		.amdhsa_float_round_mode_32 0
		.amdhsa_float_round_mode_16_64 0
		.amdhsa_float_denorm_mode_32 3
		.amdhsa_float_denorm_mode_16_64 3
		.amdhsa_fp16_overflow 0
		.amdhsa_memory_ordered 1
		.amdhsa_forward_progress 1
		.amdhsa_inst_pref_size 2
		.amdhsa_round_robin_scheduling 0
		.amdhsa_exception_fp_ieee_invalid_op 0
		.amdhsa_exception_fp_denorm_src 0
		.amdhsa_exception_fp_ieee_div_zero 0
		.amdhsa_exception_fp_ieee_overflow 0
		.amdhsa_exception_fp_ieee_underflow 0
		.amdhsa_exception_fp_ieee_inexact 0
		.amdhsa_exception_int_div_zero 0
	.end_amdhsa_kernel
	.section	.text._ZN2at6native29vectorized_elementwise_kernelILi16EZZZNS0_12_GLOBAL__N_121bessel_y1_kernel_cudaERNS_18TensorIteratorBaseEENKUlvE_clEvENKUlvE_clEvEUldE_St5arrayIPcLm2EEEEviT0_T1_,"axG",@progbits,_ZN2at6native29vectorized_elementwise_kernelILi16EZZZNS0_12_GLOBAL__N_121bessel_y1_kernel_cudaERNS_18TensorIteratorBaseEENKUlvE_clEvENKUlvE_clEvEUldE_St5arrayIPcLm2EEEEviT0_T1_,comdat
.Lfunc_end2:
	.size	_ZN2at6native29vectorized_elementwise_kernelILi16EZZZNS0_12_GLOBAL__N_121bessel_y1_kernel_cudaERNS_18TensorIteratorBaseEENKUlvE_clEvENKUlvE_clEvEUldE_St5arrayIPcLm2EEEEviT0_T1_, .Lfunc_end2-_ZN2at6native29vectorized_elementwise_kernelILi16EZZZNS0_12_GLOBAL__N_121bessel_y1_kernel_cudaERNS_18TensorIteratorBaseEENKUlvE_clEvENKUlvE_clEvEUldE_St5arrayIPcLm2EEEEviT0_T1_
                                        ; -- End function
	.set _ZN2at6native29vectorized_elementwise_kernelILi16EZZZNS0_12_GLOBAL__N_121bessel_y1_kernel_cudaERNS_18TensorIteratorBaseEENKUlvE_clEvENKUlvE_clEvEUldE_St5arrayIPcLm2EEEEviT0_T1_.num_vgpr, max(41, .L_ZN2at6native25elementwise_kernel_helperILb0EZZZNS0_12_GLOBAL__N_121bessel_y1_kernel_cudaERNS_18TensorIteratorBaseEENKUlvE_clEvENKUlvE_clEvEUldE_NS0_6memory8policies10vectorizedILi4ESt5arrayIPcLm2EELi4EEEEEvT0_T1_.num_vgpr, .L_ZN2at6native25elementwise_kernel_helperILb0EZZZNS0_12_GLOBAL__N_121bessel_y1_kernel_cudaERNS_18TensorIteratorBaseEENKUlvE_clEvENKUlvE_clEvEUldE_NS0_6memory8policies11unroll_baseILi256ESt5arrayIPcLm2EE23TrivialOffsetCalculatorILi1EjESF_NS8_15LoadWithoutCastENS8_16StoreWithoutCastELi4ELi1EEEEEvT0_T1_.num_vgpr)
	.set _ZN2at6native29vectorized_elementwise_kernelILi16EZZZNS0_12_GLOBAL__N_121bessel_y1_kernel_cudaERNS_18TensorIteratorBaseEENKUlvE_clEvENKUlvE_clEvEUldE_St5arrayIPcLm2EEEEviT0_T1_.num_agpr, max(0, .L_ZN2at6native25elementwise_kernel_helperILb0EZZZNS0_12_GLOBAL__N_121bessel_y1_kernel_cudaERNS_18TensorIteratorBaseEENKUlvE_clEvENKUlvE_clEvEUldE_NS0_6memory8policies10vectorizedILi4ESt5arrayIPcLm2EELi4EEEEEvT0_T1_.num_agpr, .L_ZN2at6native25elementwise_kernel_helperILb0EZZZNS0_12_GLOBAL__N_121bessel_y1_kernel_cudaERNS_18TensorIteratorBaseEENKUlvE_clEvENKUlvE_clEvEUldE_NS0_6memory8policies11unroll_baseILi256ESt5arrayIPcLm2EE23TrivialOffsetCalculatorILi1EjESF_NS8_15LoadWithoutCastENS8_16StoreWithoutCastELi4ELi1EEEEEvT0_T1_.num_agpr)
	.set _ZN2at6native29vectorized_elementwise_kernelILi16EZZZNS0_12_GLOBAL__N_121bessel_y1_kernel_cudaERNS_18TensorIteratorBaseEENKUlvE_clEvENKUlvE_clEvEUldE_St5arrayIPcLm2EEEEviT0_T1_.numbered_sgpr, max(33, .L_ZN2at6native25elementwise_kernel_helperILb0EZZZNS0_12_GLOBAL__N_121bessel_y1_kernel_cudaERNS_18TensorIteratorBaseEENKUlvE_clEvENKUlvE_clEvEUldE_NS0_6memory8policies10vectorizedILi4ESt5arrayIPcLm2EELi4EEEEEvT0_T1_.numbered_sgpr, .L_ZN2at6native25elementwise_kernel_helperILb0EZZZNS0_12_GLOBAL__N_121bessel_y1_kernel_cudaERNS_18TensorIteratorBaseEENKUlvE_clEvENKUlvE_clEvEUldE_NS0_6memory8policies11unroll_baseILi256ESt5arrayIPcLm2EE23TrivialOffsetCalculatorILi1EjESF_NS8_15LoadWithoutCastENS8_16StoreWithoutCastELi4ELi1EEEEEvT0_T1_.numbered_sgpr)
	.set _ZN2at6native29vectorized_elementwise_kernelILi16EZZZNS0_12_GLOBAL__N_121bessel_y1_kernel_cudaERNS_18TensorIteratorBaseEENKUlvE_clEvENKUlvE_clEvEUldE_St5arrayIPcLm2EEEEviT0_T1_.num_named_barrier, max(0, .L_ZN2at6native25elementwise_kernel_helperILb0EZZZNS0_12_GLOBAL__N_121bessel_y1_kernel_cudaERNS_18TensorIteratorBaseEENKUlvE_clEvENKUlvE_clEvEUldE_NS0_6memory8policies10vectorizedILi4ESt5arrayIPcLm2EELi4EEEEEvT0_T1_.num_named_barrier, .L_ZN2at6native25elementwise_kernel_helperILb0EZZZNS0_12_GLOBAL__N_121bessel_y1_kernel_cudaERNS_18TensorIteratorBaseEENKUlvE_clEvENKUlvE_clEvEUldE_NS0_6memory8policies11unroll_baseILi256ESt5arrayIPcLm2EE23TrivialOffsetCalculatorILi1EjESF_NS8_15LoadWithoutCastENS8_16StoreWithoutCastELi4ELi1EEEEEvT0_T1_.num_named_barrier)
	.set _ZN2at6native29vectorized_elementwise_kernelILi16EZZZNS0_12_GLOBAL__N_121bessel_y1_kernel_cudaERNS_18TensorIteratorBaseEENKUlvE_clEvENKUlvE_clEvEUldE_St5arrayIPcLm2EEEEviT0_T1_.private_seg_size, 0+max(.L_ZN2at6native25elementwise_kernel_helperILb0EZZZNS0_12_GLOBAL__N_121bessel_y1_kernel_cudaERNS_18TensorIteratorBaseEENKUlvE_clEvENKUlvE_clEvEUldE_NS0_6memory8policies10vectorizedILi4ESt5arrayIPcLm2EELi4EEEEEvT0_T1_.private_seg_size, .L_ZN2at6native25elementwise_kernel_helperILb0EZZZNS0_12_GLOBAL__N_121bessel_y1_kernel_cudaERNS_18TensorIteratorBaseEENKUlvE_clEvENKUlvE_clEvEUldE_NS0_6memory8policies11unroll_baseILi256ESt5arrayIPcLm2EE23TrivialOffsetCalculatorILi1EjESF_NS8_15LoadWithoutCastENS8_16StoreWithoutCastELi4ELi1EEEEEvT0_T1_.private_seg_size)
	.set _ZN2at6native29vectorized_elementwise_kernelILi16EZZZNS0_12_GLOBAL__N_121bessel_y1_kernel_cudaERNS_18TensorIteratorBaseEENKUlvE_clEvENKUlvE_clEvEUldE_St5arrayIPcLm2EEEEviT0_T1_.uses_vcc, or(1, .L_ZN2at6native25elementwise_kernel_helperILb0EZZZNS0_12_GLOBAL__N_121bessel_y1_kernel_cudaERNS_18TensorIteratorBaseEENKUlvE_clEvENKUlvE_clEvEUldE_NS0_6memory8policies10vectorizedILi4ESt5arrayIPcLm2EELi4EEEEEvT0_T1_.uses_vcc, .L_ZN2at6native25elementwise_kernel_helperILb0EZZZNS0_12_GLOBAL__N_121bessel_y1_kernel_cudaERNS_18TensorIteratorBaseEENKUlvE_clEvENKUlvE_clEvEUldE_NS0_6memory8policies11unroll_baseILi256ESt5arrayIPcLm2EE23TrivialOffsetCalculatorILi1EjESF_NS8_15LoadWithoutCastENS8_16StoreWithoutCastELi4ELi1EEEEEvT0_T1_.uses_vcc)
	.set _ZN2at6native29vectorized_elementwise_kernelILi16EZZZNS0_12_GLOBAL__N_121bessel_y1_kernel_cudaERNS_18TensorIteratorBaseEENKUlvE_clEvENKUlvE_clEvEUldE_St5arrayIPcLm2EEEEviT0_T1_.uses_flat_scratch, or(0, .L_ZN2at6native25elementwise_kernel_helperILb0EZZZNS0_12_GLOBAL__N_121bessel_y1_kernel_cudaERNS_18TensorIteratorBaseEENKUlvE_clEvENKUlvE_clEvEUldE_NS0_6memory8policies10vectorizedILi4ESt5arrayIPcLm2EELi4EEEEEvT0_T1_.uses_flat_scratch, .L_ZN2at6native25elementwise_kernel_helperILb0EZZZNS0_12_GLOBAL__N_121bessel_y1_kernel_cudaERNS_18TensorIteratorBaseEENKUlvE_clEvENKUlvE_clEvEUldE_NS0_6memory8policies11unroll_baseILi256ESt5arrayIPcLm2EE23TrivialOffsetCalculatorILi1EjESF_NS8_15LoadWithoutCastENS8_16StoreWithoutCastELi4ELi1EEEEEvT0_T1_.uses_flat_scratch)
	.set _ZN2at6native29vectorized_elementwise_kernelILi16EZZZNS0_12_GLOBAL__N_121bessel_y1_kernel_cudaERNS_18TensorIteratorBaseEENKUlvE_clEvENKUlvE_clEvEUldE_St5arrayIPcLm2EEEEviT0_T1_.has_dyn_sized_stack, or(0, .L_ZN2at6native25elementwise_kernel_helperILb0EZZZNS0_12_GLOBAL__N_121bessel_y1_kernel_cudaERNS_18TensorIteratorBaseEENKUlvE_clEvENKUlvE_clEvEUldE_NS0_6memory8policies10vectorizedILi4ESt5arrayIPcLm2EELi4EEEEEvT0_T1_.has_dyn_sized_stack, .L_ZN2at6native25elementwise_kernel_helperILb0EZZZNS0_12_GLOBAL__N_121bessel_y1_kernel_cudaERNS_18TensorIteratorBaseEENKUlvE_clEvENKUlvE_clEvEUldE_NS0_6memory8policies11unroll_baseILi256ESt5arrayIPcLm2EE23TrivialOffsetCalculatorILi1EjESF_NS8_15LoadWithoutCastENS8_16StoreWithoutCastELi4ELi1EEEEEvT0_T1_.has_dyn_sized_stack)
	.set _ZN2at6native29vectorized_elementwise_kernelILi16EZZZNS0_12_GLOBAL__N_121bessel_y1_kernel_cudaERNS_18TensorIteratorBaseEENKUlvE_clEvENKUlvE_clEvEUldE_St5arrayIPcLm2EEEEviT0_T1_.has_recursion, or(0, .L_ZN2at6native25elementwise_kernel_helperILb0EZZZNS0_12_GLOBAL__N_121bessel_y1_kernel_cudaERNS_18TensorIteratorBaseEENKUlvE_clEvENKUlvE_clEvEUldE_NS0_6memory8policies10vectorizedILi4ESt5arrayIPcLm2EELi4EEEEEvT0_T1_.has_recursion, .L_ZN2at6native25elementwise_kernel_helperILb0EZZZNS0_12_GLOBAL__N_121bessel_y1_kernel_cudaERNS_18TensorIteratorBaseEENKUlvE_clEvENKUlvE_clEvEUldE_NS0_6memory8policies11unroll_baseILi256ESt5arrayIPcLm2EE23TrivialOffsetCalculatorILi1EjESF_NS8_15LoadWithoutCastENS8_16StoreWithoutCastELi4ELi1EEEEEvT0_T1_.has_recursion)
	.set _ZN2at6native29vectorized_elementwise_kernelILi16EZZZNS0_12_GLOBAL__N_121bessel_y1_kernel_cudaERNS_18TensorIteratorBaseEENKUlvE_clEvENKUlvE_clEvEUldE_St5arrayIPcLm2EEEEviT0_T1_.has_indirect_call, or(0, .L_ZN2at6native25elementwise_kernel_helperILb0EZZZNS0_12_GLOBAL__N_121bessel_y1_kernel_cudaERNS_18TensorIteratorBaseEENKUlvE_clEvENKUlvE_clEvEUldE_NS0_6memory8policies10vectorizedILi4ESt5arrayIPcLm2EELi4EEEEEvT0_T1_.has_indirect_call, .L_ZN2at6native25elementwise_kernel_helperILb0EZZZNS0_12_GLOBAL__N_121bessel_y1_kernel_cudaERNS_18TensorIteratorBaseEENKUlvE_clEvENKUlvE_clEvEUldE_NS0_6memory8policies11unroll_baseILi256ESt5arrayIPcLm2EE23TrivialOffsetCalculatorILi1EjESF_NS8_15LoadWithoutCastENS8_16StoreWithoutCastELi4ELi1EEEEEvT0_T1_.has_indirect_call)
	.section	.AMDGPU.csdata,"",@progbits
; Kernel info:
; codeLenInByte = 212
; TotalNumSgprs: 35
; NumVgprs: 101
; ScratchSize: 0
; MemoryBound: 0
; FloatMode: 240
; IeeeMode: 1
; LDSByteSize: 0 bytes/workgroup (compile time only)
; SGPRBlocks: 0
; VGPRBlocks: 6
; NumSGPRsForWavesPerEU: 35
; NumVGPRsForWavesPerEU: 101
; NamedBarCnt: 0
; Occupancy: 9
; WaveLimiterHint : 0
; COMPUTE_PGM_RSRC2:SCRATCH_EN: 0
; COMPUTE_PGM_RSRC2:USER_SGPR: 2
; COMPUTE_PGM_RSRC2:TRAP_HANDLER: 0
; COMPUTE_PGM_RSRC2:TGID_X_EN: 1
; COMPUTE_PGM_RSRC2:TGID_Y_EN: 0
; COMPUTE_PGM_RSRC2:TGID_Z_EN: 0
; COMPUTE_PGM_RSRC2:TIDIG_COMP_CNT: 0
	.section	.text._ZN2at6native29vectorized_elementwise_kernelILi8EZZZNS0_12_GLOBAL__N_121bessel_y1_kernel_cudaERNS_18TensorIteratorBaseEENKUlvE_clEvENKUlvE_clEvEUldE_St5arrayIPcLm2EEEEviT0_T1_,"axG",@progbits,_ZN2at6native29vectorized_elementwise_kernelILi8EZZZNS0_12_GLOBAL__N_121bessel_y1_kernel_cudaERNS_18TensorIteratorBaseEENKUlvE_clEvENKUlvE_clEvEUldE_St5arrayIPcLm2EEEEviT0_T1_,comdat
	.globl	_ZN2at6native29vectorized_elementwise_kernelILi8EZZZNS0_12_GLOBAL__N_121bessel_y1_kernel_cudaERNS_18TensorIteratorBaseEENKUlvE_clEvENKUlvE_clEvEUldE_St5arrayIPcLm2EEEEviT0_T1_ ; -- Begin function _ZN2at6native29vectorized_elementwise_kernelILi8EZZZNS0_12_GLOBAL__N_121bessel_y1_kernel_cudaERNS_18TensorIteratorBaseEENKUlvE_clEvENKUlvE_clEvEUldE_St5arrayIPcLm2EEEEviT0_T1_
	.p2align	8
	.type	_ZN2at6native29vectorized_elementwise_kernelILi8EZZZNS0_12_GLOBAL__N_121bessel_y1_kernel_cudaERNS_18TensorIteratorBaseEENKUlvE_clEvENKUlvE_clEvEUldE_St5arrayIPcLm2EEEEviT0_T1_,@function
_ZN2at6native29vectorized_elementwise_kernelILi8EZZZNS0_12_GLOBAL__N_121bessel_y1_kernel_cudaERNS_18TensorIteratorBaseEENKUlvE_clEvENKUlvE_clEvEUldE_St5arrayIPcLm2EEEEviT0_T1_: ; @_ZN2at6native29vectorized_elementwise_kernelILi8EZZZNS0_12_GLOBAL__N_121bessel_y1_kernel_cudaERNS_18TensorIteratorBaseEENKUlvE_clEvENKUlvE_clEvEUldE_St5arrayIPcLm2EEEEviT0_T1_
; %bb.0:
	s_clause 0x1
	s_load_b32 s2, s[0:1], 0x0
	s_load_b128 s[8:11], s[0:1], 0x8
	s_wait_xcnt 0x0
	s_bfe_u32 s0, ttmp6, 0x4000c
	s_and_b32 s1, ttmp6, 15
	s_add_co_i32 s0, s0, 1
	s_getreg_b32 s3, hwreg(HW_REG_IB_STS2, 6, 4)
	s_mul_i32 s0, ttmp9, s0
	v_mov_b32_e32 v40, v0
	s_add_co_i32 s1, s1, s0
	s_cmp_eq_u32 s3, 0
	s_mov_b32 s32, 0
	s_cselect_b32 s0, ttmp9, s1
	s_delay_alu instid0(SALU_CYCLE_1)
	s_lshl_b32 s0, s0, 10
	s_wait_kmcnt 0x0
	s_sub_co_i32 s12, s2, s0
	s_mov_b32 s0, -1
	s_cmp_gt_i32 s12, 0x3ff
	s_cbranch_scc1 .LBB3_3
; %bb.1:
	s_and_not1_b32 vcc_lo, exec_lo, s0
	s_cbranch_vccz .LBB3_4
.LBB3_2:
	s_endpgm
.LBB3_3:
	v_dual_mov_b32 v31, v40 :: v_dual_mov_b32 v0, s8
	v_dual_mov_b32 v1, s9 :: v_dual_mov_b32 v2, s10
	v_mov_b32_e32 v3, s11
	s_get_pc_i64 s[0:1]
	s_add_nc_u64 s[0:1], s[0:1], _ZN2at6native25elementwise_kernel_helperILb0EZZZNS0_12_GLOBAL__N_121bessel_y1_kernel_cudaERNS_18TensorIteratorBaseEENKUlvE_clEvENKUlvE_clEvEUldE_NS0_6memory8policies10vectorizedILi4ESt5arrayIPcLm2EELi4EEEEEvT0_T1_@rel64+4
	s_delay_alu instid0(SALU_CYCLE_1)
	s_swap_pc_i64 s[30:31], s[0:1]
	s_cbranch_execnz .LBB3_2
.LBB3_4:
	v_dual_mov_b32 v31, v40 :: v_dual_mov_b32 v0, s8
	v_dual_mov_b32 v1, s9 :: v_dual_mov_b32 v2, s10
	;; [unrolled: 1-line block ×3, first 2 shown]
	s_get_pc_i64 s[0:1]
	s_add_nc_u64 s[0:1], s[0:1], _ZN2at6native25elementwise_kernel_helperILb0EZZZNS0_12_GLOBAL__N_121bessel_y1_kernel_cudaERNS_18TensorIteratorBaseEENKUlvE_clEvENKUlvE_clEvEUldE_NS0_6memory8policies11unroll_baseILi256ESt5arrayIPcLm2EE23TrivialOffsetCalculatorILi1EjESF_NS8_15LoadWithoutCastENS8_16StoreWithoutCastELi4ELi1EEEEEvT0_T1_@rel64+4
	s_delay_alu instid0(SALU_CYCLE_1)
	s_swap_pc_i64 s[30:31], s[0:1]
	s_endpgm
	.section	.rodata,"a",@progbits
	.p2align	6, 0x0
	.amdhsa_kernel _ZN2at6native29vectorized_elementwise_kernelILi8EZZZNS0_12_GLOBAL__N_121bessel_y1_kernel_cudaERNS_18TensorIteratorBaseEENKUlvE_clEvENKUlvE_clEvEUldE_St5arrayIPcLm2EEEEviT0_T1_
		.amdhsa_group_segment_fixed_size 0
		.amdhsa_private_segment_fixed_size 0
		.amdhsa_kernarg_size 24
		.amdhsa_user_sgpr_count 2
		.amdhsa_user_sgpr_dispatch_ptr 0
		.amdhsa_user_sgpr_queue_ptr 0
		.amdhsa_user_sgpr_kernarg_segment_ptr 1
		.amdhsa_user_sgpr_dispatch_id 0
		.amdhsa_user_sgpr_kernarg_preload_length 0
		.amdhsa_user_sgpr_kernarg_preload_offset 0
		.amdhsa_user_sgpr_private_segment_size 0
		.amdhsa_wavefront_size32 1
		.amdhsa_uses_dynamic_stack 0
		.amdhsa_enable_private_segment 0
		.amdhsa_system_sgpr_workgroup_id_x 1
		.amdhsa_system_sgpr_workgroup_id_y 0
		.amdhsa_system_sgpr_workgroup_id_z 0
		.amdhsa_system_sgpr_workgroup_info 0
		.amdhsa_system_vgpr_workitem_id 0
		.amdhsa_next_free_vgpr 101
		.amdhsa_next_free_sgpr 33
		.amdhsa_named_barrier_count 0
		.amdhsa_reserve_vcc 1
		.amdhsa_float_round_mode_32 0
		.amdhsa_float_round_mode_16_64 0
		.amdhsa_float_denorm_mode_32 3
		.amdhsa_float_denorm_mode_16_64 3
		.amdhsa_fp16_overflow 0
		.amdhsa_memory_ordered 1
		.amdhsa_forward_progress 1
		.amdhsa_inst_pref_size 2
		.amdhsa_round_robin_scheduling 0
		.amdhsa_exception_fp_ieee_invalid_op 0
		.amdhsa_exception_fp_denorm_src 0
		.amdhsa_exception_fp_ieee_div_zero 0
		.amdhsa_exception_fp_ieee_overflow 0
		.amdhsa_exception_fp_ieee_underflow 0
		.amdhsa_exception_fp_ieee_inexact 0
		.amdhsa_exception_int_div_zero 0
	.end_amdhsa_kernel
	.section	.text._ZN2at6native29vectorized_elementwise_kernelILi8EZZZNS0_12_GLOBAL__N_121bessel_y1_kernel_cudaERNS_18TensorIteratorBaseEENKUlvE_clEvENKUlvE_clEvEUldE_St5arrayIPcLm2EEEEviT0_T1_,"axG",@progbits,_ZN2at6native29vectorized_elementwise_kernelILi8EZZZNS0_12_GLOBAL__N_121bessel_y1_kernel_cudaERNS_18TensorIteratorBaseEENKUlvE_clEvENKUlvE_clEvEUldE_St5arrayIPcLm2EEEEviT0_T1_,comdat
.Lfunc_end3:
	.size	_ZN2at6native29vectorized_elementwise_kernelILi8EZZZNS0_12_GLOBAL__N_121bessel_y1_kernel_cudaERNS_18TensorIteratorBaseEENKUlvE_clEvENKUlvE_clEvEUldE_St5arrayIPcLm2EEEEviT0_T1_, .Lfunc_end3-_ZN2at6native29vectorized_elementwise_kernelILi8EZZZNS0_12_GLOBAL__N_121bessel_y1_kernel_cudaERNS_18TensorIteratorBaseEENKUlvE_clEvENKUlvE_clEvEUldE_St5arrayIPcLm2EEEEviT0_T1_
                                        ; -- End function
	.set _ZN2at6native29vectorized_elementwise_kernelILi8EZZZNS0_12_GLOBAL__N_121bessel_y1_kernel_cudaERNS_18TensorIteratorBaseEENKUlvE_clEvENKUlvE_clEvEUldE_St5arrayIPcLm2EEEEviT0_T1_.num_vgpr, max(41, .L_ZN2at6native25elementwise_kernel_helperILb0EZZZNS0_12_GLOBAL__N_121bessel_y1_kernel_cudaERNS_18TensorIteratorBaseEENKUlvE_clEvENKUlvE_clEvEUldE_NS0_6memory8policies10vectorizedILi4ESt5arrayIPcLm2EELi4EEEEEvT0_T1_.num_vgpr, .L_ZN2at6native25elementwise_kernel_helperILb0EZZZNS0_12_GLOBAL__N_121bessel_y1_kernel_cudaERNS_18TensorIteratorBaseEENKUlvE_clEvENKUlvE_clEvEUldE_NS0_6memory8policies11unroll_baseILi256ESt5arrayIPcLm2EE23TrivialOffsetCalculatorILi1EjESF_NS8_15LoadWithoutCastENS8_16StoreWithoutCastELi4ELi1EEEEEvT0_T1_.num_vgpr)
	.set _ZN2at6native29vectorized_elementwise_kernelILi8EZZZNS0_12_GLOBAL__N_121bessel_y1_kernel_cudaERNS_18TensorIteratorBaseEENKUlvE_clEvENKUlvE_clEvEUldE_St5arrayIPcLm2EEEEviT0_T1_.num_agpr, max(0, .L_ZN2at6native25elementwise_kernel_helperILb0EZZZNS0_12_GLOBAL__N_121bessel_y1_kernel_cudaERNS_18TensorIteratorBaseEENKUlvE_clEvENKUlvE_clEvEUldE_NS0_6memory8policies10vectorizedILi4ESt5arrayIPcLm2EELi4EEEEEvT0_T1_.num_agpr, .L_ZN2at6native25elementwise_kernel_helperILb0EZZZNS0_12_GLOBAL__N_121bessel_y1_kernel_cudaERNS_18TensorIteratorBaseEENKUlvE_clEvENKUlvE_clEvEUldE_NS0_6memory8policies11unroll_baseILi256ESt5arrayIPcLm2EE23TrivialOffsetCalculatorILi1EjESF_NS8_15LoadWithoutCastENS8_16StoreWithoutCastELi4ELi1EEEEEvT0_T1_.num_agpr)
	.set _ZN2at6native29vectorized_elementwise_kernelILi8EZZZNS0_12_GLOBAL__N_121bessel_y1_kernel_cudaERNS_18TensorIteratorBaseEENKUlvE_clEvENKUlvE_clEvEUldE_St5arrayIPcLm2EEEEviT0_T1_.numbered_sgpr, max(33, .L_ZN2at6native25elementwise_kernel_helperILb0EZZZNS0_12_GLOBAL__N_121bessel_y1_kernel_cudaERNS_18TensorIteratorBaseEENKUlvE_clEvENKUlvE_clEvEUldE_NS0_6memory8policies10vectorizedILi4ESt5arrayIPcLm2EELi4EEEEEvT0_T1_.numbered_sgpr, .L_ZN2at6native25elementwise_kernel_helperILb0EZZZNS0_12_GLOBAL__N_121bessel_y1_kernel_cudaERNS_18TensorIteratorBaseEENKUlvE_clEvENKUlvE_clEvEUldE_NS0_6memory8policies11unroll_baseILi256ESt5arrayIPcLm2EE23TrivialOffsetCalculatorILi1EjESF_NS8_15LoadWithoutCastENS8_16StoreWithoutCastELi4ELi1EEEEEvT0_T1_.numbered_sgpr)
	.set _ZN2at6native29vectorized_elementwise_kernelILi8EZZZNS0_12_GLOBAL__N_121bessel_y1_kernel_cudaERNS_18TensorIteratorBaseEENKUlvE_clEvENKUlvE_clEvEUldE_St5arrayIPcLm2EEEEviT0_T1_.num_named_barrier, max(0, .L_ZN2at6native25elementwise_kernel_helperILb0EZZZNS0_12_GLOBAL__N_121bessel_y1_kernel_cudaERNS_18TensorIteratorBaseEENKUlvE_clEvENKUlvE_clEvEUldE_NS0_6memory8policies10vectorizedILi4ESt5arrayIPcLm2EELi4EEEEEvT0_T1_.num_named_barrier, .L_ZN2at6native25elementwise_kernel_helperILb0EZZZNS0_12_GLOBAL__N_121bessel_y1_kernel_cudaERNS_18TensorIteratorBaseEENKUlvE_clEvENKUlvE_clEvEUldE_NS0_6memory8policies11unroll_baseILi256ESt5arrayIPcLm2EE23TrivialOffsetCalculatorILi1EjESF_NS8_15LoadWithoutCastENS8_16StoreWithoutCastELi4ELi1EEEEEvT0_T1_.num_named_barrier)
	.set _ZN2at6native29vectorized_elementwise_kernelILi8EZZZNS0_12_GLOBAL__N_121bessel_y1_kernel_cudaERNS_18TensorIteratorBaseEENKUlvE_clEvENKUlvE_clEvEUldE_St5arrayIPcLm2EEEEviT0_T1_.private_seg_size, 0+max(.L_ZN2at6native25elementwise_kernel_helperILb0EZZZNS0_12_GLOBAL__N_121bessel_y1_kernel_cudaERNS_18TensorIteratorBaseEENKUlvE_clEvENKUlvE_clEvEUldE_NS0_6memory8policies10vectorizedILi4ESt5arrayIPcLm2EELi4EEEEEvT0_T1_.private_seg_size, .L_ZN2at6native25elementwise_kernel_helperILb0EZZZNS0_12_GLOBAL__N_121bessel_y1_kernel_cudaERNS_18TensorIteratorBaseEENKUlvE_clEvENKUlvE_clEvEUldE_NS0_6memory8policies11unroll_baseILi256ESt5arrayIPcLm2EE23TrivialOffsetCalculatorILi1EjESF_NS8_15LoadWithoutCastENS8_16StoreWithoutCastELi4ELi1EEEEEvT0_T1_.private_seg_size)
	.set _ZN2at6native29vectorized_elementwise_kernelILi8EZZZNS0_12_GLOBAL__N_121bessel_y1_kernel_cudaERNS_18TensorIteratorBaseEENKUlvE_clEvENKUlvE_clEvEUldE_St5arrayIPcLm2EEEEviT0_T1_.uses_vcc, or(1, .L_ZN2at6native25elementwise_kernel_helperILb0EZZZNS0_12_GLOBAL__N_121bessel_y1_kernel_cudaERNS_18TensorIteratorBaseEENKUlvE_clEvENKUlvE_clEvEUldE_NS0_6memory8policies10vectorizedILi4ESt5arrayIPcLm2EELi4EEEEEvT0_T1_.uses_vcc, .L_ZN2at6native25elementwise_kernel_helperILb0EZZZNS0_12_GLOBAL__N_121bessel_y1_kernel_cudaERNS_18TensorIteratorBaseEENKUlvE_clEvENKUlvE_clEvEUldE_NS0_6memory8policies11unroll_baseILi256ESt5arrayIPcLm2EE23TrivialOffsetCalculatorILi1EjESF_NS8_15LoadWithoutCastENS8_16StoreWithoutCastELi4ELi1EEEEEvT0_T1_.uses_vcc)
	.set _ZN2at6native29vectorized_elementwise_kernelILi8EZZZNS0_12_GLOBAL__N_121bessel_y1_kernel_cudaERNS_18TensorIteratorBaseEENKUlvE_clEvENKUlvE_clEvEUldE_St5arrayIPcLm2EEEEviT0_T1_.uses_flat_scratch, or(0, .L_ZN2at6native25elementwise_kernel_helperILb0EZZZNS0_12_GLOBAL__N_121bessel_y1_kernel_cudaERNS_18TensorIteratorBaseEENKUlvE_clEvENKUlvE_clEvEUldE_NS0_6memory8policies10vectorizedILi4ESt5arrayIPcLm2EELi4EEEEEvT0_T1_.uses_flat_scratch, .L_ZN2at6native25elementwise_kernel_helperILb0EZZZNS0_12_GLOBAL__N_121bessel_y1_kernel_cudaERNS_18TensorIteratorBaseEENKUlvE_clEvENKUlvE_clEvEUldE_NS0_6memory8policies11unroll_baseILi256ESt5arrayIPcLm2EE23TrivialOffsetCalculatorILi1EjESF_NS8_15LoadWithoutCastENS8_16StoreWithoutCastELi4ELi1EEEEEvT0_T1_.uses_flat_scratch)
	.set _ZN2at6native29vectorized_elementwise_kernelILi8EZZZNS0_12_GLOBAL__N_121bessel_y1_kernel_cudaERNS_18TensorIteratorBaseEENKUlvE_clEvENKUlvE_clEvEUldE_St5arrayIPcLm2EEEEviT0_T1_.has_dyn_sized_stack, or(0, .L_ZN2at6native25elementwise_kernel_helperILb0EZZZNS0_12_GLOBAL__N_121bessel_y1_kernel_cudaERNS_18TensorIteratorBaseEENKUlvE_clEvENKUlvE_clEvEUldE_NS0_6memory8policies10vectorizedILi4ESt5arrayIPcLm2EELi4EEEEEvT0_T1_.has_dyn_sized_stack, .L_ZN2at6native25elementwise_kernel_helperILb0EZZZNS0_12_GLOBAL__N_121bessel_y1_kernel_cudaERNS_18TensorIteratorBaseEENKUlvE_clEvENKUlvE_clEvEUldE_NS0_6memory8policies11unroll_baseILi256ESt5arrayIPcLm2EE23TrivialOffsetCalculatorILi1EjESF_NS8_15LoadWithoutCastENS8_16StoreWithoutCastELi4ELi1EEEEEvT0_T1_.has_dyn_sized_stack)
	.set _ZN2at6native29vectorized_elementwise_kernelILi8EZZZNS0_12_GLOBAL__N_121bessel_y1_kernel_cudaERNS_18TensorIteratorBaseEENKUlvE_clEvENKUlvE_clEvEUldE_St5arrayIPcLm2EEEEviT0_T1_.has_recursion, or(0, .L_ZN2at6native25elementwise_kernel_helperILb0EZZZNS0_12_GLOBAL__N_121bessel_y1_kernel_cudaERNS_18TensorIteratorBaseEENKUlvE_clEvENKUlvE_clEvEUldE_NS0_6memory8policies10vectorizedILi4ESt5arrayIPcLm2EELi4EEEEEvT0_T1_.has_recursion, .L_ZN2at6native25elementwise_kernel_helperILb0EZZZNS0_12_GLOBAL__N_121bessel_y1_kernel_cudaERNS_18TensorIteratorBaseEENKUlvE_clEvENKUlvE_clEvEUldE_NS0_6memory8policies11unroll_baseILi256ESt5arrayIPcLm2EE23TrivialOffsetCalculatorILi1EjESF_NS8_15LoadWithoutCastENS8_16StoreWithoutCastELi4ELi1EEEEEvT0_T1_.has_recursion)
	.set _ZN2at6native29vectorized_elementwise_kernelILi8EZZZNS0_12_GLOBAL__N_121bessel_y1_kernel_cudaERNS_18TensorIteratorBaseEENKUlvE_clEvENKUlvE_clEvEUldE_St5arrayIPcLm2EEEEviT0_T1_.has_indirect_call, or(0, .L_ZN2at6native25elementwise_kernel_helperILb0EZZZNS0_12_GLOBAL__N_121bessel_y1_kernel_cudaERNS_18TensorIteratorBaseEENKUlvE_clEvENKUlvE_clEvEUldE_NS0_6memory8policies10vectorizedILi4ESt5arrayIPcLm2EELi4EEEEEvT0_T1_.has_indirect_call, .L_ZN2at6native25elementwise_kernel_helperILb0EZZZNS0_12_GLOBAL__N_121bessel_y1_kernel_cudaERNS_18TensorIteratorBaseEENKUlvE_clEvENKUlvE_clEvEUldE_NS0_6memory8policies11unroll_baseILi256ESt5arrayIPcLm2EE23TrivialOffsetCalculatorILi1EjESF_NS8_15LoadWithoutCastENS8_16StoreWithoutCastELi4ELi1EEEEEvT0_T1_.has_indirect_call)
	.section	.AMDGPU.csdata,"",@progbits
; Kernel info:
; codeLenInByte = 212
; TotalNumSgprs: 35
; NumVgprs: 101
; ScratchSize: 0
; MemoryBound: 0
; FloatMode: 240
; IeeeMode: 1
; LDSByteSize: 0 bytes/workgroup (compile time only)
; SGPRBlocks: 0
; VGPRBlocks: 6
; NumSGPRsForWavesPerEU: 35
; NumVGPRsForWavesPerEU: 101
; NamedBarCnt: 0
; Occupancy: 9
; WaveLimiterHint : 0
; COMPUTE_PGM_RSRC2:SCRATCH_EN: 0
; COMPUTE_PGM_RSRC2:USER_SGPR: 2
; COMPUTE_PGM_RSRC2:TRAP_HANDLER: 0
; COMPUTE_PGM_RSRC2:TGID_X_EN: 1
; COMPUTE_PGM_RSRC2:TGID_Y_EN: 0
; COMPUTE_PGM_RSRC2:TGID_Z_EN: 0
; COMPUTE_PGM_RSRC2:TIDIG_COMP_CNT: 0
	.section	.text._ZN2at6native29vectorized_elementwise_kernelILi4EZZZNS0_12_GLOBAL__N_121bessel_y1_kernel_cudaERNS_18TensorIteratorBaseEENKUlvE_clEvENKUlvE_clEvEUldE_St5arrayIPcLm2EEEEviT0_T1_,"axG",@progbits,_ZN2at6native29vectorized_elementwise_kernelILi4EZZZNS0_12_GLOBAL__N_121bessel_y1_kernel_cudaERNS_18TensorIteratorBaseEENKUlvE_clEvENKUlvE_clEvEUldE_St5arrayIPcLm2EEEEviT0_T1_,comdat
	.globl	_ZN2at6native29vectorized_elementwise_kernelILi4EZZZNS0_12_GLOBAL__N_121bessel_y1_kernel_cudaERNS_18TensorIteratorBaseEENKUlvE_clEvENKUlvE_clEvEUldE_St5arrayIPcLm2EEEEviT0_T1_ ; -- Begin function _ZN2at6native29vectorized_elementwise_kernelILi4EZZZNS0_12_GLOBAL__N_121bessel_y1_kernel_cudaERNS_18TensorIteratorBaseEENKUlvE_clEvENKUlvE_clEvEUldE_St5arrayIPcLm2EEEEviT0_T1_
	.p2align	8
	.type	_ZN2at6native29vectorized_elementwise_kernelILi4EZZZNS0_12_GLOBAL__N_121bessel_y1_kernel_cudaERNS_18TensorIteratorBaseEENKUlvE_clEvENKUlvE_clEvEUldE_St5arrayIPcLm2EEEEviT0_T1_,@function
_ZN2at6native29vectorized_elementwise_kernelILi4EZZZNS0_12_GLOBAL__N_121bessel_y1_kernel_cudaERNS_18TensorIteratorBaseEENKUlvE_clEvENKUlvE_clEvEUldE_St5arrayIPcLm2EEEEviT0_T1_: ; @_ZN2at6native29vectorized_elementwise_kernelILi4EZZZNS0_12_GLOBAL__N_121bessel_y1_kernel_cudaERNS_18TensorIteratorBaseEENKUlvE_clEvENKUlvE_clEvEUldE_St5arrayIPcLm2EEEEviT0_T1_
; %bb.0:
	s_clause 0x1
	s_load_b32 s2, s[0:1], 0x0
	s_load_b128 s[8:11], s[0:1], 0x8
	s_wait_xcnt 0x0
	s_bfe_u32 s0, ttmp6, 0x4000c
	s_and_b32 s1, ttmp6, 15
	s_add_co_i32 s0, s0, 1
	s_getreg_b32 s3, hwreg(HW_REG_IB_STS2, 6, 4)
	s_mul_i32 s0, ttmp9, s0
	v_mov_b32_e32 v40, v0
	s_add_co_i32 s1, s1, s0
	s_cmp_eq_u32 s3, 0
	s_mov_b32 s32, 0
	s_cselect_b32 s0, ttmp9, s1
	s_delay_alu instid0(SALU_CYCLE_1)
	s_lshl_b32 s0, s0, 10
	s_wait_kmcnt 0x0
	s_sub_co_i32 s12, s2, s0
	s_mov_b32 s0, -1
	s_cmp_gt_i32 s12, 0x3ff
	s_cbranch_scc1 .LBB4_3
; %bb.1:
	s_and_not1_b32 vcc_lo, exec_lo, s0
	s_cbranch_vccz .LBB4_4
.LBB4_2:
	s_endpgm
.LBB4_3:
	v_dual_mov_b32 v31, v40 :: v_dual_mov_b32 v0, s8
	v_dual_mov_b32 v1, s9 :: v_dual_mov_b32 v2, s10
	v_mov_b32_e32 v3, s11
	s_get_pc_i64 s[0:1]
	s_add_nc_u64 s[0:1], s[0:1], _ZN2at6native25elementwise_kernel_helperILb0EZZZNS0_12_GLOBAL__N_121bessel_y1_kernel_cudaERNS_18TensorIteratorBaseEENKUlvE_clEvENKUlvE_clEvEUldE_NS0_6memory8policies10vectorizedILi4ESt5arrayIPcLm2EELi4EEEEEvT0_T1_@rel64+4
	s_delay_alu instid0(SALU_CYCLE_1)
	s_swap_pc_i64 s[30:31], s[0:1]
	s_cbranch_execnz .LBB4_2
.LBB4_4:
	v_dual_mov_b32 v31, v40 :: v_dual_mov_b32 v0, s8
	v_dual_mov_b32 v1, s9 :: v_dual_mov_b32 v2, s10
	;; [unrolled: 1-line block ×3, first 2 shown]
	s_get_pc_i64 s[0:1]
	s_add_nc_u64 s[0:1], s[0:1], _ZN2at6native25elementwise_kernel_helperILb0EZZZNS0_12_GLOBAL__N_121bessel_y1_kernel_cudaERNS_18TensorIteratorBaseEENKUlvE_clEvENKUlvE_clEvEUldE_NS0_6memory8policies11unroll_baseILi256ESt5arrayIPcLm2EE23TrivialOffsetCalculatorILi1EjESF_NS8_15LoadWithoutCastENS8_16StoreWithoutCastELi4ELi1EEEEEvT0_T1_@rel64+4
	s_delay_alu instid0(SALU_CYCLE_1)
	s_swap_pc_i64 s[30:31], s[0:1]
	s_endpgm
	.section	.rodata,"a",@progbits
	.p2align	6, 0x0
	.amdhsa_kernel _ZN2at6native29vectorized_elementwise_kernelILi4EZZZNS0_12_GLOBAL__N_121bessel_y1_kernel_cudaERNS_18TensorIteratorBaseEENKUlvE_clEvENKUlvE_clEvEUldE_St5arrayIPcLm2EEEEviT0_T1_
		.amdhsa_group_segment_fixed_size 0
		.amdhsa_private_segment_fixed_size 0
		.amdhsa_kernarg_size 24
		.amdhsa_user_sgpr_count 2
		.amdhsa_user_sgpr_dispatch_ptr 0
		.amdhsa_user_sgpr_queue_ptr 0
		.amdhsa_user_sgpr_kernarg_segment_ptr 1
		.amdhsa_user_sgpr_dispatch_id 0
		.amdhsa_user_sgpr_kernarg_preload_length 0
		.amdhsa_user_sgpr_kernarg_preload_offset 0
		.amdhsa_user_sgpr_private_segment_size 0
		.amdhsa_wavefront_size32 1
		.amdhsa_uses_dynamic_stack 0
		.amdhsa_enable_private_segment 0
		.amdhsa_system_sgpr_workgroup_id_x 1
		.amdhsa_system_sgpr_workgroup_id_y 0
		.amdhsa_system_sgpr_workgroup_id_z 0
		.amdhsa_system_sgpr_workgroup_info 0
		.amdhsa_system_vgpr_workitem_id 0
		.amdhsa_next_free_vgpr 101
		.amdhsa_next_free_sgpr 33
		.amdhsa_named_barrier_count 0
		.amdhsa_reserve_vcc 1
		.amdhsa_float_round_mode_32 0
		.amdhsa_float_round_mode_16_64 0
		.amdhsa_float_denorm_mode_32 3
		.amdhsa_float_denorm_mode_16_64 3
		.amdhsa_fp16_overflow 0
		.amdhsa_memory_ordered 1
		.amdhsa_forward_progress 1
		.amdhsa_inst_pref_size 2
		.amdhsa_round_robin_scheduling 0
		.amdhsa_exception_fp_ieee_invalid_op 0
		.amdhsa_exception_fp_denorm_src 0
		.amdhsa_exception_fp_ieee_div_zero 0
		.amdhsa_exception_fp_ieee_overflow 0
		.amdhsa_exception_fp_ieee_underflow 0
		.amdhsa_exception_fp_ieee_inexact 0
		.amdhsa_exception_int_div_zero 0
	.end_amdhsa_kernel
	.section	.text._ZN2at6native29vectorized_elementwise_kernelILi4EZZZNS0_12_GLOBAL__N_121bessel_y1_kernel_cudaERNS_18TensorIteratorBaseEENKUlvE_clEvENKUlvE_clEvEUldE_St5arrayIPcLm2EEEEviT0_T1_,"axG",@progbits,_ZN2at6native29vectorized_elementwise_kernelILi4EZZZNS0_12_GLOBAL__N_121bessel_y1_kernel_cudaERNS_18TensorIteratorBaseEENKUlvE_clEvENKUlvE_clEvEUldE_St5arrayIPcLm2EEEEviT0_T1_,comdat
.Lfunc_end4:
	.size	_ZN2at6native29vectorized_elementwise_kernelILi4EZZZNS0_12_GLOBAL__N_121bessel_y1_kernel_cudaERNS_18TensorIteratorBaseEENKUlvE_clEvENKUlvE_clEvEUldE_St5arrayIPcLm2EEEEviT0_T1_, .Lfunc_end4-_ZN2at6native29vectorized_elementwise_kernelILi4EZZZNS0_12_GLOBAL__N_121bessel_y1_kernel_cudaERNS_18TensorIteratorBaseEENKUlvE_clEvENKUlvE_clEvEUldE_St5arrayIPcLm2EEEEviT0_T1_
                                        ; -- End function
	.set _ZN2at6native29vectorized_elementwise_kernelILi4EZZZNS0_12_GLOBAL__N_121bessel_y1_kernel_cudaERNS_18TensorIteratorBaseEENKUlvE_clEvENKUlvE_clEvEUldE_St5arrayIPcLm2EEEEviT0_T1_.num_vgpr, max(41, .L_ZN2at6native25elementwise_kernel_helperILb0EZZZNS0_12_GLOBAL__N_121bessel_y1_kernel_cudaERNS_18TensorIteratorBaseEENKUlvE_clEvENKUlvE_clEvEUldE_NS0_6memory8policies10vectorizedILi4ESt5arrayIPcLm2EELi4EEEEEvT0_T1_.num_vgpr, .L_ZN2at6native25elementwise_kernel_helperILb0EZZZNS0_12_GLOBAL__N_121bessel_y1_kernel_cudaERNS_18TensorIteratorBaseEENKUlvE_clEvENKUlvE_clEvEUldE_NS0_6memory8policies11unroll_baseILi256ESt5arrayIPcLm2EE23TrivialOffsetCalculatorILi1EjESF_NS8_15LoadWithoutCastENS8_16StoreWithoutCastELi4ELi1EEEEEvT0_T1_.num_vgpr)
	.set _ZN2at6native29vectorized_elementwise_kernelILi4EZZZNS0_12_GLOBAL__N_121bessel_y1_kernel_cudaERNS_18TensorIteratorBaseEENKUlvE_clEvENKUlvE_clEvEUldE_St5arrayIPcLm2EEEEviT0_T1_.num_agpr, max(0, .L_ZN2at6native25elementwise_kernel_helperILb0EZZZNS0_12_GLOBAL__N_121bessel_y1_kernel_cudaERNS_18TensorIteratorBaseEENKUlvE_clEvENKUlvE_clEvEUldE_NS0_6memory8policies10vectorizedILi4ESt5arrayIPcLm2EELi4EEEEEvT0_T1_.num_agpr, .L_ZN2at6native25elementwise_kernel_helperILb0EZZZNS0_12_GLOBAL__N_121bessel_y1_kernel_cudaERNS_18TensorIteratorBaseEENKUlvE_clEvENKUlvE_clEvEUldE_NS0_6memory8policies11unroll_baseILi256ESt5arrayIPcLm2EE23TrivialOffsetCalculatorILi1EjESF_NS8_15LoadWithoutCastENS8_16StoreWithoutCastELi4ELi1EEEEEvT0_T1_.num_agpr)
	.set _ZN2at6native29vectorized_elementwise_kernelILi4EZZZNS0_12_GLOBAL__N_121bessel_y1_kernel_cudaERNS_18TensorIteratorBaseEENKUlvE_clEvENKUlvE_clEvEUldE_St5arrayIPcLm2EEEEviT0_T1_.numbered_sgpr, max(33, .L_ZN2at6native25elementwise_kernel_helperILb0EZZZNS0_12_GLOBAL__N_121bessel_y1_kernel_cudaERNS_18TensorIteratorBaseEENKUlvE_clEvENKUlvE_clEvEUldE_NS0_6memory8policies10vectorizedILi4ESt5arrayIPcLm2EELi4EEEEEvT0_T1_.numbered_sgpr, .L_ZN2at6native25elementwise_kernel_helperILb0EZZZNS0_12_GLOBAL__N_121bessel_y1_kernel_cudaERNS_18TensorIteratorBaseEENKUlvE_clEvENKUlvE_clEvEUldE_NS0_6memory8policies11unroll_baseILi256ESt5arrayIPcLm2EE23TrivialOffsetCalculatorILi1EjESF_NS8_15LoadWithoutCastENS8_16StoreWithoutCastELi4ELi1EEEEEvT0_T1_.numbered_sgpr)
	.set _ZN2at6native29vectorized_elementwise_kernelILi4EZZZNS0_12_GLOBAL__N_121bessel_y1_kernel_cudaERNS_18TensorIteratorBaseEENKUlvE_clEvENKUlvE_clEvEUldE_St5arrayIPcLm2EEEEviT0_T1_.num_named_barrier, max(0, .L_ZN2at6native25elementwise_kernel_helperILb0EZZZNS0_12_GLOBAL__N_121bessel_y1_kernel_cudaERNS_18TensorIteratorBaseEENKUlvE_clEvENKUlvE_clEvEUldE_NS0_6memory8policies10vectorizedILi4ESt5arrayIPcLm2EELi4EEEEEvT0_T1_.num_named_barrier, .L_ZN2at6native25elementwise_kernel_helperILb0EZZZNS0_12_GLOBAL__N_121bessel_y1_kernel_cudaERNS_18TensorIteratorBaseEENKUlvE_clEvENKUlvE_clEvEUldE_NS0_6memory8policies11unroll_baseILi256ESt5arrayIPcLm2EE23TrivialOffsetCalculatorILi1EjESF_NS8_15LoadWithoutCastENS8_16StoreWithoutCastELi4ELi1EEEEEvT0_T1_.num_named_barrier)
	.set _ZN2at6native29vectorized_elementwise_kernelILi4EZZZNS0_12_GLOBAL__N_121bessel_y1_kernel_cudaERNS_18TensorIteratorBaseEENKUlvE_clEvENKUlvE_clEvEUldE_St5arrayIPcLm2EEEEviT0_T1_.private_seg_size, 0+max(.L_ZN2at6native25elementwise_kernel_helperILb0EZZZNS0_12_GLOBAL__N_121bessel_y1_kernel_cudaERNS_18TensorIteratorBaseEENKUlvE_clEvENKUlvE_clEvEUldE_NS0_6memory8policies10vectorizedILi4ESt5arrayIPcLm2EELi4EEEEEvT0_T1_.private_seg_size, .L_ZN2at6native25elementwise_kernel_helperILb0EZZZNS0_12_GLOBAL__N_121bessel_y1_kernel_cudaERNS_18TensorIteratorBaseEENKUlvE_clEvENKUlvE_clEvEUldE_NS0_6memory8policies11unroll_baseILi256ESt5arrayIPcLm2EE23TrivialOffsetCalculatorILi1EjESF_NS8_15LoadWithoutCastENS8_16StoreWithoutCastELi4ELi1EEEEEvT0_T1_.private_seg_size)
	.set _ZN2at6native29vectorized_elementwise_kernelILi4EZZZNS0_12_GLOBAL__N_121bessel_y1_kernel_cudaERNS_18TensorIteratorBaseEENKUlvE_clEvENKUlvE_clEvEUldE_St5arrayIPcLm2EEEEviT0_T1_.uses_vcc, or(1, .L_ZN2at6native25elementwise_kernel_helperILb0EZZZNS0_12_GLOBAL__N_121bessel_y1_kernel_cudaERNS_18TensorIteratorBaseEENKUlvE_clEvENKUlvE_clEvEUldE_NS0_6memory8policies10vectorizedILi4ESt5arrayIPcLm2EELi4EEEEEvT0_T1_.uses_vcc, .L_ZN2at6native25elementwise_kernel_helperILb0EZZZNS0_12_GLOBAL__N_121bessel_y1_kernel_cudaERNS_18TensorIteratorBaseEENKUlvE_clEvENKUlvE_clEvEUldE_NS0_6memory8policies11unroll_baseILi256ESt5arrayIPcLm2EE23TrivialOffsetCalculatorILi1EjESF_NS8_15LoadWithoutCastENS8_16StoreWithoutCastELi4ELi1EEEEEvT0_T1_.uses_vcc)
	.set _ZN2at6native29vectorized_elementwise_kernelILi4EZZZNS0_12_GLOBAL__N_121bessel_y1_kernel_cudaERNS_18TensorIteratorBaseEENKUlvE_clEvENKUlvE_clEvEUldE_St5arrayIPcLm2EEEEviT0_T1_.uses_flat_scratch, or(0, .L_ZN2at6native25elementwise_kernel_helperILb0EZZZNS0_12_GLOBAL__N_121bessel_y1_kernel_cudaERNS_18TensorIteratorBaseEENKUlvE_clEvENKUlvE_clEvEUldE_NS0_6memory8policies10vectorizedILi4ESt5arrayIPcLm2EELi4EEEEEvT0_T1_.uses_flat_scratch, .L_ZN2at6native25elementwise_kernel_helperILb0EZZZNS0_12_GLOBAL__N_121bessel_y1_kernel_cudaERNS_18TensorIteratorBaseEENKUlvE_clEvENKUlvE_clEvEUldE_NS0_6memory8policies11unroll_baseILi256ESt5arrayIPcLm2EE23TrivialOffsetCalculatorILi1EjESF_NS8_15LoadWithoutCastENS8_16StoreWithoutCastELi4ELi1EEEEEvT0_T1_.uses_flat_scratch)
	.set _ZN2at6native29vectorized_elementwise_kernelILi4EZZZNS0_12_GLOBAL__N_121bessel_y1_kernel_cudaERNS_18TensorIteratorBaseEENKUlvE_clEvENKUlvE_clEvEUldE_St5arrayIPcLm2EEEEviT0_T1_.has_dyn_sized_stack, or(0, .L_ZN2at6native25elementwise_kernel_helperILb0EZZZNS0_12_GLOBAL__N_121bessel_y1_kernel_cudaERNS_18TensorIteratorBaseEENKUlvE_clEvENKUlvE_clEvEUldE_NS0_6memory8policies10vectorizedILi4ESt5arrayIPcLm2EELi4EEEEEvT0_T1_.has_dyn_sized_stack, .L_ZN2at6native25elementwise_kernel_helperILb0EZZZNS0_12_GLOBAL__N_121bessel_y1_kernel_cudaERNS_18TensorIteratorBaseEENKUlvE_clEvENKUlvE_clEvEUldE_NS0_6memory8policies11unroll_baseILi256ESt5arrayIPcLm2EE23TrivialOffsetCalculatorILi1EjESF_NS8_15LoadWithoutCastENS8_16StoreWithoutCastELi4ELi1EEEEEvT0_T1_.has_dyn_sized_stack)
	.set _ZN2at6native29vectorized_elementwise_kernelILi4EZZZNS0_12_GLOBAL__N_121bessel_y1_kernel_cudaERNS_18TensorIteratorBaseEENKUlvE_clEvENKUlvE_clEvEUldE_St5arrayIPcLm2EEEEviT0_T1_.has_recursion, or(0, .L_ZN2at6native25elementwise_kernel_helperILb0EZZZNS0_12_GLOBAL__N_121bessel_y1_kernel_cudaERNS_18TensorIteratorBaseEENKUlvE_clEvENKUlvE_clEvEUldE_NS0_6memory8policies10vectorizedILi4ESt5arrayIPcLm2EELi4EEEEEvT0_T1_.has_recursion, .L_ZN2at6native25elementwise_kernel_helperILb0EZZZNS0_12_GLOBAL__N_121bessel_y1_kernel_cudaERNS_18TensorIteratorBaseEENKUlvE_clEvENKUlvE_clEvEUldE_NS0_6memory8policies11unroll_baseILi256ESt5arrayIPcLm2EE23TrivialOffsetCalculatorILi1EjESF_NS8_15LoadWithoutCastENS8_16StoreWithoutCastELi4ELi1EEEEEvT0_T1_.has_recursion)
	.set _ZN2at6native29vectorized_elementwise_kernelILi4EZZZNS0_12_GLOBAL__N_121bessel_y1_kernel_cudaERNS_18TensorIteratorBaseEENKUlvE_clEvENKUlvE_clEvEUldE_St5arrayIPcLm2EEEEviT0_T1_.has_indirect_call, or(0, .L_ZN2at6native25elementwise_kernel_helperILb0EZZZNS0_12_GLOBAL__N_121bessel_y1_kernel_cudaERNS_18TensorIteratorBaseEENKUlvE_clEvENKUlvE_clEvEUldE_NS0_6memory8policies10vectorizedILi4ESt5arrayIPcLm2EELi4EEEEEvT0_T1_.has_indirect_call, .L_ZN2at6native25elementwise_kernel_helperILb0EZZZNS0_12_GLOBAL__N_121bessel_y1_kernel_cudaERNS_18TensorIteratorBaseEENKUlvE_clEvENKUlvE_clEvEUldE_NS0_6memory8policies11unroll_baseILi256ESt5arrayIPcLm2EE23TrivialOffsetCalculatorILi1EjESF_NS8_15LoadWithoutCastENS8_16StoreWithoutCastELi4ELi1EEEEEvT0_T1_.has_indirect_call)
	.section	.AMDGPU.csdata,"",@progbits
; Kernel info:
; codeLenInByte = 212
; TotalNumSgprs: 35
; NumVgprs: 101
; ScratchSize: 0
; MemoryBound: 0
; FloatMode: 240
; IeeeMode: 1
; LDSByteSize: 0 bytes/workgroup (compile time only)
; SGPRBlocks: 0
; VGPRBlocks: 6
; NumSGPRsForWavesPerEU: 35
; NumVGPRsForWavesPerEU: 101
; NamedBarCnt: 0
; Occupancy: 9
; WaveLimiterHint : 0
; COMPUTE_PGM_RSRC2:SCRATCH_EN: 0
; COMPUTE_PGM_RSRC2:USER_SGPR: 2
; COMPUTE_PGM_RSRC2:TRAP_HANDLER: 0
; COMPUTE_PGM_RSRC2:TGID_X_EN: 1
; COMPUTE_PGM_RSRC2:TGID_Y_EN: 0
; COMPUTE_PGM_RSRC2:TGID_Z_EN: 0
; COMPUTE_PGM_RSRC2:TIDIG_COMP_CNT: 0
	.section	.text._ZN2at6native29vectorized_elementwise_kernelILi2EZZZNS0_12_GLOBAL__N_121bessel_y1_kernel_cudaERNS_18TensorIteratorBaseEENKUlvE_clEvENKUlvE_clEvEUldE_St5arrayIPcLm2EEEEviT0_T1_,"axG",@progbits,_ZN2at6native29vectorized_elementwise_kernelILi2EZZZNS0_12_GLOBAL__N_121bessel_y1_kernel_cudaERNS_18TensorIteratorBaseEENKUlvE_clEvENKUlvE_clEvEUldE_St5arrayIPcLm2EEEEviT0_T1_,comdat
	.globl	_ZN2at6native29vectorized_elementwise_kernelILi2EZZZNS0_12_GLOBAL__N_121bessel_y1_kernel_cudaERNS_18TensorIteratorBaseEENKUlvE_clEvENKUlvE_clEvEUldE_St5arrayIPcLm2EEEEviT0_T1_ ; -- Begin function _ZN2at6native29vectorized_elementwise_kernelILi2EZZZNS0_12_GLOBAL__N_121bessel_y1_kernel_cudaERNS_18TensorIteratorBaseEENKUlvE_clEvENKUlvE_clEvEUldE_St5arrayIPcLm2EEEEviT0_T1_
	.p2align	8
	.type	_ZN2at6native29vectorized_elementwise_kernelILi2EZZZNS0_12_GLOBAL__N_121bessel_y1_kernel_cudaERNS_18TensorIteratorBaseEENKUlvE_clEvENKUlvE_clEvEUldE_St5arrayIPcLm2EEEEviT0_T1_,@function
_ZN2at6native29vectorized_elementwise_kernelILi2EZZZNS0_12_GLOBAL__N_121bessel_y1_kernel_cudaERNS_18TensorIteratorBaseEENKUlvE_clEvENKUlvE_clEvEUldE_St5arrayIPcLm2EEEEviT0_T1_: ; @_ZN2at6native29vectorized_elementwise_kernelILi2EZZZNS0_12_GLOBAL__N_121bessel_y1_kernel_cudaERNS_18TensorIteratorBaseEENKUlvE_clEvENKUlvE_clEvEUldE_St5arrayIPcLm2EEEEviT0_T1_
; %bb.0:
	s_clause 0x1
	s_load_b32 s2, s[0:1], 0x0
	s_load_b128 s[4:7], s[0:1], 0x8
	s_wait_xcnt 0x0
	s_bfe_u32 s0, ttmp6, 0x4000c
	s_and_b32 s1, ttmp6, 15
	s_add_co_i32 s0, s0, 1
	s_getreg_b32 s3, hwreg(HW_REG_IB_STS2, 6, 4)
	s_mul_i32 s0, ttmp9, s0
	s_mov_b32 s32, 0
	s_add_co_i32 s1, s1, s0
	s_cmp_eq_u32 s3, 0
	s_cselect_b32 s0, ttmp9, s1
	s_mov_b32 s1, -1
	s_lshl_b32 s0, s0, 10
	s_wait_kmcnt 0x0
	s_sub_co_i32 s3, s2, s0
	s_delay_alu instid0(SALU_CYCLE_1)
	s_cmp_gt_i32 s3, 0x3ff
	s_cbranch_scc0 .LBB5_10
; %bb.1:
	s_ashr_i32 s1, s0, 31
                                        ; implicit-def: $vgpr6_vgpr7
	s_delay_alu instid0(SALU_CYCLE_1) | instskip(NEXT) | instid1(SALU_CYCLE_1)
	s_lshl_b64 s[8:9], s[0:1], 3
	s_add_nc_u64 s[0:1], s[6:7], s[8:9]
	s_clause 0x1
	global_load_b128 v[8:11], v0, s[0:1] scale_offset
	global_load_b128 v[2:5], v0, s[0:1] offset:4096 scale_offset
	s_wait_xcnt 0x0
	s_mov_b32 s0, exec_lo
	s_wait_loadcnt 0x1
	v_cmpx_ge_f64_e32 0x40140000, v[8:9]
	s_xor_b32 s1, exec_lo, s0
	s_cbranch_execz .LBB5_7
; %bb.2:
	v_mov_b64_e32 v[6:7], 0xfff0000000000000
	s_mov_b32 s2, exec_lo
	v_cmpx_neq_f64_e32 0, v[8:9]
	s_cbranch_execz .LBB5_6
; %bb.3:
	v_mov_b64_e32 v[6:7], 0x7ff8000000000000
	s_mov_b32 s10, exec_lo
	v_cmpx_nge_f64_e32 0, v[8:9]
	s_cbranch_execz .LBB5_5
; %bb.4:
	v_frexp_mant_f64_e32 v[6:7], v[8:9]
	s_mov_b64 s[12:13], 0x3fe5555555555555
	s_delay_alu instid0(VALU_DEP_1) | instid1(SALU_CYCLE_1)
	v_cmp_gt_f64_e32 vcc_lo, s[12:13], v[6:7]
	s_mov_b64 s[12:13], 0x3fc3ab76bf559e2b
	v_cndmask_b32_e64 v1, 0, 1, vcc_lo
	s_delay_alu instid0(VALU_DEP_1) | instskip(SKIP_1) | instid1(VALU_DEP_2)
	v_ldexp_f64 v[6:7], v[6:7], v1
	v_frexp_exp_i32_f64_e32 v1, v[8:9]
	v_add_f64_e32 v[12:13], 1.0, v[6:7]
	v_add_f64_e32 v[18:19], -1.0, v[6:7]
	s_delay_alu instid0(VALU_DEP_3) | instskip(NEXT) | instid1(VALU_DEP_3)
	v_subrev_co_ci_u32_e64 v1, null, 0, v1, vcc_lo
	v_rcp_f64_e32 v[14:15], v[12:13]
	v_add_f64_e32 v[20:21], -1.0, v[12:13]
	s_delay_alu instid0(VALU_DEP_1) | instskip(NEXT) | instid1(TRANS32_DEP_1)
	v_add_f64_e64 v[6:7], v[6:7], -v[20:21]
	v_fma_f64 v[16:17], -v[12:13], v[14:15], 1.0
	s_delay_alu instid0(VALU_DEP_1) | instskip(NEXT) | instid1(VALU_DEP_1)
	v_fmac_f64_e32 v[14:15], v[16:17], v[14:15]
	v_fma_f64 v[16:17], -v[12:13], v[14:15], 1.0
	s_delay_alu instid0(VALU_DEP_1) | instskip(NEXT) | instid1(VALU_DEP_1)
	v_fmac_f64_e32 v[14:15], v[16:17], v[14:15]
	v_mul_f64_e32 v[16:17], v[18:19], v[14:15]
	s_delay_alu instid0(VALU_DEP_1) | instskip(NEXT) | instid1(VALU_DEP_1)
	v_mul_f64_e32 v[22:23], v[12:13], v[16:17]
	v_fma_f64 v[12:13], v[16:17], v[12:13], -v[22:23]
	s_delay_alu instid0(VALU_DEP_1) | instskip(NEXT) | instid1(VALU_DEP_1)
	v_fmac_f64_e32 v[12:13], v[16:17], v[6:7]
	v_add_f64_e32 v[6:7], v[22:23], v[12:13]
	s_delay_alu instid0(VALU_DEP_1) | instskip(SKIP_1) | instid1(VALU_DEP_2)
	v_add_f64_e64 v[20:21], v[18:19], -v[6:7]
	v_add_f64_e64 v[22:23], v[6:7], -v[22:23]
	;; [unrolled: 1-line block ×3, first 2 shown]
	s_delay_alu instid0(VALU_DEP_2) | instskip(SKIP_1) | instid1(VALU_DEP_3)
	v_add_f64_e64 v[12:13], v[22:23], -v[12:13]
	v_cvt_f64_i32_e32 v[22:23], v1
	v_add_f64_e64 v[6:7], v[18:19], -v[6:7]
	s_delay_alu instid0(VALU_DEP_2) | instskip(NEXT) | instid1(VALU_DEP_2)
	v_mul_f64_e32 v[28:29], 0x3fe62e42fefa39ef, v[22:23]
	v_add_f64_e32 v[6:7], v[12:13], v[6:7]
	s_delay_alu instid0(VALU_DEP_1) | instskip(NEXT) | instid1(VALU_DEP_1)
	v_add_f64_e32 v[6:7], v[20:21], v[6:7]
	v_mul_f64_e32 v[6:7], v[14:15], v[6:7]
	s_delay_alu instid0(VALU_DEP_1) | instskip(NEXT) | instid1(VALU_DEP_1)
	v_add_f64_e32 v[12:13], v[16:17], v[6:7]
	v_mul_f64_e32 v[14:15], v[12:13], v[12:13]
	s_delay_alu instid0(VALU_DEP_1) | instskip(SKIP_2) | instid1(SALU_CYCLE_1)
	v_fmaak_f64 v[18:19], s[12:13], v[14:15], 0x3fc385386b47b09a
	v_mul_f64_e32 v[20:21], v[12:13], v[14:15]
	s_mov_b64 s[12:13], 0x3fe62e42fefa39ef
	v_fma_f64 v[32:33], v[22:23], s[12:13], -v[28:29]
	s_delay_alu instid0(VALU_DEP_3) | instskip(NEXT) | instid1(VALU_DEP_1)
	v_fmaak_f64 v[18:19], v[14:15], v[18:19], 0x3fc7474dd7f4df2e
	v_fmaak_f64 v[18:19], v[14:15], v[18:19], 0x3fcc71c016291751
	s_delay_alu instid0(VALU_DEP_1) | instskip(NEXT) | instid1(VALU_DEP_1)
	v_fmaak_f64 v[18:19], v[14:15], v[18:19], 0x3fd249249b27acf1
	v_fmaak_f64 v[18:19], v[14:15], v[18:19], 0x3fd99999998ef7b6
	s_delay_alu instid0(VALU_DEP_1) | instskip(SKIP_3) | instid1(VALU_DEP_4)
	v_fmaak_f64 v[14:15], v[14:15], v[18:19], 0x3fe5555555555780
	v_ldexp_f64 v[18:19], v[12:13], 1
	v_add_f64_e64 v[12:13], v[12:13], -v[16:17]
	v_fmamk_f64 v[22:23], v[22:23], 0x3c7abc9e3b39803f, v[32:33]
	v_mul_f64_e32 v[14:15], v[20:21], v[14:15]
	v_mul_f64_e32 v[20:21], v[8:9], v[8:9]
	s_delay_alu instid0(VALU_DEP_3) | instskip(SKIP_1) | instid1(VALU_DEP_4)
	v_add_f64_e32 v[32:33], v[28:29], v[22:23]
	v_add_f64_e64 v[6:7], v[6:7], -v[12:13]
	v_add_f64_e32 v[16:17], v[18:19], v[14:15]
	s_delay_alu instid0(VALU_DEP_4)
	v_fmaak_f64 v[24:25], 0, v[20:21], 0x40829269a93f7ac2
	v_fmaak_f64 v[26:27], 0, v[20:21], 0x408366b11b7086e7
	;; [unrolled: 1-line block ×3, first 2 shown]
	v_add_f64_e64 v[28:29], v[32:33], -v[28:29]
	v_ldexp_f64 v[6:7], v[6:7], 1
	v_add_f64_e64 v[12:13], v[16:17], -v[18:19]
	v_fmaak_f64 v[18:19], v[20:21], v[24:25], 0x410cc160be58ef7f
	v_fmaak_f64 v[24:25], v[20:21], v[26:27], 0x410f5eda0dd701b2
	;; [unrolled: 1-line block ×3, first 2 shown]
	v_add_f64_e64 v[22:23], v[22:23], -v[28:29]
	s_delay_alu instid0(VALU_DEP_4) | instskip(NEXT) | instid1(VALU_DEP_4)
	v_fmaak_f64 v[18:19], v[20:21], v[18:19], 0x419184efa9c8acee
	v_fmaak_f64 v[24:25], v[20:21], v[24:25], 0x4193e954dc92a1b1
	s_delay_alu instid0(VALU_DEP_4) | instskip(NEXT) | instid1(VALU_DEP_3)
	v_fmaak_f64 v[26:27], v[20:21], v[26:27], 0xc262d72d58836521
	v_fmaak_f64 v[18:19], v[20:21], v[18:19], 0x421178c3906b7b83
	s_delay_alu instid0(VALU_DEP_3) | instskip(NEXT) | instid1(VALU_DEP_3)
	v_fmaak_f64 v[24:25], v[20:21], v[24:25], 0x4214a13f7befeac1
	v_fmaak_f64 v[26:27], v[20:21], v[26:27], 0x42da0954b0910fef
	s_delay_alu instid0(VALU_DEP_3) | instskip(NEXT) | instid1(VALU_DEP_3)
	;; [unrolled: 3-line block ×4, first 2 shown]
	v_fmaak_f64 v[24:25], v[20:21], v[24:25], 0x43064b0a3eccf45f
	v_fmaak_f64 v[26:27], v[20:21], v[26:27], 0x438679ad0b7366b1
	v_add_f64_e64 v[12:13], v[14:15], -v[12:13]
	v_fmaak_f64 v[14:15], v[20:21], v[30:31], 0x425a52ba0d438c6b
	v_fmaak_f64 v[18:19], v[20:21], v[18:19], 0x436e83e3c547a488
	;; [unrolled: 1-line block ×4, first 2 shown]
	s_delay_alu instid0(VALU_DEP_4) | instskip(NEXT) | instid1(VALU_DEP_4)
	v_fmaak_f64 v[14:15], v[20:21], v[14:15], 0xc2d08a92e6ccf175
	v_fmaak_f64 v[18:19], v[20:21], v[18:19], 0x43cb90f190f6747f
	s_delay_alu instid0(VALU_DEP_2) | instskip(SKIP_1) | instid1(VALU_DEP_3)
	v_fmaak_f64 v[14:15], v[20:21], v[14:15], 0x432a2b42a697c482
	v_fmaak_f64 v[20:21], v[20:21], v[24:25], 0x43d2779576702939
	v_div_scale_f64 v[24:25], null, v[18:19], v[18:19], v[26:27]
	v_div_scale_f64 v[52:53], vcc_lo, v[26:27], v[18:19], v[26:27]
	s_delay_alu instid0(VALU_DEP_3) | instskip(SKIP_1) | instid1(VALU_DEP_4)
	v_div_scale_f64 v[30:31], null, v[20:21], v[20:21], v[14:15]
	v_add_f64_e32 v[6:7], v[6:7], v[12:13]
	v_rcp_f64_e32 v[12:13], v[24:25]
	s_delay_alu instid0(VALU_DEP_2) | instskip(NEXT) | instid1(VALU_DEP_1)
	v_rcp_f64_e32 v[34:35], v[30:31]
	v_add_f64_e32 v[36:37], v[16:17], v[6:7]
	s_delay_alu instid0(TRANS32_DEP_2) | instskip(NEXT) | instid1(TRANS32_DEP_1)
	v_fma_f64 v[38:39], -v[24:25], v[12:13], 1.0
	v_fma_f64 v[40:41], -v[30:31], v[34:35], 1.0
	s_delay_alu instid0(VALU_DEP_3) | instskip(SKIP_1) | instid1(VALU_DEP_4)
	v_add_f64_e32 v[42:43], v[32:33], v[36:37]
	v_add_f64_e64 v[16:17], v[36:37], -v[16:17]
	v_fmac_f64_e32 v[12:13], v[12:13], v[38:39]
	v_div_scale_f64 v[38:39], null, v[8:9], v[8:9], -1.0
	v_fmac_f64_e32 v[34:35], v[34:35], v[40:41]
	v_add_f64_e64 v[40:41], v[42:43], -v[32:33]
	v_add_f64_e64 v[6:7], v[6:7], -v[16:17]
	v_fma_f64 v[44:45], -v[24:25], v[12:13], 1.0
	v_rcp_f64_e32 v[46:47], v[38:39]
	s_delay_alu instid0(VALU_DEP_4) | instskip(NEXT) | instid1(VALU_DEP_4)
	v_fma_f64 v[48:49], -v[30:31], v[34:35], 1.0
	v_add_f64_e64 v[50:51], v[42:43], -v[40:41]
	v_add_f64_e64 v[16:17], v[36:37], -v[40:41]
	s_delay_alu instid0(VALU_DEP_4) | instskip(SKIP_4) | instid1(TRANS32_DEP_1)
	v_fmac_f64_e32 v[12:13], v[12:13], v[44:45]
	v_div_scale_f64 v[44:45], s0, v[14:15], v[20:21], v[14:15]
	v_fmac_f64_e32 v[34:35], v[34:35], v[48:49]
	v_add_f64_e32 v[48:49], v[22:23], v[6:7]
	v_add_f64_e64 v[28:29], v[32:33], -v[50:51]
	v_fma_f64 v[32:33], -v[38:39], v[46:47], 1.0
	v_mul_f64_e32 v[36:37], v[52:53], v[12:13]
	v_mul_f64_e32 v[40:41], v[44:45], v[34:35]
	s_delay_alu instid0(VALU_DEP_4) | instskip(NEXT) | instid1(VALU_DEP_4)
	v_add_f64_e32 v[16:17], v[16:17], v[28:29]
	v_fmac_f64_e32 v[46:47], v[46:47], v[32:33]
	s_delay_alu instid0(VALU_DEP_4) | instskip(NEXT) | instid1(VALU_DEP_4)
	v_fma_f64 v[24:25], -v[24:25], v[36:37], v[52:53]
	v_fma_f64 v[28:29], -v[30:31], v[40:41], v[44:45]
	v_add_f64_e64 v[30:31], v[48:49], -v[22:23]
	v_add_f64_e32 v[16:17], v[48:49], v[16:17]
	v_fma_f64 v[32:33], -v[38:39], v[46:47], 1.0
	v_div_fmas_f64 v[12:13], v[24:25], v[12:13], v[36:37]
	s_mov_b32 vcc_lo, s0
	v_div_fmas_f64 v[24:25], v[28:29], v[34:35], v[40:41]
	v_add_f64_e64 v[28:29], v[48:49], -v[30:31]
	v_div_scale_f64 v[36:37], vcc_lo, -1.0, v[8:9], -1.0
	v_add_f64_e32 v[34:35], v[42:43], v[16:17]
	v_fmac_f64_e32 v[46:47], v[46:47], v[32:33]
	v_add_f64_e64 v[6:7], v[6:7], -v[30:31]
	v_div_fixup_f64 v[12:13], v[12:13], v[18:19], v[26:27]
	v_div_fixup_f64 v[14:15], v[24:25], v[20:21], v[14:15]
	v_add_f64_e64 v[20:21], v[22:23], -v[28:29]
	v_add_f64_e64 v[22:23], v[34:35], -v[42:43]
	v_mul_f64_e32 v[24:25], v[36:37], v[46:47]
	s_delay_alu instid0(VALU_DEP_4) | instskip(NEXT) | instid1(VALU_DEP_4)
	v_mul_f64_e32 v[14:15], v[8:9], v[14:15]
	v_add_f64_e32 v[6:7], v[6:7], v[20:21]
	s_delay_alu instid0(VALU_DEP_4) | instskip(NEXT) | instid1(VALU_DEP_4)
	v_add_f64_e64 v[16:17], v[16:17], -v[22:23]
	v_fma_f64 v[20:21], -v[38:39], v[24:25], v[36:37]
	v_fmaak_f64 v[22:23], v[8:9], v[8:9], 0xc02d5d2b4189822c
	s_delay_alu instid0(VALU_DEP_1) | instskip(NEXT) | instid1(VALU_DEP_4)
	v_mul_f64_e32 v[14:15], v[22:23], v[14:15]
	v_add_f64_e32 v[6:7], v[6:7], v[16:17]
	s_delay_alu instid0(VALU_DEP_4) | instskip(SKIP_1) | instid1(VALU_DEP_1)
	v_div_fmas_f64 v[16:17], v[20:21], v[46:47], v[24:25]
	v_fmaak_f64 v[20:21], v[8:9], v[8:9], 0xc0489bf66072a432
	v_mul_f64_e32 v[14:15], v[20:21], v[14:15]
	s_delay_alu instid0(VALU_DEP_4) | instskip(NEXT) | instid1(VALU_DEP_4)
	v_add_f64_e32 v[6:7], v[34:35], v[6:7]
	v_div_fixup_f64 v[16:17], v[16:17], v[8:9], -1.0
	s_delay_alu instid0(VALU_DEP_1) | instskip(NEXT) | instid1(VALU_DEP_1)
	v_fmac_f64_e32 v[16:17], v[14:15], v[6:7]
	v_mul_f64_e32 v[6:7], 0x3fe45f306dc9c883, v[16:17]
	s_delay_alu instid0(VALU_DEP_1)
	v_fmac_f64_e32 v[6:7], v[8:9], v[12:13]
.LBB5_5:
	s_or_b32 exec_lo, exec_lo, s10
.LBB5_6:
	s_delay_alu instid0(SALU_CYCLE_1)
	s_or_b32 exec_lo, exec_lo, s2
.LBB5_7:
	s_and_not1_saveexec_b32 s10, s1
	s_cbranch_execz .LBB5_19
; %bb.8:
	v_add_f64_e32 v[6:7], 0xc002d97c7f3321d2, v[8:9]
                                        ; implicit-def: $vgpr1
                                        ; implicit-def: $vgpr12_vgpr13
                                        ; implicit-def: $vgpr14_vgpr15
	s_delay_alu instid0(VALU_DEP_1)
	v_cmp_ngt_f64_e64 s0, 0x41d00000, |v[6:7]|
	v_trig_preop_f64 v[24:25], |v[6:7]|, 0
	v_trig_preop_f64 v[22:23], |v[6:7]|, 1
	v_ldexp_f64 v[26:27], |v[6:7]|, 0xffffff80
	v_trig_preop_f64 v[20:21], |v[6:7]|, 2
	v_and_b32_e32 v29, 0x7fffffff, v7
	s_and_saveexec_b32 s1, s0
	s_delay_alu instid0(SALU_CYCLE_1)
	s_xor_b32 s1, exec_lo, s1
	s_cbranch_execz .LBB5_12
; %bb.9:
	v_cmp_le_f64_e64 vcc_lo, 0x7b000000, |v[6:7]|
	s_mov_b64 s[12:13], 0x3ff921fb54442d18
	v_dual_mov_b32 v42, 0 :: v_dual_cndmask_b32 v13, v29, v27
	v_cndmask_b32_e32 v12, v6, v26, vcc_lo
	s_delay_alu instid0(VALU_DEP_1) | instskip(SKIP_2) | instid1(VALU_DEP_3)
	v_mul_f64_e32 v[14:15], v[24:25], v[12:13]
	v_mul_f64_e32 v[16:17], v[22:23], v[12:13]
	;; [unrolled: 1-line block ×3, first 2 shown]
	v_fma_f64 v[18:19], v[24:25], v[12:13], -v[14:15]
	s_delay_alu instid0(VALU_DEP_3) | instskip(NEXT) | instid1(VALU_DEP_3)
	v_fma_f64 v[40:41], v[22:23], v[12:13], -v[16:17]
	v_fma_f64 v[12:13], v[20:21], v[12:13], -v[38:39]
	s_delay_alu instid0(VALU_DEP_3) | instskip(NEXT) | instid1(VALU_DEP_1)
	v_add_f64_e32 v[30:31], v[16:17], v[18:19]
	v_add_f64_e64 v[32:33], v[30:31], -v[16:17]
	v_add_f64_e32 v[36:37], v[14:15], v[30:31]
	s_delay_alu instid0(VALU_DEP_2) | instskip(SKIP_1) | instid1(VALU_DEP_3)
	v_add_f64_e64 v[34:35], v[30:31], -v[32:33]
	v_add_f64_e64 v[18:19], v[18:19], -v[32:33]
	v_ldexp_f64 v[32:33], v[36:37], -2
	s_delay_alu instid0(VALU_DEP_3) | instskip(SKIP_1) | instid1(VALU_DEP_3)
	v_add_f64_e64 v[16:17], v[16:17], -v[34:35]
	v_add_f64_e32 v[34:35], v[38:39], v[40:41]
	v_cmp_neq_f64_e64 vcc_lo, 0x7ff00000, |v[32:33]|
	s_delay_alu instid0(VALU_DEP_3) | instskip(SKIP_1) | instid1(VALU_DEP_1)
	v_add_f64_e32 v[16:17], v[18:19], v[16:17]
	v_fract_f64_e32 v[18:19], v[32:33]
	v_ldexp_f64 v[18:19], v[18:19], 2
	s_delay_alu instid0(VALU_DEP_1) | instskip(SKIP_1) | instid1(VALU_DEP_3)
	v_cndmask_b32_e32 v19, 0, v19, vcc_lo
	v_add_f64_e64 v[14:15], v[36:37], -v[14:15]
	v_cndmask_b32_e32 v18, 0, v18, vcc_lo
	s_delay_alu instid0(VALU_DEP_2) | instskip(SKIP_1) | instid1(VALU_DEP_1)
	v_add_f64_e64 v[14:15], v[30:31], -v[14:15]
	v_add_f64_e32 v[30:31], v[34:35], v[16:17]
	v_add_f64_e32 v[32:33], v[14:15], v[30:31]
	v_add_f64_e64 v[44:45], v[30:31], -v[34:35]
	s_delay_alu instid0(VALU_DEP_2) | instskip(NEXT) | instid1(VALU_DEP_2)
	v_add_f64_e32 v[36:37], v[32:33], v[18:19]
	v_add_f64_e64 v[50:51], v[30:31], -v[44:45]
	v_add_f64_e64 v[16:17], v[16:17], -v[44:45]
	;; [unrolled: 1-line block ×3, first 2 shown]
	s_delay_alu instid0(VALU_DEP_4) | instskip(SKIP_1) | instid1(VALU_DEP_3)
	v_cmp_gt_f64_e32 vcc_lo, 0, v[36:37]
	v_add_f64_e64 v[36:37], v[34:35], -v[38:39]
	v_add_f64_e64 v[14:15], v[30:31], -v[14:15]
	v_cndmask_b32_e64 v43, 0, 0x40100000, vcc_lo
	s_delay_alu instid0(VALU_DEP_3) | instskip(SKIP_2) | instid1(VALU_DEP_4)
	v_add_f64_e64 v[48:49], v[34:35], -v[36:37]
	v_add_f64_e64 v[36:37], v[40:41], -v[36:37]
	;; [unrolled: 1-line block ×3, first 2 shown]
	v_add_f64_e32 v[18:19], v[18:19], v[42:43]
	s_delay_alu instid0(VALU_DEP_4) | instskip(NEXT) | instid1(VALU_DEP_3)
	v_add_f64_e64 v[40:41], v[38:39], -v[48:49]
	v_add_f64_e32 v[16:17], v[16:17], v[34:35]
	s_delay_alu instid0(VALU_DEP_3) | instskip(NEXT) | instid1(VALU_DEP_3)
	v_add_f64_e32 v[46:47], v[32:33], v[18:19]
	v_add_f64_e32 v[36:37], v[36:37], v[40:41]
	s_delay_alu instid0(VALU_DEP_2) | instskip(NEXT) | instid1(VALU_DEP_2)
	v_cvt_i32_f64_e32 v1, v[46:47]
	v_add_f64_e32 v[16:17], v[36:37], v[16:17]
	s_delay_alu instid0(VALU_DEP_2) | instskip(NEXT) | instid1(VALU_DEP_2)
	v_cvt_f64_i32_e32 v[44:45], v1
	v_add_f64_e32 v[12:13], v[12:13], v[16:17]
	s_delay_alu instid0(VALU_DEP_2) | instskip(NEXT) | instid1(VALU_DEP_2)
	v_add_f64_e64 v[18:19], v[18:19], -v[44:45]
	v_add_f64_e32 v[12:13], v[14:15], v[12:13]
	s_delay_alu instid0(VALU_DEP_2) | instskip(NEXT) | instid1(VALU_DEP_1)
	v_add_f64_e32 v[34:35], v[32:33], v[18:19]
	v_add_f64_e64 v[16:17], v[34:35], -v[18:19]
	v_cmp_le_f64_e32 vcc_lo, 0.5, v[34:35]
	s_delay_alu instid0(VALU_DEP_2) | instskip(SKIP_2) | instid1(VALU_DEP_3)
	v_add_f64_e64 v[14:15], v[32:33], -v[16:17]
	v_cndmask_b32_e64 v43, 0, 0x3ff00000, vcc_lo
	v_add_co_ci_u32_e64 v1, null, 0, v1, vcc_lo
	v_add_f64_e32 v[12:13], v[12:13], v[14:15]
	s_delay_alu instid0(VALU_DEP_3) | instskip(NEXT) | instid1(VALU_DEP_1)
	v_add_f64_e64 v[14:15], v[34:35], -v[42:43]
	v_add_f64_e32 v[16:17], v[14:15], v[12:13]
	s_delay_alu instid0(VALU_DEP_1) | instskip(SKIP_1) | instid1(VALU_DEP_2)
	v_mul_f64_e32 v[18:19], 0x3ff921fb54442d18, v[16:17]
	v_add_f64_e64 v[14:15], v[16:17], -v[14:15]
	v_fma_f64 v[30:31], v[16:17], s[12:13], -v[18:19]
	s_delay_alu instid0(VALU_DEP_2) | instskip(NEXT) | instid1(VALU_DEP_2)
	v_add_f64_e64 v[12:13], v[12:13], -v[14:15]
	v_fmamk_f64 v[14:15], v[16:17], 0x3c91a62633145c07, v[30:31]
	s_delay_alu instid0(VALU_DEP_1) | instskip(NEXT) | instid1(VALU_DEP_1)
	v_fmac_f64_e32 v[14:15], 0x3ff921fb54442d18, v[12:13]
	v_add_f64_e32 v[12:13], v[18:19], v[14:15]
	s_delay_alu instid0(VALU_DEP_1) | instskip(NEXT) | instid1(VALU_DEP_1)
	v_add_f64_e64 v[16:17], v[12:13], -v[18:19]
	v_add_f64_e64 v[14:15], v[14:15], -v[16:17]
	s_and_not1_saveexec_b32 s1, s1
	s_cbranch_execz .LBB5_14
	s_branch .LBB5_13
.LBB5_10:
	s_and_b32 vcc_lo, exec_lo, s1
	s_cbranch_vccz .LBB5_68
; %bb.11:
	s_wait_xcnt 0x0
	v_dual_mov_b32 v31, v0 :: v_dual_mov_b32 v0, s4
	v_dual_mov_b32 v1, s5 :: v_dual_mov_b32 v2, s6
	;; [unrolled: 1-line block ×3, first 2 shown]
	s_get_pc_i64 s[0:1]
	s_add_nc_u64 s[0:1], s[0:1], _ZN2at6native25elementwise_kernel_helperILb0EZZZNS0_12_GLOBAL__N_121bessel_y1_kernel_cudaERNS_18TensorIteratorBaseEENKUlvE_clEvENKUlvE_clEvEUldE_NS0_6memory8policies11unroll_baseILi256ESt5arrayIPcLm2EE23TrivialOffsetCalculatorILi1EjESF_NS8_15LoadWithoutCastENS8_16StoreWithoutCastELi4ELi1EEEEEvT0_T1_@rel64+4
	s_delay_alu instid0(SALU_CYCLE_1)
	s_swap_pc_i64 s[30:31], s[0:1]
	s_endpgm
.LBB5_12:
	s_and_not1_saveexec_b32 s1, s1
	s_cbranch_execz .LBB5_14
.LBB5_13:
	s_mov_b64 s[12:13], 0x3fe45f306dc9c883
	s_delay_alu instid0(SALU_CYCLE_1) | instskip(SKIP_1) | instid1(VALU_DEP_1)
	v_mul_f64_e64 v[12:13], |v[6:7]|, s[12:13]
	s_mov_b64 s[12:13], 0xbff921fb54442d18
	v_rndne_f64_e32 v[16:17], v[12:13]
	s_delay_alu instid0(VALU_DEP_1) | instskip(SKIP_2) | instid1(VALU_DEP_3)
	v_fma_f64 v[12:13], v[16:17], s[12:13], |v[6:7]|
	v_mul_f64_e32 v[14:15], 0xbc91a62633145c00, v[16:17]
	v_cvt_i32_f64_e32 v1, v[16:17]
	v_fmamk_f64 v[32:33], v[16:17], 0xbc91a62633145c00, v[12:13]
	s_delay_alu instid0(VALU_DEP_3) | instskip(NEXT) | instid1(VALU_DEP_1)
	v_add_f64_e32 v[18:19], v[12:13], v[14:15]
	v_add_f64_e64 v[30:31], v[12:13], -v[18:19]
	s_delay_alu instid0(VALU_DEP_3) | instskip(NEXT) | instid1(VALU_DEP_2)
	v_add_f64_e64 v[12:13], v[18:19], -v[32:33]
	v_add_f64_e32 v[18:19], v[30:31], v[14:15]
	v_fmamk_f64 v[14:15], v[16:17], 0x3c91a62633145c00, v[14:15]
	s_delay_alu instid0(VALU_DEP_2) | instskip(NEXT) | instid1(VALU_DEP_1)
	v_add_f64_e32 v[12:13], v[12:13], v[18:19]
	v_add_f64_e64 v[12:13], v[12:13], -v[14:15]
	s_delay_alu instid0(VALU_DEP_1) | instskip(NEXT) | instid1(VALU_DEP_1)
	v_fmamk_f64 v[14:15], v[16:17], 0xb97b839a252049c0, v[12:13]
	v_add_f64_e32 v[12:13], v[32:33], v[14:15]
	s_delay_alu instid0(VALU_DEP_1) | instskip(NEXT) | instid1(VALU_DEP_1)
	v_add_f64_e64 v[18:19], v[12:13], -v[32:33]
	v_add_f64_e64 v[14:15], v[14:15], -v[18:19]
.LBB5_14:
	s_or_b32 exec_lo, exec_lo, s1
                                        ; implicit-def: $vgpr28
                                        ; implicit-def: $vgpr16_vgpr17
                                        ; implicit-def: $vgpr18_vgpr19
	s_and_saveexec_b32 s1, s0
	s_delay_alu instid0(SALU_CYCLE_1)
	s_xor_b32 s0, exec_lo, s1
	s_cbranch_execz .LBB5_16
; %bb.15:
	v_cmp_le_f64_e64 vcc_lo, 0x7b000000, |v[6:7]|
	s_mov_b64 s[12:13], 0x3ff921fb54442d18
	v_dual_mov_b32 v38, 0 :: v_dual_cndmask_b32 v17, v29, v27
	v_cndmask_b32_e32 v16, v6, v26, vcc_lo
	s_delay_alu instid0(VALU_DEP_1) | instskip(SKIP_2) | instid1(VALU_DEP_3)
	v_mul_f64_e32 v[18:19], v[24:25], v[16:17]
	v_mul_f64_e32 v[26:27], v[22:23], v[16:17]
	;; [unrolled: 1-line block ×3, first 2 shown]
	v_fma_f64 v[24:25], v[24:25], v[16:17], -v[18:19]
	s_delay_alu instid0(VALU_DEP_3) | instskip(NEXT) | instid1(VALU_DEP_3)
	v_fma_f64 v[22:23], v[22:23], v[16:17], -v[26:27]
	v_fma_f64 v[16:17], v[20:21], v[16:17], -v[36:37]
	s_delay_alu instid0(VALU_DEP_3) | instskip(NEXT) | instid1(VALU_DEP_1)
	v_add_f64_e32 v[28:29], v[26:27], v[24:25]
	v_add_f64_e64 v[30:31], v[28:29], -v[26:27]
	v_add_f64_e32 v[34:35], v[18:19], v[28:29]
	s_delay_alu instid0(VALU_DEP_2) | instskip(SKIP_1) | instid1(VALU_DEP_3)
	v_add_f64_e64 v[32:33], v[28:29], -v[30:31]
	v_add_f64_e64 v[24:25], v[24:25], -v[30:31]
	v_ldexp_f64 v[30:31], v[34:35], -2
	s_delay_alu instid0(VALU_DEP_3) | instskip(SKIP_1) | instid1(VALU_DEP_3)
	v_add_f64_e64 v[26:27], v[26:27], -v[32:33]
	v_add_f64_e32 v[32:33], v[36:37], v[22:23]
	v_cmp_neq_f64_e64 vcc_lo, 0x7ff00000, |v[30:31]|
	s_delay_alu instid0(VALU_DEP_3) | instskip(SKIP_1) | instid1(VALU_DEP_1)
	v_add_f64_e32 v[24:25], v[24:25], v[26:27]
	v_fract_f64_e32 v[26:27], v[30:31]
	v_ldexp_f64 v[26:27], v[26:27], 2
	s_delay_alu instid0(VALU_DEP_1) | instskip(SKIP_1) | instid1(VALU_DEP_3)
	v_cndmask_b32_e32 v27, 0, v27, vcc_lo
	v_add_f64_e64 v[18:19], v[34:35], -v[18:19]
	v_cndmask_b32_e32 v26, 0, v26, vcc_lo
	s_delay_alu instid0(VALU_DEP_2) | instskip(SKIP_1) | instid1(VALU_DEP_1)
	v_add_f64_e64 v[18:19], v[28:29], -v[18:19]
	v_add_f64_e32 v[28:29], v[32:33], v[24:25]
	v_add_f64_e32 v[30:31], v[18:19], v[28:29]
	v_add_f64_e64 v[40:41], v[28:29], -v[32:33]
	s_delay_alu instid0(VALU_DEP_2) | instskip(NEXT) | instid1(VALU_DEP_2)
	v_add_f64_e32 v[34:35], v[30:31], v[26:27]
	v_add_f64_e64 v[46:47], v[28:29], -v[40:41]
	v_add_f64_e64 v[24:25], v[24:25], -v[40:41]
	;; [unrolled: 1-line block ×3, first 2 shown]
	s_delay_alu instid0(VALU_DEP_4) | instskip(SKIP_1) | instid1(VALU_DEP_3)
	v_cmp_gt_f64_e32 vcc_lo, 0, v[34:35]
	v_add_f64_e64 v[34:35], v[32:33], -v[36:37]
	v_add_f64_e64 v[18:19], v[28:29], -v[18:19]
	v_cndmask_b32_e64 v39, 0, 0x40100000, vcc_lo
	s_delay_alu instid0(VALU_DEP_3) | instskip(SKIP_2) | instid1(VALU_DEP_4)
	v_add_f64_e64 v[44:45], v[32:33], -v[34:35]
	v_add_f64_e64 v[22:23], v[22:23], -v[34:35]
	;; [unrolled: 1-line block ×3, first 2 shown]
	v_add_f64_e32 v[26:27], v[26:27], v[38:39]
	s_delay_alu instid0(VALU_DEP_4) | instskip(NEXT) | instid1(VALU_DEP_3)
	v_add_f64_e64 v[34:35], v[36:37], -v[44:45]
	v_add_f64_e32 v[24:25], v[24:25], v[32:33]
	s_delay_alu instid0(VALU_DEP_3) | instskip(NEXT) | instid1(VALU_DEP_3)
	v_add_f64_e32 v[42:43], v[30:31], v[26:27]
	v_add_f64_e32 v[22:23], v[22:23], v[34:35]
	s_delay_alu instid0(VALU_DEP_2) | instskip(NEXT) | instid1(VALU_DEP_2)
	v_cvt_i32_f64_e32 v39, v[42:43]
	v_add_f64_e32 v[20:21], v[22:23], v[24:25]
	s_delay_alu instid0(VALU_DEP_2) | instskip(NEXT) | instid1(VALU_DEP_2)
	v_cvt_f64_i32_e32 v[40:41], v39
	v_add_f64_e32 v[16:17], v[16:17], v[20:21]
	s_delay_alu instid0(VALU_DEP_2) | instskip(NEXT) | instid1(VALU_DEP_2)
	v_add_f64_e64 v[26:27], v[26:27], -v[40:41]
	v_add_f64_e32 v[16:17], v[18:19], v[16:17]
	s_delay_alu instid0(VALU_DEP_2) | instskip(NEXT) | instid1(VALU_DEP_1)
	v_add_f64_e32 v[22:23], v[30:31], v[26:27]
	v_add_f64_e64 v[20:21], v[22:23], -v[26:27]
	v_cmp_le_f64_e32 vcc_lo, 0.5, v[22:23]
	s_delay_alu instid0(VALU_DEP_2) | instskip(SKIP_2) | instid1(VALU_DEP_3)
	v_add_f64_e64 v[18:19], v[30:31], -v[20:21]
	v_add_co_ci_u32_e64 v28, null, 0, v39, vcc_lo
	v_cndmask_b32_e64 v39, 0, 0x3ff00000, vcc_lo
	v_add_f64_e32 v[16:17], v[16:17], v[18:19]
	s_delay_alu instid0(VALU_DEP_2) | instskip(NEXT) | instid1(VALU_DEP_1)
	v_add_f64_e64 v[18:19], v[22:23], -v[38:39]
	v_add_f64_e32 v[20:21], v[18:19], v[16:17]
	s_delay_alu instid0(VALU_DEP_1) | instskip(SKIP_1) | instid1(VALU_DEP_2)
	v_mul_f64_e32 v[22:23], 0x3ff921fb54442d18, v[20:21]
	v_add_f64_e64 v[18:19], v[20:21], -v[18:19]
	v_fma_f64 v[24:25], v[20:21], s[12:13], -v[22:23]
	s_delay_alu instid0(VALU_DEP_2) | instskip(NEXT) | instid1(VALU_DEP_2)
	v_add_f64_e64 v[16:17], v[16:17], -v[18:19]
	v_fmamk_f64 v[18:19], v[20:21], 0x3c91a62633145c07, v[24:25]
	s_delay_alu instid0(VALU_DEP_1) | instskip(NEXT) | instid1(VALU_DEP_1)
	v_fmac_f64_e32 v[18:19], 0x3ff921fb54442d18, v[16:17]
	v_add_f64_e32 v[16:17], v[22:23], v[18:19]
	s_delay_alu instid0(VALU_DEP_1) | instskip(NEXT) | instid1(VALU_DEP_1)
	v_add_f64_e64 v[20:21], v[16:17], -v[22:23]
	v_add_f64_e64 v[18:19], v[18:19], -v[20:21]
	s_and_not1_saveexec_b32 s0, s0
	s_cbranch_execnz .LBB5_17
	s_branch .LBB5_18
.LBB5_16:
	s_and_not1_saveexec_b32 s0, s0
	s_cbranch_execz .LBB5_18
.LBB5_17:
	s_mov_b64 s[12:13], 0x3fe45f306dc9c883
	s_delay_alu instid0(SALU_CYCLE_1) | instskip(SKIP_1) | instid1(VALU_DEP_1)
	v_mul_f64_e64 v[16:17], |v[6:7]|, s[12:13]
	s_mov_b64 s[12:13], 0xbff921fb54442d18
	v_rndne_f64_e32 v[20:21], v[16:17]
	s_delay_alu instid0(VALU_DEP_1) | instskip(SKIP_2) | instid1(VALU_DEP_3)
	v_fma_f64 v[16:17], v[20:21], s[12:13], |v[6:7]|
	v_mul_f64_e32 v[18:19], 0xbc91a62633145c00, v[20:21]
	v_cvt_i32_f64_e32 v28, v[20:21]
	v_fmamk_f64 v[26:27], v[20:21], 0xbc91a62633145c00, v[16:17]
	s_delay_alu instid0(VALU_DEP_3) | instskip(NEXT) | instid1(VALU_DEP_1)
	v_add_f64_e32 v[22:23], v[16:17], v[18:19]
	v_add_f64_e64 v[24:25], v[16:17], -v[22:23]
	s_delay_alu instid0(VALU_DEP_3) | instskip(NEXT) | instid1(VALU_DEP_2)
	v_add_f64_e64 v[16:17], v[22:23], -v[26:27]
	v_add_f64_e32 v[22:23], v[24:25], v[18:19]
	v_fmamk_f64 v[18:19], v[20:21], 0x3c91a62633145c00, v[18:19]
	s_delay_alu instid0(VALU_DEP_2) | instskip(NEXT) | instid1(VALU_DEP_1)
	v_add_f64_e32 v[16:17], v[16:17], v[22:23]
	v_add_f64_e64 v[16:17], v[16:17], -v[18:19]
	s_delay_alu instid0(VALU_DEP_1) | instskip(NEXT) | instid1(VALU_DEP_1)
	v_fmamk_f64 v[18:19], v[20:21], 0xb97b839a252049c0, v[16:17]
	v_add_f64_e32 v[16:17], v[26:27], v[18:19]
	s_delay_alu instid0(VALU_DEP_1) | instskip(NEXT) | instid1(VALU_DEP_1)
	v_add_f64_e64 v[22:23], v[16:17], -v[26:27]
	v_add_f64_e64 v[18:19], v[18:19], -v[22:23]
.LBB5_18:
	s_or_b32 exec_lo, exec_lo, s0
	v_div_scale_f64 v[20:21], null, v[8:9], v[8:9], 0x40140000
	v_div_scale_f64 v[26:27], vcc_lo, 0x40140000, v[8:9], 0x40140000
	v_mul_f64_e32 v[40:41], v[12:13], v[12:13]
	v_mul_f64_e32 v[42:43], v[16:17], v[16:17]
	v_mov_b64_e32 v[48:49], 0xbe5ae600b42fdfa7
	v_cmp_gt_f64_e64 s0, 0x10000000, v[8:9]
	v_mov_b64_e32 v[64:65], 0xbe927e4fa17f65f6
	v_mul_f64_e32 v[66:67], 0.5, v[14:15]
	v_mov_b64_e32 v[62:63], 0xbf2a01a019e83e5c
	v_mov_b64_e32 v[72:73], 0x3f81111111110bb3
	v_rcp_f64_e32 v[22:23], v[20:21]
	v_fmamk_f64 v[50:51], v[40:41], 0x3de5e0b2f9a43bb8, v[48:49]
	v_fmac_f64_e32 v[48:49], 0x3de5e0b2f9a43bb8, v[42:43]
	v_mul_f64_e32 v[52:53], 0.5, v[40:41]
	v_cndmask_b32_e64 v29, 0, 0x100, s0
	v_mul_f64_e64 v[68:69], v[12:13], -v[40:41]
	v_fmaak_f64 v[50:51], v[40:41], v[50:51], 0x3ec71de3796cde01
	s_delay_alu instid0(VALU_DEP_1) | instskip(NEXT) | instid1(VALU_DEP_1)
	v_fmaak_f64 v[50:51], v[40:41], v[50:51], 0xbf2a01a019e83e5c
	v_fmaak_f64 v[50:51], v[40:41], v[50:51], 0x3f81111111110bb3
	v_add_f64_e64 v[56:57], -v[52:53], 1.0
	s_delay_alu instid0(TRANS32_DEP_1) | instskip(NEXT) | instid1(VALU_DEP_3)
	v_fma_f64 v[24:25], -v[20:21], v[22:23], 1.0
	v_fmac_f64_e32 v[66:67], v[68:69], v[50:51]
	s_delay_alu instid0(VALU_DEP_3) | instskip(NEXT) | instid1(VALU_DEP_3)
	v_add_f64_e64 v[70:71], -v[56:57], 1.0
	v_fmac_f64_e32 v[22:23], v[22:23], v[24:25]
	s_delay_alu instid0(VALU_DEP_1) | instskip(NEXT) | instid1(VALU_DEP_1)
	v_fma_f64 v[24:25], -v[20:21], v[22:23], 1.0
	v_fmac_f64_e32 v[22:23], v[22:23], v[24:25]
	s_delay_alu instid0(VALU_DEP_1) | instskip(NEXT) | instid1(VALU_DEP_1)
	v_mul_f64_e32 v[24:25], v[26:27], v[22:23]
	v_fma_f64 v[20:21], -v[20:21], v[24:25], v[26:27]
	s_delay_alu instid0(VALU_DEP_1) | instskip(NEXT) | instid1(VALU_DEP_1)
	v_div_fmas_f64 v[20:21], v[20:21], v[22:23], v[24:25]
	v_div_fixup_f64 v[20:21], v[20:21], v[8:9], 0x40140000
	v_ldexp_f64 v[8:9], v[8:9], v29
	v_dual_fma_f64 v[66:67], v[40:41], v[66:67], -v[14:15] :: v_dual_bitop2_b32 v29, 1, v1 bitop3:0x40
	v_lshlrev_b32_e32 v1, 30, v1
	s_delay_alu instid0(VALU_DEP_1) | instskip(SKIP_1) | instid1(VALU_DEP_4)
	v_dual_add_f64 v[50:51], v[70:71], -v[52:53] :: v_dual_bitop2_b32 v1, v1, v7 bitop3:0x14
	v_mul_f64_e32 v[22:23], v[20:21], v[20:21]
	v_fmac_f64_e32 v[66:67], 0xbfc5555555555555, v[68:69]
	s_delay_alu instid0(VALU_DEP_3) | instskip(SKIP_1) | instid1(VALU_DEP_4)
	v_fma_f64 v[14:15], v[12:13], -v[14:15], v[50:51]
	v_mov_b64_e32 v[50:51], 0x3fa5555555555555
	v_fmaak_f64 v[24:25], 0, v[22:23], 0x3f42b89b13443d69
	v_fmaak_f64 v[26:27], 0, v[22:23], 0x3f48f92c4c6c651b
	;; [unrolled: 1-line block ×4, first 2 shown]
	v_add_f64_e64 v[12:13], v[12:13], -v[66:67]
	v_fmaak_f64 v[24:25], v[22:23], v[24:25], 0x3fb19fdd5948aa83
	v_fmaak_f64 v[26:27], v[22:23], v[26:27], 0x3fb2b948a3fec4b6
	;; [unrolled: 1-line block ×4, first 2 shown]
	s_delay_alu instid0(VALU_DEP_4) | instskip(NEXT) | instid1(VALU_DEP_4)
	v_fmaak_f64 v[24:25], v[22:23], v[24:25], 0x3ff1aea9b850eed6
	v_fmaak_f64 v[26:27], v[22:23], v[26:27], 0x3ff208fec21596d6
	s_delay_alu instid0(VALU_DEP_4) | instskip(NEXT) | instid1(VALU_DEP_4)
	v_fmaak_f64 v[30:31], v[22:23], v[30:31], 0x4052f4b99acf1c67
	v_fmaak_f64 v[32:33], v[22:23], v[32:33], 0x40b37a691bfdfe81
	;; [unrolled: 3-line block ×8, first 2 shown]
	s_delay_alu instid0(VALU_DEP_4) | instskip(NEXT) | instid1(VALU_DEP_4)
	v_fma_f64 v[24:25], v[22:23], v[24:25], 1.0
	v_fma_f64 v[26:27], v[22:23], v[26:27], 1.0
	s_delay_alu instid0(VALU_DEP_4) | instskip(NEXT) | instid1(VALU_DEP_4)
	v_fmaak_f64 v[30:31], v[22:23], v[30:31], 0x406a760a4c54bb0b
	v_fmaak_f64 v[32:33], v[22:23], v[32:33], 0x4075017f6ae75997
	s_delay_alu instid0(VALU_DEP_2) | instskip(NEXT) | instid1(VALU_DEP_1)
	v_fmaak_f64 v[22:23], v[22:23], v[30:31], 0x403934ff4d159eb5
	v_div_scale_f64 v[34:35], null, v[32:33], v[32:33], v[22:23]
	v_div_scale_f64 v[30:31], null, v[24:25], v[24:25], v[26:27]
	v_div_scale_f64 v[74:75], vcc_lo, v[26:27], v[24:25], v[26:27]
	s_delay_alu instid0(VALU_DEP_3) | instskip(NEXT) | instid1(VALU_DEP_2)
	v_rcp_f64_e32 v[38:39], v[34:35]
	v_rcp_f64_e32 v[36:37], v[30:31]
	s_delay_alu instid0(TRANS32_DEP_2) | instskip(NEXT) | instid1(TRANS32_DEP_1)
	v_fma_f64 v[46:47], -v[34:35], v[38:39], 1.0
	v_fma_f64 v[44:45], -v[30:31], v[36:37], 1.0
	s_delay_alu instid0(VALU_DEP_2) | instskip(SKIP_1) | instid1(VALU_DEP_3)
	v_fmac_f64_e32 v[38:39], v[38:39], v[46:47]
	v_mov_b64_e32 v[46:47], 0x3e21eeb69037ab78
	v_fmac_f64_e32 v[36:37], v[36:37], v[44:45]
	v_mov_b64_e32 v[44:45], 0x3ec71de3796cde01
	s_delay_alu instid0(VALU_DEP_1) | instskip(NEXT) | instid1(VALU_DEP_4)
	v_fmac_f64_e32 v[44:45], v[42:43], v[48:49]
	v_fmamk_f64 v[48:49], v[40:41], 0xbda907db46cc5e42, v[46:47]
	v_fmac_f64_e32 v[46:47], 0xbda907db46cc5e42, v[42:43]
	v_fma_f64 v[60:61], -v[34:35], v[38:39], 1.0
	s_delay_alu instid0(VALU_DEP_3) | instskip(NEXT) | instid1(VALU_DEP_1)
	v_fmaak_f64 v[48:49], v[40:41], v[48:49], 0xbe927e4fa17f65f6
	v_fmaak_f64 v[48:49], v[40:41], v[48:49], 0x3efa01a019f4ec90
	s_delay_alu instid0(VALU_DEP_1)
	v_fmaak_f64 v[48:49], v[40:41], v[48:49], 0xbf56c16c16c16967
	v_fma_f64 v[58:59], -v[30:31], v[36:37], 1.0
	v_fmac_f64_e32 v[62:63], v[42:43], v[44:45]
	v_fmac_f64_e32 v[64:65], v[42:43], v[46:47]
	v_rsq_f64_e32 v[46:47], v[8:9]
	v_fmac_f64_e32 v[38:39], v[38:39], v[60:61]
	v_mul_f64_e32 v[60:61], 0.5, v[18:19]
	v_fmac_f64_e32 v[36:37], v[36:37], v[58:59]
	v_div_scale_f64 v[58:59], s1, v[22:23], v[32:33], v[22:23]
	v_fmac_f64_e32 v[72:73], v[42:43], v[62:63]
	v_mov_b64_e32 v[62:63], 0x3efa01a019f4ec90
	s_delay_alu instid0(VALU_DEP_1) | instskip(NEXT) | instid1(TRANS32_DEP_1)
	v_fmac_f64_e32 v[62:63], v[42:43], v[64:65]
	v_mul_f64_e32 v[78:79], v[8:9], v[46:47]
	v_mul_f64_e32 v[52:53], v[74:75], v[36:37]
	;; [unrolled: 1-line block ×3, first 2 shown]
	s_delay_alu instid0(VALU_DEP_2) | instskip(NEXT) | instid1(VALU_DEP_2)
	v_fma_f64 v[30:31], -v[30:31], v[52:53], v[74:75]
	v_fma_f64 v[34:35], -v[34:35], v[70:71], v[58:59]
	s_delay_alu instid0(VALU_DEP_2) | instskip(SKIP_3) | instid1(VALU_DEP_4)
	v_div_fmas_f64 v[30:31], v[30:31], v[36:37], v[52:53]
	s_mov_b32 vcc_lo, s1
	v_cmp_class_f64_e64 s1, v[6:7], 0x1f8
	v_mul_f64_e64 v[76:77], v[16:17], -v[42:43]
	v_div_fmas_f64 v[34:35], v[34:35], v[38:39], v[70:71]
	v_cmp_eq_u32_e32 vcc_lo, 0, v29
	v_and_b32_e32 v6, 1, v28
	s_delay_alu instid0(VALU_DEP_1) | instskip(SKIP_3) | instid1(VALU_DEP_2)
	v_cmp_eq_u32_e64 s2, 0, v6
	v_fmac_f64_e32 v[60:61], v[76:77], v[72:73]
	v_mov_b64_e32 v[72:73], 0xbf56c16c16c16967
	v_div_fixup_f64 v[22:23], v[34:35], v[32:33], v[22:23]
	v_fmac_f64_e32 v[72:73], v[42:43], v[62:63]
	v_mul_f64_e32 v[62:63], v[40:41], v[40:41]
	v_fmaak_f64 v[40:41], v[40:41], v[48:49], 0x3fa5555555555555
	v_fma_f64 v[58:59], v[42:43], v[60:61], -v[18:19]
	v_mul_f64_e32 v[60:61], v[42:43], v[42:43]
	v_mul_f64_e32 v[20:21], v[20:21], v[22:23]
	v_div_fixup_f64 v[22:23], v[30:31], v[24:25], v[26:27]
	v_fmac_f64_e32 v[50:51], v[42:43], v[72:73]
	v_fmac_f64_e32 v[14:15], v[62:63], v[40:41]
	;; [unrolled: 1-line block ×3, first 2 shown]
	s_delay_alu instid0(VALU_DEP_2) | instskip(SKIP_1) | instid1(VALU_DEP_2)
	v_add_f64_e32 v[14:15], v[56:57], v[14:15]
	v_mul_f64_e32 v[54:55], 0.5, v[42:43]
	v_dual_mul_f64 v[46:47], 0.5, v[46:47] :: v_dual_cndmask_b32 v7, v15, v13, vcc_lo
	s_delay_alu instid0(VALU_DEP_3) | instskip(NEXT) | instid1(VALU_DEP_3)
	v_cndmask_b32_e32 v12, v14, v12, vcc_lo
	v_add_f64_e64 v[44:45], -v[54:55], 1.0
	v_cmp_class_f64_e64 vcc_lo, v[8:9], 0x260
	v_lshlrev_b32_e32 v14, 30, v28
	v_bitop3_b32 v1, v7, v1, 0x80000000 bitop3:0x78
	s_delay_alu instid0(VALU_DEP_1) | instskip(SKIP_2) | instid1(VALU_DEP_1)
	v_cndmask_b32_e64 v7, 0x7ff80000, v1, s1
	v_cndmask_b32_e64 v1, 0, 0xffffff80, s0
	v_add_f64_e64 v[64:65], -v[44:45], 1.0
	v_add_f64_e64 v[54:55], v[64:65], -v[54:55]
	v_fma_f64 v[64:65], -v[46:47], v[78:79], 0.5
	s_delay_alu instid0(VALU_DEP_2) | instskip(NEXT) | instid1(VALU_DEP_2)
	v_fma_f64 v[18:19], v[16:17], -v[18:19], v[54:55]
	v_fmac_f64_e32 v[78:79], v[78:79], v[64:65]
	v_fmac_f64_e32 v[46:47], v[46:47], v[64:65]
	v_add_f64_e64 v[16:17], v[16:17], -v[58:59]
	s_delay_alu instid0(VALU_DEP_4) | instskip(NEXT) | instid1(VALU_DEP_4)
	v_fmac_f64_e32 v[18:19], v[60:61], v[50:51]
	v_fma_f64 v[36:37], -v[78:79], v[78:79], v[8:9]
	s_delay_alu instid0(VALU_DEP_3) | instskip(NEXT) | instid1(VALU_DEP_3)
	v_xor_b32_e32 v6, 0x80000000, v17
	v_add_f64_e32 v[18:19], v[44:45], v[18:19]
	s_delay_alu instid0(VALU_DEP_3) | instskip(NEXT) | instid1(VALU_DEP_2)
	v_fmac_f64_e32 v[78:79], v[36:37], v[46:47]
	v_dual_cndmask_b32 v6, v6, v19, s2 :: v_dual_cndmask_b32 v18, v16, v18, s2
	s_delay_alu instid0(VALU_DEP_2) | instskip(NEXT) | instid1(VALU_DEP_2)
	v_fma_f64 v[16:17], -v[78:79], v[78:79], v[8:9]
	v_bitop3_b32 v14, v6, v14, 0x80000000 bitop3:0x78
	s_delay_alu instid0(VALU_DEP_3) | instskip(NEXT) | instid1(VALU_DEP_2)
	v_dual_cndmask_b32 v18, 0, v18, s1 :: v_dual_cndmask_b32 v6, 0, v12, s1
	v_cndmask_b32_e64 v19, 0x7ff80000, v14, s1
	s_delay_alu instid0(VALU_DEP_1) | instskip(SKIP_1) | instid1(VALU_DEP_2)
	v_mul_f64_e32 v[18:19], v[20:21], v[18:19]
	v_fmac_f64_e32 v[78:79], v[16:17], v[46:47]
	v_fmac_f64_e32 v[18:19], v[22:23], v[6:7]
	s_delay_alu instid0(VALU_DEP_2) | instskip(NEXT) | instid1(VALU_DEP_2)
	v_ldexp_f64 v[6:7], v[78:79], v1
	v_mul_f64_e32 v[12:13], 0x3fe9884533d43651, v[18:19]
	s_delay_alu instid0(VALU_DEP_2) | instskip(NEXT) | instid1(VALU_DEP_1)
	v_dual_cndmask_b32 v7, v7, v9 :: v_dual_cndmask_b32 v6, v6, v8
	v_div_scale_f64 v[8:9], null, v[6:7], v[6:7], v[12:13]
	s_delay_alu instid0(VALU_DEP_1) | instskip(SKIP_1) | instid1(TRANS32_DEP_1)
	v_rcp_f64_e32 v[14:15], v[8:9]
	v_nop
	v_fma_f64 v[16:17], -v[8:9], v[14:15], 1.0
	s_delay_alu instid0(VALU_DEP_1) | instskip(NEXT) | instid1(VALU_DEP_1)
	v_fmac_f64_e32 v[14:15], v[14:15], v[16:17]
	v_fma_f64 v[16:17], -v[8:9], v[14:15], 1.0
	s_delay_alu instid0(VALU_DEP_1) | instskip(SKIP_1) | instid1(VALU_DEP_1)
	v_fmac_f64_e32 v[14:15], v[14:15], v[16:17]
	v_div_scale_f64 v[16:17], vcc_lo, v[12:13], v[6:7], v[12:13]
	v_mul_f64_e32 v[18:19], v[16:17], v[14:15]
	s_delay_alu instid0(VALU_DEP_1) | instskip(NEXT) | instid1(VALU_DEP_1)
	v_fma_f64 v[8:9], -v[8:9], v[18:19], v[16:17]
	v_div_fmas_f64 v[8:9], v[8:9], v[14:15], v[18:19]
	s_delay_alu instid0(VALU_DEP_1)
	v_div_fixup_f64 v[6:7], v[8:9], v[6:7], v[12:13]
.LBB5_19:
	s_or_b32 exec_lo, exec_lo, s10
	s_delay_alu instid0(SALU_CYCLE_1)
	s_mov_b32 s0, exec_lo
	v_cmpx_ge_f64_e32 0x40140000, v[10:11]
	s_xor_b32 s1, exec_lo, s0
	s_cbranch_execz .LBB5_25
; %bb.20:
	v_mov_b64_e32 v[8:9], 0xfff0000000000000
	s_mov_b32 s2, exec_lo
	v_cmpx_neq_f64_e32 0, v[10:11]
	s_cbranch_execz .LBB5_24
; %bb.21:
	v_mov_b64_e32 v[8:9], 0x7ff8000000000000
	s_mov_b32 s10, exec_lo
	v_cmpx_nge_f64_e32 0, v[10:11]
	s_cbranch_execz .LBB5_23
; %bb.22:
	v_frexp_mant_f64_e32 v[8:9], v[10:11]
	s_mov_b64 s[12:13], 0x3fe5555555555555
	s_delay_alu instid0(VALU_DEP_1) | instid1(SALU_CYCLE_1)
	v_cmp_gt_f64_e32 vcc_lo, s[12:13], v[8:9]
	s_mov_b64 s[12:13], 0x3fc3ab76bf559e2b
	v_cndmask_b32_e64 v1, 0, 1, vcc_lo
	s_delay_alu instid0(VALU_DEP_1) | instskip(SKIP_1) | instid1(VALU_DEP_2)
	v_ldexp_f64 v[8:9], v[8:9], v1
	v_frexp_exp_i32_f64_e32 v1, v[10:11]
	v_add_f64_e32 v[12:13], 1.0, v[8:9]
	v_add_f64_e32 v[18:19], -1.0, v[8:9]
	s_delay_alu instid0(VALU_DEP_3) | instskip(NEXT) | instid1(VALU_DEP_3)
	v_subrev_co_ci_u32_e64 v1, null, 0, v1, vcc_lo
	v_rcp_f64_e32 v[14:15], v[12:13]
	v_add_f64_e32 v[20:21], -1.0, v[12:13]
	s_delay_alu instid0(VALU_DEP_1) | instskip(NEXT) | instid1(TRANS32_DEP_1)
	v_add_f64_e64 v[8:9], v[8:9], -v[20:21]
	v_fma_f64 v[16:17], -v[12:13], v[14:15], 1.0
	s_delay_alu instid0(VALU_DEP_1) | instskip(NEXT) | instid1(VALU_DEP_1)
	v_fmac_f64_e32 v[14:15], v[16:17], v[14:15]
	v_fma_f64 v[16:17], -v[12:13], v[14:15], 1.0
	s_delay_alu instid0(VALU_DEP_1) | instskip(NEXT) | instid1(VALU_DEP_1)
	v_fmac_f64_e32 v[14:15], v[16:17], v[14:15]
	v_mul_f64_e32 v[16:17], v[18:19], v[14:15]
	s_delay_alu instid0(VALU_DEP_1) | instskip(NEXT) | instid1(VALU_DEP_1)
	v_mul_f64_e32 v[22:23], v[12:13], v[16:17]
	v_fma_f64 v[12:13], v[16:17], v[12:13], -v[22:23]
	s_delay_alu instid0(VALU_DEP_1) | instskip(NEXT) | instid1(VALU_DEP_1)
	v_fmac_f64_e32 v[12:13], v[16:17], v[8:9]
	v_add_f64_e32 v[8:9], v[22:23], v[12:13]
	s_delay_alu instid0(VALU_DEP_1) | instskip(SKIP_1) | instid1(VALU_DEP_2)
	v_add_f64_e64 v[20:21], v[18:19], -v[8:9]
	v_add_f64_e64 v[22:23], v[8:9], -v[22:23]
	;; [unrolled: 1-line block ×3, first 2 shown]
	s_delay_alu instid0(VALU_DEP_2) | instskip(SKIP_1) | instid1(VALU_DEP_3)
	v_add_f64_e64 v[12:13], v[22:23], -v[12:13]
	v_cvt_f64_i32_e32 v[22:23], v1
	v_add_f64_e64 v[8:9], v[18:19], -v[8:9]
	s_delay_alu instid0(VALU_DEP_2) | instskip(NEXT) | instid1(VALU_DEP_2)
	v_mul_f64_e32 v[28:29], 0x3fe62e42fefa39ef, v[22:23]
	v_add_f64_e32 v[8:9], v[12:13], v[8:9]
	s_delay_alu instid0(VALU_DEP_1) | instskip(NEXT) | instid1(VALU_DEP_1)
	v_add_f64_e32 v[8:9], v[20:21], v[8:9]
	v_mul_f64_e32 v[8:9], v[14:15], v[8:9]
	s_delay_alu instid0(VALU_DEP_1) | instskip(NEXT) | instid1(VALU_DEP_1)
	v_add_f64_e32 v[12:13], v[16:17], v[8:9]
	v_mul_f64_e32 v[14:15], v[12:13], v[12:13]
	s_delay_alu instid0(VALU_DEP_1) | instskip(SKIP_2) | instid1(SALU_CYCLE_1)
	v_fmaak_f64 v[18:19], s[12:13], v[14:15], 0x3fc385386b47b09a
	v_mul_f64_e32 v[20:21], v[12:13], v[14:15]
	s_mov_b64 s[12:13], 0x3fe62e42fefa39ef
	v_fma_f64 v[32:33], v[22:23], s[12:13], -v[28:29]
	s_delay_alu instid0(VALU_DEP_3) | instskip(NEXT) | instid1(VALU_DEP_1)
	v_fmaak_f64 v[18:19], v[14:15], v[18:19], 0x3fc7474dd7f4df2e
	v_fmaak_f64 v[18:19], v[14:15], v[18:19], 0x3fcc71c016291751
	s_delay_alu instid0(VALU_DEP_1) | instskip(NEXT) | instid1(VALU_DEP_1)
	v_fmaak_f64 v[18:19], v[14:15], v[18:19], 0x3fd249249b27acf1
	v_fmaak_f64 v[18:19], v[14:15], v[18:19], 0x3fd99999998ef7b6
	s_delay_alu instid0(VALU_DEP_1) | instskip(SKIP_3) | instid1(VALU_DEP_4)
	v_fmaak_f64 v[14:15], v[14:15], v[18:19], 0x3fe5555555555780
	v_ldexp_f64 v[18:19], v[12:13], 1
	v_add_f64_e64 v[12:13], v[12:13], -v[16:17]
	v_fmamk_f64 v[22:23], v[22:23], 0x3c7abc9e3b39803f, v[32:33]
	v_mul_f64_e32 v[14:15], v[20:21], v[14:15]
	v_mul_f64_e32 v[20:21], v[10:11], v[10:11]
	s_delay_alu instid0(VALU_DEP_3) | instskip(SKIP_1) | instid1(VALU_DEP_4)
	v_add_f64_e32 v[32:33], v[28:29], v[22:23]
	v_add_f64_e64 v[8:9], v[8:9], -v[12:13]
	v_add_f64_e32 v[16:17], v[18:19], v[14:15]
	s_delay_alu instid0(VALU_DEP_4)
	v_fmaak_f64 v[24:25], 0, v[20:21], 0x40829269a93f7ac2
	v_fmaak_f64 v[26:27], 0, v[20:21], 0x408366b11b7086e7
	;; [unrolled: 1-line block ×3, first 2 shown]
	v_add_f64_e64 v[28:29], v[32:33], -v[28:29]
	v_ldexp_f64 v[8:9], v[8:9], 1
	v_add_f64_e64 v[12:13], v[16:17], -v[18:19]
	v_fmaak_f64 v[18:19], v[20:21], v[24:25], 0x410cc160be58ef7f
	v_fmaak_f64 v[24:25], v[20:21], v[26:27], 0x410f5eda0dd701b2
	;; [unrolled: 1-line block ×3, first 2 shown]
	v_add_f64_e64 v[22:23], v[22:23], -v[28:29]
	s_delay_alu instid0(VALU_DEP_4) | instskip(NEXT) | instid1(VALU_DEP_4)
	v_fmaak_f64 v[18:19], v[20:21], v[18:19], 0x419184efa9c8acee
	v_fmaak_f64 v[24:25], v[20:21], v[24:25], 0x4193e954dc92a1b1
	s_delay_alu instid0(VALU_DEP_4) | instskip(NEXT) | instid1(VALU_DEP_3)
	v_fmaak_f64 v[26:27], v[20:21], v[26:27], 0xc262d72d58836521
	v_fmaak_f64 v[18:19], v[20:21], v[18:19], 0x421178c3906b7b83
	s_delay_alu instid0(VALU_DEP_3) | instskip(NEXT) | instid1(VALU_DEP_3)
	v_fmaak_f64 v[24:25], v[20:21], v[24:25], 0x4214a13f7befeac1
	v_fmaak_f64 v[26:27], v[20:21], v[26:27], 0x42da0954b0910fef
	s_delay_alu instid0(VALU_DEP_3) | instskip(NEXT) | instid1(VALU_DEP_3)
	;; [unrolled: 3-line block ×4, first 2 shown]
	v_fmaak_f64 v[24:25], v[20:21], v[24:25], 0x43064b0a3eccf45f
	v_fmaak_f64 v[26:27], v[20:21], v[26:27], 0x438679ad0b7366b1
	v_add_f64_e64 v[12:13], v[14:15], -v[12:13]
	v_fmaak_f64 v[14:15], v[20:21], v[30:31], 0x425a52ba0d438c6b
	v_fmaak_f64 v[18:19], v[20:21], v[18:19], 0x436e83e3c547a488
	;; [unrolled: 1-line block ×4, first 2 shown]
	s_delay_alu instid0(VALU_DEP_4) | instskip(NEXT) | instid1(VALU_DEP_4)
	v_fmaak_f64 v[14:15], v[20:21], v[14:15], 0xc2d08a92e6ccf175
	v_fmaak_f64 v[18:19], v[20:21], v[18:19], 0x43cb90f190f6747f
	s_delay_alu instid0(VALU_DEP_2) | instskip(SKIP_1) | instid1(VALU_DEP_3)
	v_fmaak_f64 v[14:15], v[20:21], v[14:15], 0x432a2b42a697c482
	v_fmaak_f64 v[20:21], v[20:21], v[24:25], 0x43d2779576702939
	v_div_scale_f64 v[24:25], null, v[18:19], v[18:19], v[26:27]
	v_div_scale_f64 v[52:53], vcc_lo, v[26:27], v[18:19], v[26:27]
	s_delay_alu instid0(VALU_DEP_3) | instskip(SKIP_1) | instid1(VALU_DEP_4)
	v_div_scale_f64 v[30:31], null, v[20:21], v[20:21], v[14:15]
	v_add_f64_e32 v[8:9], v[8:9], v[12:13]
	v_rcp_f64_e32 v[12:13], v[24:25]
	s_delay_alu instid0(VALU_DEP_2) | instskip(NEXT) | instid1(VALU_DEP_1)
	v_rcp_f64_e32 v[34:35], v[30:31]
	v_add_f64_e32 v[36:37], v[16:17], v[8:9]
	s_delay_alu instid0(TRANS32_DEP_2) | instskip(NEXT) | instid1(TRANS32_DEP_1)
	v_fma_f64 v[38:39], -v[24:25], v[12:13], 1.0
	v_fma_f64 v[40:41], -v[30:31], v[34:35], 1.0
	s_delay_alu instid0(VALU_DEP_3) | instskip(SKIP_1) | instid1(VALU_DEP_4)
	v_add_f64_e32 v[42:43], v[32:33], v[36:37]
	v_add_f64_e64 v[16:17], v[36:37], -v[16:17]
	v_fmac_f64_e32 v[12:13], v[12:13], v[38:39]
	v_div_scale_f64 v[38:39], null, v[10:11], v[10:11], -1.0
	v_fmac_f64_e32 v[34:35], v[34:35], v[40:41]
	v_add_f64_e64 v[40:41], v[42:43], -v[32:33]
	v_add_f64_e64 v[8:9], v[8:9], -v[16:17]
	v_fma_f64 v[44:45], -v[24:25], v[12:13], 1.0
	v_rcp_f64_e32 v[46:47], v[38:39]
	s_delay_alu instid0(VALU_DEP_4) | instskip(NEXT) | instid1(VALU_DEP_4)
	v_fma_f64 v[48:49], -v[30:31], v[34:35], 1.0
	v_add_f64_e64 v[50:51], v[42:43], -v[40:41]
	v_add_f64_e64 v[16:17], v[36:37], -v[40:41]
	s_delay_alu instid0(VALU_DEP_4) | instskip(SKIP_4) | instid1(TRANS32_DEP_1)
	v_fmac_f64_e32 v[12:13], v[12:13], v[44:45]
	v_div_scale_f64 v[44:45], s0, v[14:15], v[20:21], v[14:15]
	v_fmac_f64_e32 v[34:35], v[34:35], v[48:49]
	v_add_f64_e32 v[48:49], v[22:23], v[8:9]
	v_add_f64_e64 v[28:29], v[32:33], -v[50:51]
	v_fma_f64 v[32:33], -v[38:39], v[46:47], 1.0
	v_mul_f64_e32 v[36:37], v[52:53], v[12:13]
	v_mul_f64_e32 v[40:41], v[44:45], v[34:35]
	s_delay_alu instid0(VALU_DEP_4) | instskip(NEXT) | instid1(VALU_DEP_4)
	v_add_f64_e32 v[16:17], v[16:17], v[28:29]
	v_fmac_f64_e32 v[46:47], v[46:47], v[32:33]
	s_delay_alu instid0(VALU_DEP_4) | instskip(NEXT) | instid1(VALU_DEP_4)
	v_fma_f64 v[24:25], -v[24:25], v[36:37], v[52:53]
	v_fma_f64 v[28:29], -v[30:31], v[40:41], v[44:45]
	v_add_f64_e64 v[30:31], v[48:49], -v[22:23]
	v_add_f64_e32 v[16:17], v[48:49], v[16:17]
	v_fma_f64 v[32:33], -v[38:39], v[46:47], 1.0
	v_div_fmas_f64 v[12:13], v[24:25], v[12:13], v[36:37]
	s_mov_b32 vcc_lo, s0
	v_div_fmas_f64 v[24:25], v[28:29], v[34:35], v[40:41]
	v_add_f64_e64 v[28:29], v[48:49], -v[30:31]
	v_div_scale_f64 v[36:37], vcc_lo, -1.0, v[10:11], -1.0
	v_add_f64_e32 v[34:35], v[42:43], v[16:17]
	v_fmac_f64_e32 v[46:47], v[46:47], v[32:33]
	v_add_f64_e64 v[8:9], v[8:9], -v[30:31]
	v_div_fixup_f64 v[12:13], v[12:13], v[18:19], v[26:27]
	v_div_fixup_f64 v[14:15], v[24:25], v[20:21], v[14:15]
	v_add_f64_e64 v[20:21], v[22:23], -v[28:29]
	v_add_f64_e64 v[22:23], v[34:35], -v[42:43]
	v_mul_f64_e32 v[24:25], v[36:37], v[46:47]
	s_delay_alu instid0(VALU_DEP_4) | instskip(NEXT) | instid1(VALU_DEP_4)
	v_mul_f64_e32 v[14:15], v[10:11], v[14:15]
	v_add_f64_e32 v[8:9], v[8:9], v[20:21]
	s_delay_alu instid0(VALU_DEP_4) | instskip(NEXT) | instid1(VALU_DEP_4)
	v_add_f64_e64 v[16:17], v[16:17], -v[22:23]
	v_fma_f64 v[20:21], -v[38:39], v[24:25], v[36:37]
	v_fmaak_f64 v[22:23], v[10:11], v[10:11], 0xc02d5d2b4189822c
	s_delay_alu instid0(VALU_DEP_1) | instskip(NEXT) | instid1(VALU_DEP_4)
	v_mul_f64_e32 v[14:15], v[22:23], v[14:15]
	v_add_f64_e32 v[8:9], v[8:9], v[16:17]
	s_delay_alu instid0(VALU_DEP_4) | instskip(SKIP_1) | instid1(VALU_DEP_1)
	v_div_fmas_f64 v[16:17], v[20:21], v[46:47], v[24:25]
	v_fmaak_f64 v[20:21], v[10:11], v[10:11], 0xc0489bf66072a432
	v_mul_f64_e32 v[14:15], v[20:21], v[14:15]
	s_delay_alu instid0(VALU_DEP_4) | instskip(NEXT) | instid1(VALU_DEP_4)
	v_add_f64_e32 v[8:9], v[34:35], v[8:9]
	v_div_fixup_f64 v[16:17], v[16:17], v[10:11], -1.0
	s_delay_alu instid0(VALU_DEP_1) | instskip(NEXT) | instid1(VALU_DEP_1)
	v_fmac_f64_e32 v[16:17], v[14:15], v[8:9]
	v_mul_f64_e32 v[8:9], 0x3fe45f306dc9c883, v[16:17]
	s_delay_alu instid0(VALU_DEP_1)
	v_fmac_f64_e32 v[8:9], v[10:11], v[12:13]
.LBB5_23:
	s_or_b32 exec_lo, exec_lo, s10
.LBB5_24:
	s_delay_alu instid0(SALU_CYCLE_1)
	s_or_b32 exec_lo, exec_lo, s2
                                        ; implicit-def: $vgpr10_vgpr11
.LBB5_25:
	s_and_not1_saveexec_b32 s2, s1
	s_cbranch_execz .LBB5_35
; %bb.26:
	v_add_f64_e32 v[8:9], 0xc002d97c7f3321d2, v[10:11]
                                        ; implicit-def: $vgpr1
                                        ; implicit-def: $vgpr12_vgpr13
                                        ; implicit-def: $vgpr14_vgpr15
	s_delay_alu instid0(VALU_DEP_1)
	v_cmp_ngt_f64_e64 s0, 0x41d00000, |v[8:9]|
	v_trig_preop_f64 v[24:25], |v[8:9]|, 0
	v_trig_preop_f64 v[22:23], |v[8:9]|, 1
	v_ldexp_f64 v[26:27], |v[8:9]|, 0xffffff80
	v_trig_preop_f64 v[20:21], |v[8:9]|, 2
	v_and_b32_e32 v29, 0x7fffffff, v9
	s_and_saveexec_b32 s1, s0
	s_delay_alu instid0(SALU_CYCLE_1)
	s_xor_b32 s1, exec_lo, s1
	s_cbranch_execz .LBB5_28
; %bb.27:
	v_cmp_le_f64_e64 vcc_lo, 0x7b000000, |v[8:9]|
	s_mov_b64 s[10:11], 0x3ff921fb54442d18
	v_dual_mov_b32 v42, 0 :: v_dual_cndmask_b32 v13, v29, v27
	v_cndmask_b32_e32 v12, v8, v26, vcc_lo
	s_delay_alu instid0(VALU_DEP_1) | instskip(SKIP_2) | instid1(VALU_DEP_3)
	v_mul_f64_e32 v[14:15], v[24:25], v[12:13]
	v_mul_f64_e32 v[16:17], v[22:23], v[12:13]
	;; [unrolled: 1-line block ×3, first 2 shown]
	v_fma_f64 v[18:19], v[24:25], v[12:13], -v[14:15]
	s_delay_alu instid0(VALU_DEP_3) | instskip(NEXT) | instid1(VALU_DEP_3)
	v_fma_f64 v[40:41], v[22:23], v[12:13], -v[16:17]
	v_fma_f64 v[12:13], v[20:21], v[12:13], -v[38:39]
	s_delay_alu instid0(VALU_DEP_3) | instskip(NEXT) | instid1(VALU_DEP_1)
	v_add_f64_e32 v[30:31], v[16:17], v[18:19]
	v_add_f64_e64 v[32:33], v[30:31], -v[16:17]
	v_add_f64_e32 v[36:37], v[14:15], v[30:31]
	s_delay_alu instid0(VALU_DEP_2) | instskip(SKIP_1) | instid1(VALU_DEP_3)
	v_add_f64_e64 v[34:35], v[30:31], -v[32:33]
	v_add_f64_e64 v[18:19], v[18:19], -v[32:33]
	v_ldexp_f64 v[32:33], v[36:37], -2
	s_delay_alu instid0(VALU_DEP_3) | instskip(SKIP_1) | instid1(VALU_DEP_3)
	v_add_f64_e64 v[16:17], v[16:17], -v[34:35]
	v_add_f64_e32 v[34:35], v[38:39], v[40:41]
	v_cmp_neq_f64_e64 vcc_lo, 0x7ff00000, |v[32:33]|
	s_delay_alu instid0(VALU_DEP_3) | instskip(SKIP_1) | instid1(VALU_DEP_1)
	v_add_f64_e32 v[16:17], v[18:19], v[16:17]
	v_fract_f64_e32 v[18:19], v[32:33]
	v_ldexp_f64 v[18:19], v[18:19], 2
	s_delay_alu instid0(VALU_DEP_1) | instskip(SKIP_1) | instid1(VALU_DEP_3)
	v_cndmask_b32_e32 v19, 0, v19, vcc_lo
	v_add_f64_e64 v[14:15], v[36:37], -v[14:15]
	v_cndmask_b32_e32 v18, 0, v18, vcc_lo
	s_delay_alu instid0(VALU_DEP_2) | instskip(SKIP_1) | instid1(VALU_DEP_1)
	v_add_f64_e64 v[14:15], v[30:31], -v[14:15]
	v_add_f64_e32 v[30:31], v[34:35], v[16:17]
	v_add_f64_e32 v[32:33], v[14:15], v[30:31]
	v_add_f64_e64 v[44:45], v[30:31], -v[34:35]
	s_delay_alu instid0(VALU_DEP_2) | instskip(NEXT) | instid1(VALU_DEP_2)
	v_add_f64_e32 v[36:37], v[32:33], v[18:19]
	v_add_f64_e64 v[50:51], v[30:31], -v[44:45]
	v_add_f64_e64 v[16:17], v[16:17], -v[44:45]
	;; [unrolled: 1-line block ×3, first 2 shown]
	s_delay_alu instid0(VALU_DEP_4) | instskip(SKIP_1) | instid1(VALU_DEP_3)
	v_cmp_gt_f64_e32 vcc_lo, 0, v[36:37]
	v_add_f64_e64 v[36:37], v[34:35], -v[38:39]
	v_add_f64_e64 v[14:15], v[30:31], -v[14:15]
	v_cndmask_b32_e64 v43, 0, 0x40100000, vcc_lo
	s_delay_alu instid0(VALU_DEP_3) | instskip(SKIP_2) | instid1(VALU_DEP_4)
	v_add_f64_e64 v[48:49], v[34:35], -v[36:37]
	v_add_f64_e64 v[36:37], v[40:41], -v[36:37]
	;; [unrolled: 1-line block ×3, first 2 shown]
	v_add_f64_e32 v[18:19], v[18:19], v[42:43]
	s_delay_alu instid0(VALU_DEP_4) | instskip(NEXT) | instid1(VALU_DEP_3)
	v_add_f64_e64 v[40:41], v[38:39], -v[48:49]
	v_add_f64_e32 v[16:17], v[16:17], v[34:35]
	s_delay_alu instid0(VALU_DEP_3) | instskip(NEXT) | instid1(VALU_DEP_3)
	v_add_f64_e32 v[46:47], v[32:33], v[18:19]
	v_add_f64_e32 v[36:37], v[36:37], v[40:41]
	s_delay_alu instid0(VALU_DEP_2) | instskip(NEXT) | instid1(VALU_DEP_2)
	v_cvt_i32_f64_e32 v1, v[46:47]
	v_add_f64_e32 v[16:17], v[36:37], v[16:17]
	s_delay_alu instid0(VALU_DEP_2) | instskip(NEXT) | instid1(VALU_DEP_2)
	v_cvt_f64_i32_e32 v[44:45], v1
	v_add_f64_e32 v[12:13], v[12:13], v[16:17]
	s_delay_alu instid0(VALU_DEP_2) | instskip(NEXT) | instid1(VALU_DEP_2)
	v_add_f64_e64 v[18:19], v[18:19], -v[44:45]
	v_add_f64_e32 v[12:13], v[14:15], v[12:13]
	s_delay_alu instid0(VALU_DEP_2) | instskip(NEXT) | instid1(VALU_DEP_1)
	v_add_f64_e32 v[34:35], v[32:33], v[18:19]
	v_add_f64_e64 v[16:17], v[34:35], -v[18:19]
	v_cmp_le_f64_e32 vcc_lo, 0.5, v[34:35]
	s_delay_alu instid0(VALU_DEP_2) | instskip(SKIP_2) | instid1(VALU_DEP_3)
	v_add_f64_e64 v[14:15], v[32:33], -v[16:17]
	v_cndmask_b32_e64 v43, 0, 0x3ff00000, vcc_lo
	v_add_co_ci_u32_e64 v1, null, 0, v1, vcc_lo
	v_add_f64_e32 v[12:13], v[12:13], v[14:15]
	s_delay_alu instid0(VALU_DEP_3) | instskip(NEXT) | instid1(VALU_DEP_1)
	v_add_f64_e64 v[14:15], v[34:35], -v[42:43]
	v_add_f64_e32 v[16:17], v[14:15], v[12:13]
	s_delay_alu instid0(VALU_DEP_1) | instskip(SKIP_1) | instid1(VALU_DEP_2)
	v_mul_f64_e32 v[18:19], 0x3ff921fb54442d18, v[16:17]
	v_add_f64_e64 v[14:15], v[16:17], -v[14:15]
	v_fma_f64 v[30:31], v[16:17], s[10:11], -v[18:19]
	s_delay_alu instid0(VALU_DEP_2) | instskip(NEXT) | instid1(VALU_DEP_2)
	v_add_f64_e64 v[12:13], v[12:13], -v[14:15]
	v_fmamk_f64 v[14:15], v[16:17], 0x3c91a62633145c07, v[30:31]
	s_delay_alu instid0(VALU_DEP_1) | instskip(NEXT) | instid1(VALU_DEP_1)
	v_fmac_f64_e32 v[14:15], 0x3ff921fb54442d18, v[12:13]
	v_add_f64_e32 v[12:13], v[18:19], v[14:15]
	s_delay_alu instid0(VALU_DEP_1) | instskip(NEXT) | instid1(VALU_DEP_1)
	v_add_f64_e64 v[16:17], v[12:13], -v[18:19]
	v_add_f64_e64 v[14:15], v[14:15], -v[16:17]
	s_and_not1_saveexec_b32 s1, s1
	s_cbranch_execz .LBB5_30
	s_branch .LBB5_29
.LBB5_28:
	s_and_not1_saveexec_b32 s1, s1
	s_cbranch_execz .LBB5_30
.LBB5_29:
	s_mov_b64 s[10:11], 0x3fe45f306dc9c883
	s_delay_alu instid0(SALU_CYCLE_1) | instskip(SKIP_1) | instid1(VALU_DEP_1)
	v_mul_f64_e64 v[12:13], |v[8:9]|, s[10:11]
	s_mov_b64 s[10:11], 0xbff921fb54442d18
	v_rndne_f64_e32 v[16:17], v[12:13]
	s_delay_alu instid0(VALU_DEP_1) | instskip(SKIP_2) | instid1(VALU_DEP_3)
	v_fma_f64 v[12:13], v[16:17], s[10:11], |v[8:9]|
	v_mul_f64_e32 v[14:15], 0xbc91a62633145c00, v[16:17]
	v_cvt_i32_f64_e32 v1, v[16:17]
	v_fmamk_f64 v[32:33], v[16:17], 0xbc91a62633145c00, v[12:13]
	s_delay_alu instid0(VALU_DEP_3) | instskip(NEXT) | instid1(VALU_DEP_1)
	v_add_f64_e32 v[18:19], v[12:13], v[14:15]
	v_add_f64_e64 v[30:31], v[12:13], -v[18:19]
	s_delay_alu instid0(VALU_DEP_3) | instskip(NEXT) | instid1(VALU_DEP_2)
	v_add_f64_e64 v[12:13], v[18:19], -v[32:33]
	v_add_f64_e32 v[18:19], v[30:31], v[14:15]
	v_fmamk_f64 v[14:15], v[16:17], 0x3c91a62633145c00, v[14:15]
	s_delay_alu instid0(VALU_DEP_2) | instskip(NEXT) | instid1(VALU_DEP_1)
	v_add_f64_e32 v[12:13], v[12:13], v[18:19]
	v_add_f64_e64 v[12:13], v[12:13], -v[14:15]
	s_delay_alu instid0(VALU_DEP_1) | instskip(NEXT) | instid1(VALU_DEP_1)
	v_fmamk_f64 v[14:15], v[16:17], 0xb97b839a252049c0, v[12:13]
	v_add_f64_e32 v[12:13], v[32:33], v[14:15]
	s_delay_alu instid0(VALU_DEP_1) | instskip(NEXT) | instid1(VALU_DEP_1)
	v_add_f64_e64 v[18:19], v[12:13], -v[32:33]
	v_add_f64_e64 v[14:15], v[14:15], -v[18:19]
.LBB5_30:
	s_or_b32 exec_lo, exec_lo, s1
                                        ; implicit-def: $vgpr28
                                        ; implicit-def: $vgpr16_vgpr17
                                        ; implicit-def: $vgpr18_vgpr19
	s_and_saveexec_b32 s1, s0
	s_delay_alu instid0(SALU_CYCLE_1)
	s_xor_b32 s0, exec_lo, s1
	s_cbranch_execz .LBB5_32
; %bb.31:
	v_cmp_le_f64_e64 vcc_lo, 0x7b000000, |v[8:9]|
	s_mov_b64 s[10:11], 0x3ff921fb54442d18
	v_dual_mov_b32 v38, 0 :: v_dual_cndmask_b32 v17, v29, v27
	v_cndmask_b32_e32 v16, v8, v26, vcc_lo
	s_delay_alu instid0(VALU_DEP_1) | instskip(SKIP_2) | instid1(VALU_DEP_3)
	v_mul_f64_e32 v[18:19], v[24:25], v[16:17]
	v_mul_f64_e32 v[26:27], v[22:23], v[16:17]
	;; [unrolled: 1-line block ×3, first 2 shown]
	v_fma_f64 v[24:25], v[24:25], v[16:17], -v[18:19]
	s_delay_alu instid0(VALU_DEP_3) | instskip(NEXT) | instid1(VALU_DEP_3)
	v_fma_f64 v[22:23], v[22:23], v[16:17], -v[26:27]
	v_fma_f64 v[16:17], v[20:21], v[16:17], -v[36:37]
	s_delay_alu instid0(VALU_DEP_3) | instskip(NEXT) | instid1(VALU_DEP_1)
	v_add_f64_e32 v[28:29], v[26:27], v[24:25]
	v_add_f64_e64 v[30:31], v[28:29], -v[26:27]
	v_add_f64_e32 v[34:35], v[18:19], v[28:29]
	s_delay_alu instid0(VALU_DEP_2) | instskip(SKIP_1) | instid1(VALU_DEP_3)
	v_add_f64_e64 v[32:33], v[28:29], -v[30:31]
	v_add_f64_e64 v[24:25], v[24:25], -v[30:31]
	v_ldexp_f64 v[30:31], v[34:35], -2
	s_delay_alu instid0(VALU_DEP_3) | instskip(SKIP_1) | instid1(VALU_DEP_3)
	v_add_f64_e64 v[26:27], v[26:27], -v[32:33]
	v_add_f64_e32 v[32:33], v[36:37], v[22:23]
	v_cmp_neq_f64_e64 vcc_lo, 0x7ff00000, |v[30:31]|
	s_delay_alu instid0(VALU_DEP_3) | instskip(SKIP_1) | instid1(VALU_DEP_1)
	v_add_f64_e32 v[24:25], v[24:25], v[26:27]
	v_fract_f64_e32 v[26:27], v[30:31]
	v_ldexp_f64 v[26:27], v[26:27], 2
	s_delay_alu instid0(VALU_DEP_1) | instskip(SKIP_1) | instid1(VALU_DEP_3)
	v_cndmask_b32_e32 v27, 0, v27, vcc_lo
	v_add_f64_e64 v[18:19], v[34:35], -v[18:19]
	v_cndmask_b32_e32 v26, 0, v26, vcc_lo
	s_delay_alu instid0(VALU_DEP_2) | instskip(SKIP_1) | instid1(VALU_DEP_1)
	v_add_f64_e64 v[18:19], v[28:29], -v[18:19]
	v_add_f64_e32 v[28:29], v[32:33], v[24:25]
	v_add_f64_e32 v[30:31], v[18:19], v[28:29]
	v_add_f64_e64 v[40:41], v[28:29], -v[32:33]
	s_delay_alu instid0(VALU_DEP_2) | instskip(NEXT) | instid1(VALU_DEP_2)
	v_add_f64_e32 v[34:35], v[30:31], v[26:27]
	v_add_f64_e64 v[46:47], v[28:29], -v[40:41]
	v_add_f64_e64 v[24:25], v[24:25], -v[40:41]
	;; [unrolled: 1-line block ×3, first 2 shown]
	s_delay_alu instid0(VALU_DEP_4) | instskip(SKIP_1) | instid1(VALU_DEP_3)
	v_cmp_gt_f64_e32 vcc_lo, 0, v[34:35]
	v_add_f64_e64 v[34:35], v[32:33], -v[36:37]
	v_add_f64_e64 v[18:19], v[28:29], -v[18:19]
	v_cndmask_b32_e64 v39, 0, 0x40100000, vcc_lo
	s_delay_alu instid0(VALU_DEP_3) | instskip(SKIP_2) | instid1(VALU_DEP_4)
	v_add_f64_e64 v[44:45], v[32:33], -v[34:35]
	v_add_f64_e64 v[22:23], v[22:23], -v[34:35]
	v_add_f64_e64 v[32:33], v[32:33], -v[46:47]
	v_add_f64_e32 v[26:27], v[26:27], v[38:39]
	s_delay_alu instid0(VALU_DEP_4) | instskip(NEXT) | instid1(VALU_DEP_3)
	v_add_f64_e64 v[34:35], v[36:37], -v[44:45]
	v_add_f64_e32 v[24:25], v[24:25], v[32:33]
	s_delay_alu instid0(VALU_DEP_3) | instskip(NEXT) | instid1(VALU_DEP_3)
	v_add_f64_e32 v[42:43], v[30:31], v[26:27]
	v_add_f64_e32 v[22:23], v[22:23], v[34:35]
	s_delay_alu instid0(VALU_DEP_2) | instskip(NEXT) | instid1(VALU_DEP_2)
	v_cvt_i32_f64_e32 v39, v[42:43]
	v_add_f64_e32 v[20:21], v[22:23], v[24:25]
	s_delay_alu instid0(VALU_DEP_2) | instskip(NEXT) | instid1(VALU_DEP_2)
	v_cvt_f64_i32_e32 v[40:41], v39
	v_add_f64_e32 v[16:17], v[16:17], v[20:21]
	s_delay_alu instid0(VALU_DEP_2) | instskip(NEXT) | instid1(VALU_DEP_2)
	v_add_f64_e64 v[26:27], v[26:27], -v[40:41]
	v_add_f64_e32 v[16:17], v[18:19], v[16:17]
	s_delay_alu instid0(VALU_DEP_2) | instskip(NEXT) | instid1(VALU_DEP_1)
	v_add_f64_e32 v[22:23], v[30:31], v[26:27]
	v_add_f64_e64 v[20:21], v[22:23], -v[26:27]
	v_cmp_le_f64_e32 vcc_lo, 0.5, v[22:23]
	s_delay_alu instid0(VALU_DEP_2) | instskip(SKIP_2) | instid1(VALU_DEP_3)
	v_add_f64_e64 v[18:19], v[30:31], -v[20:21]
	v_add_co_ci_u32_e64 v28, null, 0, v39, vcc_lo
	v_cndmask_b32_e64 v39, 0, 0x3ff00000, vcc_lo
	v_add_f64_e32 v[16:17], v[16:17], v[18:19]
	s_delay_alu instid0(VALU_DEP_2) | instskip(NEXT) | instid1(VALU_DEP_1)
	v_add_f64_e64 v[18:19], v[22:23], -v[38:39]
	v_add_f64_e32 v[20:21], v[18:19], v[16:17]
	s_delay_alu instid0(VALU_DEP_1) | instskip(SKIP_1) | instid1(VALU_DEP_2)
	v_mul_f64_e32 v[22:23], 0x3ff921fb54442d18, v[20:21]
	v_add_f64_e64 v[18:19], v[20:21], -v[18:19]
	v_fma_f64 v[24:25], v[20:21], s[10:11], -v[22:23]
	s_delay_alu instid0(VALU_DEP_2) | instskip(NEXT) | instid1(VALU_DEP_2)
	v_add_f64_e64 v[16:17], v[16:17], -v[18:19]
	v_fmamk_f64 v[18:19], v[20:21], 0x3c91a62633145c07, v[24:25]
	s_delay_alu instid0(VALU_DEP_1) | instskip(NEXT) | instid1(VALU_DEP_1)
	v_fmac_f64_e32 v[18:19], 0x3ff921fb54442d18, v[16:17]
	v_add_f64_e32 v[16:17], v[22:23], v[18:19]
	s_delay_alu instid0(VALU_DEP_1) | instskip(NEXT) | instid1(VALU_DEP_1)
	v_add_f64_e64 v[20:21], v[16:17], -v[22:23]
	v_add_f64_e64 v[18:19], v[18:19], -v[20:21]
	s_and_not1_saveexec_b32 s0, s0
	s_cbranch_execnz .LBB5_33
	s_branch .LBB5_34
.LBB5_32:
	s_and_not1_saveexec_b32 s0, s0
	s_cbranch_execz .LBB5_34
.LBB5_33:
	s_mov_b64 s[10:11], 0x3fe45f306dc9c883
	s_delay_alu instid0(SALU_CYCLE_1) | instskip(SKIP_1) | instid1(VALU_DEP_1)
	v_mul_f64_e64 v[16:17], |v[8:9]|, s[10:11]
	s_mov_b64 s[10:11], 0xbff921fb54442d18
	v_rndne_f64_e32 v[20:21], v[16:17]
	s_delay_alu instid0(VALU_DEP_1) | instskip(SKIP_2) | instid1(VALU_DEP_3)
	v_fma_f64 v[16:17], v[20:21], s[10:11], |v[8:9]|
	v_mul_f64_e32 v[18:19], 0xbc91a62633145c00, v[20:21]
	v_cvt_i32_f64_e32 v28, v[20:21]
	v_fmamk_f64 v[26:27], v[20:21], 0xbc91a62633145c00, v[16:17]
	s_delay_alu instid0(VALU_DEP_3) | instskip(NEXT) | instid1(VALU_DEP_1)
	v_add_f64_e32 v[22:23], v[16:17], v[18:19]
	v_add_f64_e64 v[24:25], v[16:17], -v[22:23]
	s_delay_alu instid0(VALU_DEP_3) | instskip(NEXT) | instid1(VALU_DEP_2)
	v_add_f64_e64 v[16:17], v[22:23], -v[26:27]
	v_add_f64_e32 v[22:23], v[24:25], v[18:19]
	v_fmamk_f64 v[18:19], v[20:21], 0x3c91a62633145c00, v[18:19]
	s_delay_alu instid0(VALU_DEP_2) | instskip(NEXT) | instid1(VALU_DEP_1)
	v_add_f64_e32 v[16:17], v[16:17], v[22:23]
	v_add_f64_e64 v[16:17], v[16:17], -v[18:19]
	s_delay_alu instid0(VALU_DEP_1) | instskip(NEXT) | instid1(VALU_DEP_1)
	v_fmamk_f64 v[18:19], v[20:21], 0xb97b839a252049c0, v[16:17]
	v_add_f64_e32 v[16:17], v[26:27], v[18:19]
	s_delay_alu instid0(VALU_DEP_1) | instskip(NEXT) | instid1(VALU_DEP_1)
	v_add_f64_e64 v[22:23], v[16:17], -v[26:27]
	v_add_f64_e64 v[18:19], v[18:19], -v[22:23]
.LBB5_34:
	s_or_b32 exec_lo, exec_lo, s0
	v_div_scale_f64 v[20:21], null, v[10:11], v[10:11], 0x40140000
	v_div_scale_f64 v[26:27], vcc_lo, 0x40140000, v[10:11], 0x40140000
	v_mul_f64_e32 v[36:37], v[12:13], v[12:13]
	v_mul_f64_e32 v[38:39], v[16:17], v[16:17]
	v_mov_b64_e32 v[44:45], 0xbe5ae600b42fdfa7
	v_mov_b64_e32 v[52:53], 0x3ec71de3796cde01
	;; [unrolled: 1-line block ×4, first 2 shown]
	v_mul_f64_e32 v[68:69], 0.5, v[18:19]
	v_mov_b64_e32 v[62:63], 0x3efa01a019f4ec90
	v_cmp_gt_f64_e64 s0, 0x10000000, v[10:11]
	v_mov_b64_e32 v[76:77], 0x3fa5555555555555
	v_rcp_f64_e32 v[22:23], v[20:21]
	v_fmamk_f64 v[46:47], v[36:37], 0x3de5e0b2f9a43bb8, v[44:45]
	v_fmac_f64_e32 v[44:45], 0x3de5e0b2f9a43bb8, v[38:39]
	v_mul_f64_e32 v[56:57], 0.5, v[38:39]
	v_mul_f64_e64 v[70:71], v[16:17], -v[38:39]
	v_mul_f64_e32 v[82:83], v[38:39], v[38:39]
	v_mul_f64_e64 v[78:79], v[12:13], -v[36:37]
	v_cndmask_b32_e64 v29, 0, 0x100, s0
	v_fmac_f64_e32 v[52:53], v[38:39], v[44:45]
	s_delay_alu instid0(TRANS32_DEP_1) | instskip(SKIP_2) | instid1(VALU_DEP_3)
	v_fma_f64 v[24:25], -v[20:21], v[22:23], 1.0
	v_fmamk_f64 v[44:45], v[36:37], 0xbda907db46cc5e42, v[54:55]
	v_fmac_f64_e32 v[54:55], 0xbda907db46cc5e42, v[38:39]
	v_fmac_f64_e32 v[22:23], v[22:23], v[24:25]
	s_delay_alu instid0(VALU_DEP_1) | instskip(NEXT) | instid1(VALU_DEP_1)
	v_fma_f64 v[24:25], -v[20:21], v[22:23], 1.0
	v_fmac_f64_e32 v[22:23], v[22:23], v[24:25]
	s_delay_alu instid0(VALU_DEP_1) | instskip(NEXT) | instid1(VALU_DEP_1)
	v_mul_f64_e32 v[24:25], v[26:27], v[22:23]
	v_fma_f64 v[20:21], -v[20:21], v[24:25], v[26:27]
	s_delay_alu instid0(VALU_DEP_1) | instskip(NEXT) | instid1(VALU_DEP_1)
	v_div_fmas_f64 v[20:21], v[20:21], v[22:23], v[24:25]
	v_div_fixup_f64 v[20:21], v[20:21], v[10:11], 0x40140000
	v_ldexp_f64 v[10:11], v[10:11], v29
	v_and_b32_e32 v29, 1, v28
	s_delay_alu instid0(VALU_DEP_3) | instskip(NEXT) | instid1(VALU_DEP_3)
	v_mul_f64_e32 v[22:23], v[20:21], v[20:21]
	v_rsq_f64_e32 v[64:65], v[10:11]
	s_delay_alu instid0(VALU_DEP_1) | instskip(SKIP_3) | instid1(VALU_DEP_4)
	v_fmaak_f64 v[24:25], 0, v[22:23], 0x3f42b89b13443d69
	v_fmaak_f64 v[26:27], 0, v[22:23], 0x3f48f92c4c6c651b
	;; [unrolled: 1-line block ×5, first 2 shown]
	s_delay_alu instid0(VALU_DEP_4) | instskip(NEXT) | instid1(VALU_DEP_4)
	v_fmaak_f64 v[26:27], v[22:23], v[26:27], 0x3fb2b948a3fec4b6
	v_fmaak_f64 v[30:31], v[22:23], v[30:31], 0x4013edb5c66d8fd6
	s_delay_alu instid0(VALU_DEP_4) | instskip(NEXT) | instid1(VALU_DEP_4)
	v_fmaak_f64 v[32:33], v[22:23], v[32:33], 0x409081cba20e5f6f
	v_fmaak_f64 v[24:25], v[22:23], v[24:25], 0x3ff1aea9b850eed6
	;; [unrolled: 3-line block ×9, first 2 shown]
	s_delay_alu instid0(VALU_DEP_4) | instskip(NEXT) | instid1(VALU_DEP_4)
	v_fmaak_f64 v[32:33], v[22:23], v[32:33], 0x40a61462b4bd1781
	v_fma_f64 v[24:25], v[22:23], v[24:25], 1.0
	s_delay_alu instid0(VALU_DEP_4) | instskip(NEXT) | instid1(VALU_DEP_4)
	v_fma_f64 v[26:27], v[22:23], v[26:27], 1.0
	v_fmaak_f64 v[30:31], v[22:23], v[30:31], 0x406a760a4c54bb0b
	s_delay_alu instid0(VALU_DEP_4) | instskip(NEXT) | instid1(VALU_DEP_2)
	v_fmaak_f64 v[32:33], v[22:23], v[32:33], 0x4075017f6ae75997
	v_fmaak_f64 v[22:23], v[22:23], v[30:31], 0x403934ff4d159eb5
	s_delay_alu instid0(VALU_DEP_1) | instskip(SKIP_1) | instid1(VALU_DEP_2)
	v_div_scale_f64 v[34:35], null, v[32:33], v[32:33], v[22:23]
	v_div_scale_f64 v[30:31], null, v[24:25], v[24:25], v[26:27]
	v_rcp_f64_e32 v[42:43], v[34:35]
	s_delay_alu instid0(VALU_DEP_1) | instskip(NEXT) | instid1(TRANS32_DEP_2)
	v_rcp_f64_e32 v[40:41], v[30:31]
	v_fma_f64 v[50:51], -v[34:35], v[42:43], 1.0
	s_delay_alu instid0(TRANS32_DEP_1) | instskip(NEXT) | instid1(VALU_DEP_2)
	v_fma_f64 v[48:49], -v[30:31], v[40:41], 1.0
	v_fmac_f64_e32 v[42:43], v[42:43], v[50:51]
	v_mov_b64_e32 v[50:51], 0xbe927e4fa17f65f6
	s_delay_alu instid0(VALU_DEP_1) | instskip(NEXT) | instid1(VALU_DEP_4)
	v_fmac_f64_e32 v[50:51], v[38:39], v[54:55]
	v_fmac_f64_e32 v[40:41], v[40:41], v[48:49]
	v_mov_b64_e32 v[48:49], 0xbf2a01a019e83e5c
	s_delay_alu instid0(VALU_DEP_1)
	v_fmac_f64_e32 v[48:49], v[38:39], v[52:53]
	v_add_f64_e64 v[52:53], -v[56:57], 1.0
	v_fma_f64 v[58:59], -v[34:35], v[42:43], 1.0
	v_fmac_f64_e32 v[62:63], v[38:39], v[50:51]
	v_div_scale_f64 v[50:51], vcc_lo, v[26:27], v[24:25], v[26:27]
	v_fma_f64 v[54:55], -v[30:31], v[40:41], 1.0
	v_fmac_f64_e32 v[60:61], v[38:39], v[48:49]
	v_add_f64_e64 v[48:49], -v[52:53], 1.0
	v_fmac_f64_e32 v[42:43], v[42:43], v[58:59]
	v_mov_b64_e32 v[58:59], 0xbf56c16c16c16967
	s_delay_alu instid0(VALU_DEP_1)
	v_fmac_f64_e32 v[58:59], v[38:39], v[62:63]
	v_fmac_f64_e32 v[40:41], v[40:41], v[54:55]
	v_div_scale_f64 v[54:55], s1, v[22:23], v[32:33], v[22:23]
	v_fmac_f64_e32 v[68:69], v[70:71], v[60:61]
	v_add_f64_e64 v[48:49], v[48:49], -v[56:57]
	v_fmac_f64_e32 v[76:77], v[38:39], v[58:59]
	v_mul_f64_e32 v[56:57], v[50:51], v[40:41]
	v_mul_f64_e32 v[62:63], v[54:55], v[42:43]
	v_fma_f64 v[68:69], v[38:39], v[68:69], -v[18:19]
	v_fma_f64 v[18:19], v[16:17], -v[18:19], v[48:49]
	v_fmaak_f64 v[38:39], v[36:37], v[46:47], 0x3ec71de3796cde01
	s_delay_alu instid0(VALU_DEP_1) | instskip(NEXT) | instid1(VALU_DEP_1)
	v_fmaak_f64 v[38:39], v[36:37], v[38:39], 0xbf2a01a019e83e5c
	v_fmaak_f64 v[38:39], v[36:37], v[38:39], 0x3f81111111110bb3
	v_fma_f64 v[30:31], -v[30:31], v[56:57], v[50:51]
	v_fma_f64 v[34:35], -v[34:35], v[62:63], v[54:55]
	v_fmac_f64_e32 v[68:69], 0xbfc5555555555555, v[70:71]
	v_fmac_f64_e32 v[18:19], v[82:83], v[76:77]
	s_delay_alu instid0(VALU_DEP_4)
	v_div_fmas_f64 v[30:31], v[30:31], v[40:41], v[56:57]
	s_mov_b32 vcc_lo, s1
	v_mul_f64_e32 v[40:41], v[36:37], v[36:37]
	v_div_fmas_f64 v[34:35], v[34:35], v[42:43], v[62:63]
	v_cmp_eq_u32_e32 vcc_lo, 0, v29
	v_add_f64_e64 v[16:17], v[16:17], -v[68:69]
	v_add_f64_e32 v[18:19], v[52:53], v[18:19]
	v_mul_f64_e32 v[60:61], v[10:11], v[64:65]
	v_div_fixup_f64 v[22:23], v[34:35], v[32:33], v[22:23]
	s_delay_alu instid0(VALU_DEP_4) | instskip(NEXT) | instid1(VALU_DEP_4)
	v_xor_b32_e32 v17, 0x80000000, v17
	v_dual_mul_f64 v[66:67], 0.5, v[36:37] :: v_dual_cndmask_b32 v29, v16, v18, vcc_lo
	s_delay_alu instid0(VALU_DEP_2) | instskip(SKIP_2) | instid1(VALU_DEP_1)
	v_cndmask_b32_e32 v19, v17, v19, vcc_lo
	v_cmp_class_f64_e64 vcc_lo, v[8:9], 0x1f8
	v_lshlrev_b32_e32 v8, 30, v28
	v_bitop3_b32 v8, v19, v8, 0x80000000 bitop3:0x78
	v_mul_f64_e32 v[16:17], v[20:21], v[22:23]
	v_div_fixup_f64 v[22:23], v[30:31], v[24:25], v[26:27]
	v_add_f64_e64 v[72:73], -v[66:67], 1.0
	s_delay_alu instid0(VALU_DEP_4) | instskip(SKIP_2) | instid1(VALU_DEP_3)
	v_dual_cndmask_b32 v21, 0x7ff80000, v8 :: v_dual_lshlrev_b32 v8, 30, v1
	v_dual_mul_f64 v[74:75], 0.5, v[14:15] :: v_dual_bitop2_b32 v1, 1, v1 bitop3:0x40
	v_cndmask_b32_e32 v20, 0, v29, vcc_lo
	v_xor_b32_e32 v8, v8, v9
	s_delay_alu instid0(VALU_DEP_3) | instskip(NEXT) | instid1(VALU_DEP_3)
	v_cmp_eq_u32_e64 s1, 0, v1
	v_mul_f64_e32 v[16:17], v[16:17], v[20:21]
	v_add_f64_e64 v[80:81], -v[72:73], 1.0
	v_fmac_f64_e32 v[74:75], v[78:79], v[38:39]
	s_delay_alu instid0(VALU_DEP_2) | instskip(NEXT) | instid1(VALU_DEP_2)
	v_add_f64_e64 v[38:39], v[80:81], -v[66:67]
	v_fma_f64 v[42:43], v[36:37], v[74:75], -v[14:15]
	s_delay_alu instid0(VALU_DEP_2) | instskip(SKIP_1) | instid1(VALU_DEP_3)
	v_fma_f64 v[14:15], v[12:13], -v[14:15], v[38:39]
	v_fmaak_f64 v[38:39], v[36:37], v[44:45], 0xbe927e4fa17f65f6
	v_fmac_f64_e32 v[42:43], 0xbfc5555555555555, v[78:79]
	s_delay_alu instid0(VALU_DEP_2) | instskip(NEXT) | instid1(VALU_DEP_1)
	v_fmaak_f64 v[38:39], v[36:37], v[38:39], 0x3efa01a019f4ec90
	v_fmaak_f64 v[32:33], v[36:37], v[38:39], 0xbf56c16c16c16967
	s_delay_alu instid0(VALU_DEP_1) | instskip(NEXT) | instid1(VALU_DEP_1)
	v_fmaak_f64 v[32:33], v[36:37], v[32:33], 0x3fa5555555555555
	v_fmac_f64_e32 v[14:15], v[40:41], v[32:33]
	v_add_f64_e64 v[12:13], v[12:13], -v[42:43]
	s_delay_alu instid0(VALU_DEP_2) | instskip(NEXT) | instid1(VALU_DEP_1)
	v_add_f64_e32 v[14:15], v[72:73], v[14:15]
	v_dual_cndmask_b32 v1, v15, v13, s1 :: v_dual_cndmask_b32 v9, v14, v12, s1
	s_delay_alu instid0(VALU_DEP_1) | instskip(NEXT) | instid1(VALU_DEP_2)
	v_bitop3_b32 v1, v1, v8, 0x80000000 bitop3:0x78
	v_cndmask_b32_e32 v8, 0, v9, vcc_lo
	s_delay_alu instid0(VALU_DEP_2) | instskip(SKIP_3) | instid1(VALU_DEP_4)
	v_cndmask_b32_e32 v9, 0x7ff80000, v1, vcc_lo
	v_cmp_class_f64_e64 vcc_lo, v[10:11], 0x260
	v_mul_f64_e32 v[64:65], 0.5, v[64:65]
	v_cndmask_b32_e64 v1, 0, 0xffffff80, s0
	v_fmac_f64_e32 v[16:17], v[22:23], v[8:9]
	s_delay_alu instid0(VALU_DEP_3) | instskip(NEXT) | instid1(VALU_DEP_2)
	v_fma_f64 v[84:85], -v[64:65], v[60:61], 0.5
	v_mul_f64_e32 v[12:13], 0x3fe9884533d43651, v[16:17]
	s_delay_alu instid0(VALU_DEP_2) | instskip(SKIP_1) | instid1(VALU_DEP_2)
	v_fmac_f64_e32 v[60:61], v[60:61], v[84:85]
	v_fmac_f64_e32 v[64:65], v[64:65], v[84:85]
	v_fma_f64 v[44:45], -v[60:61], v[60:61], v[10:11]
	s_delay_alu instid0(VALU_DEP_1) | instskip(NEXT) | instid1(VALU_DEP_1)
	v_fmac_f64_e32 v[60:61], v[44:45], v[64:65]
	v_fma_f64 v[18:19], -v[60:61], v[60:61], v[10:11]
	s_delay_alu instid0(VALU_DEP_1) | instskip(NEXT) | instid1(VALU_DEP_1)
	v_fmac_f64_e32 v[60:61], v[18:19], v[64:65]
	v_ldexp_f64 v[8:9], v[60:61], v1
	s_delay_alu instid0(VALU_DEP_1) | instskip(NEXT) | instid1(VALU_DEP_1)
	v_dual_cndmask_b32 v9, v9, v11 :: v_dual_cndmask_b32 v8, v8, v10
	v_div_scale_f64 v[10:11], null, v[8:9], v[8:9], v[12:13]
	s_delay_alu instid0(VALU_DEP_1) | instskip(SKIP_1) | instid1(TRANS32_DEP_1)
	v_rcp_f64_e32 v[14:15], v[10:11]
	v_nop
	v_fma_f64 v[16:17], -v[10:11], v[14:15], 1.0
	s_delay_alu instid0(VALU_DEP_1) | instskip(NEXT) | instid1(VALU_DEP_1)
	v_fmac_f64_e32 v[14:15], v[14:15], v[16:17]
	v_fma_f64 v[16:17], -v[10:11], v[14:15], 1.0
	s_delay_alu instid0(VALU_DEP_1) | instskip(SKIP_1) | instid1(VALU_DEP_1)
	v_fmac_f64_e32 v[14:15], v[14:15], v[16:17]
	v_div_scale_f64 v[16:17], vcc_lo, v[12:13], v[8:9], v[12:13]
	v_mul_f64_e32 v[18:19], v[16:17], v[14:15]
	s_delay_alu instid0(VALU_DEP_1) | instskip(NEXT) | instid1(VALU_DEP_1)
	v_fma_f64 v[10:11], -v[10:11], v[18:19], v[16:17]
	v_div_fmas_f64 v[10:11], v[10:11], v[14:15], v[18:19]
	s_delay_alu instid0(VALU_DEP_1)
	v_div_fixup_f64 v[8:9], v[10:11], v[8:9], v[12:13]
.LBB5_35:
	s_or_b32 exec_lo, exec_lo, s2
                                        ; implicit-def: $vgpr10_vgpr11
	s_delay_alu instid0(SALU_CYCLE_1)
	s_mov_b32 s0, exec_lo
	s_wait_loadcnt 0x0
	v_cmpx_ge_f64_e32 0x40140000, v[2:3]
	s_xor_b32 s1, exec_lo, s0
	s_cbranch_execz .LBB5_41
; %bb.36:
	v_mov_b64_e32 v[10:11], 0xfff0000000000000
	s_mov_b32 s2, exec_lo
	v_cmpx_neq_f64_e32 0, v[2:3]
	s_cbranch_execz .LBB5_40
; %bb.37:
	v_mov_b64_e32 v[10:11], 0x7ff8000000000000
	s_mov_b32 s10, exec_lo
	v_cmpx_nge_f64_e32 0, v[2:3]
	s_cbranch_execz .LBB5_39
; %bb.38:
	v_frexp_mant_f64_e32 v[10:11], v[2:3]
	s_mov_b64 s[12:13], 0x3fe5555555555555
	s_delay_alu instid0(VALU_DEP_1) | instid1(SALU_CYCLE_1)
	v_cmp_gt_f64_e32 vcc_lo, s[12:13], v[10:11]
	s_mov_b64 s[12:13], 0x3fc3ab76bf559e2b
	v_cndmask_b32_e64 v1, 0, 1, vcc_lo
	s_delay_alu instid0(VALU_DEP_1) | instskip(SKIP_1) | instid1(VALU_DEP_2)
	v_ldexp_f64 v[10:11], v[10:11], v1
	v_frexp_exp_i32_f64_e32 v1, v[2:3]
	v_add_f64_e32 v[12:13], 1.0, v[10:11]
	v_add_f64_e32 v[18:19], -1.0, v[10:11]
	s_delay_alu instid0(VALU_DEP_3) | instskip(NEXT) | instid1(VALU_DEP_3)
	v_subrev_co_ci_u32_e64 v1, null, 0, v1, vcc_lo
	v_rcp_f64_e32 v[14:15], v[12:13]
	v_add_f64_e32 v[20:21], -1.0, v[12:13]
	s_delay_alu instid0(VALU_DEP_1) | instskip(NEXT) | instid1(TRANS32_DEP_1)
	v_add_f64_e64 v[10:11], v[10:11], -v[20:21]
	v_fma_f64 v[16:17], -v[12:13], v[14:15], 1.0
	s_delay_alu instid0(VALU_DEP_1) | instskip(NEXT) | instid1(VALU_DEP_1)
	v_fmac_f64_e32 v[14:15], v[16:17], v[14:15]
	v_fma_f64 v[16:17], -v[12:13], v[14:15], 1.0
	s_delay_alu instid0(VALU_DEP_1) | instskip(NEXT) | instid1(VALU_DEP_1)
	v_fmac_f64_e32 v[14:15], v[16:17], v[14:15]
	v_mul_f64_e32 v[16:17], v[18:19], v[14:15]
	s_delay_alu instid0(VALU_DEP_1) | instskip(NEXT) | instid1(VALU_DEP_1)
	v_mul_f64_e32 v[22:23], v[12:13], v[16:17]
	v_fma_f64 v[12:13], v[16:17], v[12:13], -v[22:23]
	s_delay_alu instid0(VALU_DEP_1) | instskip(NEXT) | instid1(VALU_DEP_1)
	v_fmac_f64_e32 v[12:13], v[16:17], v[10:11]
	v_add_f64_e32 v[10:11], v[22:23], v[12:13]
	s_delay_alu instid0(VALU_DEP_1) | instskip(SKIP_1) | instid1(VALU_DEP_2)
	v_add_f64_e64 v[20:21], v[18:19], -v[10:11]
	v_add_f64_e64 v[22:23], v[10:11], -v[22:23]
	;; [unrolled: 1-line block ×3, first 2 shown]
	s_delay_alu instid0(VALU_DEP_2) | instskip(SKIP_1) | instid1(VALU_DEP_3)
	v_add_f64_e64 v[12:13], v[22:23], -v[12:13]
	v_cvt_f64_i32_e32 v[22:23], v1
	v_add_f64_e64 v[10:11], v[18:19], -v[10:11]
	s_delay_alu instid0(VALU_DEP_2) | instskip(NEXT) | instid1(VALU_DEP_2)
	v_mul_f64_e32 v[28:29], 0x3fe62e42fefa39ef, v[22:23]
	v_add_f64_e32 v[10:11], v[12:13], v[10:11]
	s_delay_alu instid0(VALU_DEP_1) | instskip(NEXT) | instid1(VALU_DEP_1)
	v_add_f64_e32 v[10:11], v[20:21], v[10:11]
	v_mul_f64_e32 v[10:11], v[14:15], v[10:11]
	s_delay_alu instid0(VALU_DEP_1) | instskip(NEXT) | instid1(VALU_DEP_1)
	v_add_f64_e32 v[12:13], v[16:17], v[10:11]
	v_mul_f64_e32 v[14:15], v[12:13], v[12:13]
	s_delay_alu instid0(VALU_DEP_1) | instskip(SKIP_2) | instid1(SALU_CYCLE_1)
	v_fmaak_f64 v[18:19], s[12:13], v[14:15], 0x3fc385386b47b09a
	v_mul_f64_e32 v[20:21], v[12:13], v[14:15]
	s_mov_b64 s[12:13], 0x3fe62e42fefa39ef
	v_fma_f64 v[32:33], v[22:23], s[12:13], -v[28:29]
	s_delay_alu instid0(VALU_DEP_3) | instskip(NEXT) | instid1(VALU_DEP_1)
	v_fmaak_f64 v[18:19], v[14:15], v[18:19], 0x3fc7474dd7f4df2e
	v_fmaak_f64 v[18:19], v[14:15], v[18:19], 0x3fcc71c016291751
	s_delay_alu instid0(VALU_DEP_1) | instskip(NEXT) | instid1(VALU_DEP_1)
	v_fmaak_f64 v[18:19], v[14:15], v[18:19], 0x3fd249249b27acf1
	v_fmaak_f64 v[18:19], v[14:15], v[18:19], 0x3fd99999998ef7b6
	s_delay_alu instid0(VALU_DEP_1) | instskip(SKIP_3) | instid1(VALU_DEP_4)
	v_fmaak_f64 v[14:15], v[14:15], v[18:19], 0x3fe5555555555780
	v_ldexp_f64 v[18:19], v[12:13], 1
	v_add_f64_e64 v[12:13], v[12:13], -v[16:17]
	v_fmamk_f64 v[22:23], v[22:23], 0x3c7abc9e3b39803f, v[32:33]
	v_mul_f64_e32 v[14:15], v[20:21], v[14:15]
	v_mul_f64_e32 v[20:21], v[2:3], v[2:3]
	s_delay_alu instid0(VALU_DEP_3) | instskip(SKIP_1) | instid1(VALU_DEP_4)
	v_add_f64_e32 v[32:33], v[28:29], v[22:23]
	v_add_f64_e64 v[10:11], v[10:11], -v[12:13]
	v_add_f64_e32 v[16:17], v[18:19], v[14:15]
	s_delay_alu instid0(VALU_DEP_4)
	v_fmaak_f64 v[24:25], 0, v[20:21], 0x40829269a93f7ac2
	v_fmaak_f64 v[26:27], 0, v[20:21], 0x408366b11b7086e7
	;; [unrolled: 1-line block ×3, first 2 shown]
	v_add_f64_e64 v[28:29], v[32:33], -v[28:29]
	v_ldexp_f64 v[10:11], v[10:11], 1
	v_add_f64_e64 v[12:13], v[16:17], -v[18:19]
	v_fmaak_f64 v[18:19], v[20:21], v[24:25], 0x410cc160be58ef7f
	v_fmaak_f64 v[24:25], v[20:21], v[26:27], 0x410f5eda0dd701b2
	;; [unrolled: 1-line block ×3, first 2 shown]
	v_add_f64_e64 v[22:23], v[22:23], -v[28:29]
	s_delay_alu instid0(VALU_DEP_4) | instskip(NEXT) | instid1(VALU_DEP_4)
	v_fmaak_f64 v[18:19], v[20:21], v[18:19], 0x419184efa9c8acee
	v_fmaak_f64 v[24:25], v[20:21], v[24:25], 0x4193e954dc92a1b1
	s_delay_alu instid0(VALU_DEP_4) | instskip(NEXT) | instid1(VALU_DEP_3)
	v_fmaak_f64 v[26:27], v[20:21], v[26:27], 0xc262d72d58836521
	v_fmaak_f64 v[18:19], v[20:21], v[18:19], 0x421178c3906b7b83
	s_delay_alu instid0(VALU_DEP_3) | instskip(NEXT) | instid1(VALU_DEP_3)
	v_fmaak_f64 v[24:25], v[20:21], v[24:25], 0x4214a13f7befeac1
	v_fmaak_f64 v[26:27], v[20:21], v[26:27], 0x42da0954b0910fef
	s_delay_alu instid0(VALU_DEP_3) | instskip(NEXT) | instid1(VALU_DEP_3)
	;; [unrolled: 3-line block ×4, first 2 shown]
	v_fmaak_f64 v[24:25], v[20:21], v[24:25], 0x43064b0a3eccf45f
	v_fmaak_f64 v[26:27], v[20:21], v[26:27], 0x438679ad0b7366b1
	v_add_f64_e64 v[12:13], v[14:15], -v[12:13]
	v_fmaak_f64 v[14:15], v[20:21], v[30:31], 0x425a52ba0d438c6b
	v_fmaak_f64 v[18:19], v[20:21], v[18:19], 0x436e83e3c547a488
	;; [unrolled: 1-line block ×4, first 2 shown]
	s_delay_alu instid0(VALU_DEP_4) | instskip(NEXT) | instid1(VALU_DEP_4)
	v_fmaak_f64 v[14:15], v[20:21], v[14:15], 0xc2d08a92e6ccf175
	v_fmaak_f64 v[18:19], v[20:21], v[18:19], 0x43cb90f190f6747f
	s_delay_alu instid0(VALU_DEP_2) | instskip(SKIP_1) | instid1(VALU_DEP_3)
	v_fmaak_f64 v[14:15], v[20:21], v[14:15], 0x432a2b42a697c482
	v_fmaak_f64 v[20:21], v[20:21], v[24:25], 0x43d2779576702939
	v_div_scale_f64 v[24:25], null, v[18:19], v[18:19], v[26:27]
	v_div_scale_f64 v[52:53], vcc_lo, v[26:27], v[18:19], v[26:27]
	s_delay_alu instid0(VALU_DEP_3) | instskip(SKIP_1) | instid1(VALU_DEP_4)
	v_div_scale_f64 v[30:31], null, v[20:21], v[20:21], v[14:15]
	v_add_f64_e32 v[10:11], v[10:11], v[12:13]
	v_rcp_f64_e32 v[12:13], v[24:25]
	s_delay_alu instid0(VALU_DEP_2) | instskip(NEXT) | instid1(VALU_DEP_1)
	v_rcp_f64_e32 v[34:35], v[30:31]
	v_add_f64_e32 v[36:37], v[16:17], v[10:11]
	s_delay_alu instid0(TRANS32_DEP_2) | instskip(NEXT) | instid1(TRANS32_DEP_1)
	v_fma_f64 v[38:39], -v[24:25], v[12:13], 1.0
	v_fma_f64 v[40:41], -v[30:31], v[34:35], 1.0
	s_delay_alu instid0(VALU_DEP_3) | instskip(SKIP_1) | instid1(VALU_DEP_4)
	v_add_f64_e32 v[42:43], v[32:33], v[36:37]
	v_add_f64_e64 v[16:17], v[36:37], -v[16:17]
	v_fmac_f64_e32 v[12:13], v[12:13], v[38:39]
	v_div_scale_f64 v[38:39], null, v[2:3], v[2:3], -1.0
	v_fmac_f64_e32 v[34:35], v[34:35], v[40:41]
	v_add_f64_e64 v[40:41], v[42:43], -v[32:33]
	v_add_f64_e64 v[10:11], v[10:11], -v[16:17]
	v_fma_f64 v[44:45], -v[24:25], v[12:13], 1.0
	v_rcp_f64_e32 v[46:47], v[38:39]
	s_delay_alu instid0(VALU_DEP_4) | instskip(NEXT) | instid1(VALU_DEP_4)
	v_fma_f64 v[48:49], -v[30:31], v[34:35], 1.0
	v_add_f64_e64 v[50:51], v[42:43], -v[40:41]
	v_add_f64_e64 v[16:17], v[36:37], -v[40:41]
	s_delay_alu instid0(VALU_DEP_4) | instskip(SKIP_4) | instid1(TRANS32_DEP_1)
	v_fmac_f64_e32 v[12:13], v[12:13], v[44:45]
	v_div_scale_f64 v[44:45], s0, v[14:15], v[20:21], v[14:15]
	v_fmac_f64_e32 v[34:35], v[34:35], v[48:49]
	v_add_f64_e32 v[48:49], v[22:23], v[10:11]
	v_add_f64_e64 v[28:29], v[32:33], -v[50:51]
	v_fma_f64 v[32:33], -v[38:39], v[46:47], 1.0
	v_mul_f64_e32 v[36:37], v[52:53], v[12:13]
	v_mul_f64_e32 v[40:41], v[44:45], v[34:35]
	s_delay_alu instid0(VALU_DEP_4) | instskip(NEXT) | instid1(VALU_DEP_4)
	v_add_f64_e32 v[16:17], v[16:17], v[28:29]
	v_fmac_f64_e32 v[46:47], v[46:47], v[32:33]
	s_delay_alu instid0(VALU_DEP_4) | instskip(NEXT) | instid1(VALU_DEP_4)
	v_fma_f64 v[24:25], -v[24:25], v[36:37], v[52:53]
	v_fma_f64 v[28:29], -v[30:31], v[40:41], v[44:45]
	v_add_f64_e64 v[30:31], v[48:49], -v[22:23]
	v_add_f64_e32 v[16:17], v[48:49], v[16:17]
	v_fma_f64 v[32:33], -v[38:39], v[46:47], 1.0
	v_div_fmas_f64 v[12:13], v[24:25], v[12:13], v[36:37]
	s_mov_b32 vcc_lo, s0
	v_div_fmas_f64 v[24:25], v[28:29], v[34:35], v[40:41]
	v_add_f64_e64 v[28:29], v[48:49], -v[30:31]
	v_div_scale_f64 v[36:37], vcc_lo, -1.0, v[2:3], -1.0
	v_add_f64_e32 v[34:35], v[42:43], v[16:17]
	v_fmac_f64_e32 v[46:47], v[46:47], v[32:33]
	v_add_f64_e64 v[10:11], v[10:11], -v[30:31]
	v_div_fixup_f64 v[12:13], v[12:13], v[18:19], v[26:27]
	v_div_fixup_f64 v[14:15], v[24:25], v[20:21], v[14:15]
	v_add_f64_e64 v[20:21], v[22:23], -v[28:29]
	v_add_f64_e64 v[22:23], v[34:35], -v[42:43]
	v_mul_f64_e32 v[24:25], v[36:37], v[46:47]
	s_delay_alu instid0(VALU_DEP_4) | instskip(NEXT) | instid1(VALU_DEP_4)
	v_mul_f64_e32 v[14:15], v[2:3], v[14:15]
	v_add_f64_e32 v[10:11], v[10:11], v[20:21]
	s_delay_alu instid0(VALU_DEP_4) | instskip(NEXT) | instid1(VALU_DEP_4)
	v_add_f64_e64 v[16:17], v[16:17], -v[22:23]
	v_fma_f64 v[20:21], -v[38:39], v[24:25], v[36:37]
	v_fmaak_f64 v[22:23], v[2:3], v[2:3], 0xc02d5d2b4189822c
	s_delay_alu instid0(VALU_DEP_1) | instskip(NEXT) | instid1(VALU_DEP_4)
	v_mul_f64_e32 v[14:15], v[22:23], v[14:15]
	v_add_f64_e32 v[10:11], v[10:11], v[16:17]
	s_delay_alu instid0(VALU_DEP_4) | instskip(SKIP_1) | instid1(VALU_DEP_1)
	v_div_fmas_f64 v[16:17], v[20:21], v[46:47], v[24:25]
	v_fmaak_f64 v[20:21], v[2:3], v[2:3], 0xc0489bf66072a432
	v_mul_f64_e32 v[14:15], v[20:21], v[14:15]
	s_delay_alu instid0(VALU_DEP_4) | instskip(NEXT) | instid1(VALU_DEP_4)
	v_add_f64_e32 v[10:11], v[34:35], v[10:11]
	v_div_fixup_f64 v[16:17], v[16:17], v[2:3], -1.0
	s_delay_alu instid0(VALU_DEP_1) | instskip(NEXT) | instid1(VALU_DEP_1)
	v_fmac_f64_e32 v[16:17], v[14:15], v[10:11]
	v_mul_f64_e32 v[10:11], 0x3fe45f306dc9c883, v[16:17]
	s_delay_alu instid0(VALU_DEP_1)
	v_fmac_f64_e32 v[10:11], v[2:3], v[12:13]
.LBB5_39:
	s_or_b32 exec_lo, exec_lo, s10
.LBB5_40:
	s_delay_alu instid0(SALU_CYCLE_1)
	s_or_b32 exec_lo, exec_lo, s2
.LBB5_41:
	s_and_not1_saveexec_b32 s2, s1
	s_cbranch_execz .LBB5_51
; %bb.42:
	v_add_f64_e32 v[10:11], 0xc002d97c7f3321d2, v[2:3]
                                        ; implicit-def: $vgpr1
                                        ; implicit-def: $vgpr12_vgpr13
                                        ; implicit-def: $vgpr14_vgpr15
	s_delay_alu instid0(VALU_DEP_1)
	v_cmp_ngt_f64_e64 s0, 0x41d00000, |v[10:11]|
	v_trig_preop_f64 v[24:25], |v[10:11]|, 0
	v_trig_preop_f64 v[22:23], |v[10:11]|, 1
	v_ldexp_f64 v[26:27], |v[10:11]|, 0xffffff80
	v_trig_preop_f64 v[20:21], |v[10:11]|, 2
	v_and_b32_e32 v29, 0x7fffffff, v11
	s_and_saveexec_b32 s1, s0
	s_delay_alu instid0(SALU_CYCLE_1)
	s_xor_b32 s1, exec_lo, s1
	s_cbranch_execz .LBB5_44
; %bb.43:
	v_cmp_le_f64_e64 vcc_lo, 0x7b000000, |v[10:11]|
	s_mov_b64 s[10:11], 0x3ff921fb54442d18
	v_dual_mov_b32 v42, 0 :: v_dual_cndmask_b32 v13, v29, v27
	v_cndmask_b32_e32 v12, v10, v26, vcc_lo
	s_delay_alu instid0(VALU_DEP_1) | instskip(SKIP_2) | instid1(VALU_DEP_3)
	v_mul_f64_e32 v[14:15], v[24:25], v[12:13]
	v_mul_f64_e32 v[16:17], v[22:23], v[12:13]
	;; [unrolled: 1-line block ×3, first 2 shown]
	v_fma_f64 v[18:19], v[24:25], v[12:13], -v[14:15]
	s_delay_alu instid0(VALU_DEP_3) | instskip(NEXT) | instid1(VALU_DEP_3)
	v_fma_f64 v[40:41], v[22:23], v[12:13], -v[16:17]
	v_fma_f64 v[12:13], v[20:21], v[12:13], -v[38:39]
	s_delay_alu instid0(VALU_DEP_3) | instskip(NEXT) | instid1(VALU_DEP_1)
	v_add_f64_e32 v[30:31], v[16:17], v[18:19]
	v_add_f64_e64 v[32:33], v[30:31], -v[16:17]
	v_add_f64_e32 v[36:37], v[14:15], v[30:31]
	s_delay_alu instid0(VALU_DEP_2) | instskip(SKIP_1) | instid1(VALU_DEP_3)
	v_add_f64_e64 v[34:35], v[30:31], -v[32:33]
	v_add_f64_e64 v[18:19], v[18:19], -v[32:33]
	v_ldexp_f64 v[32:33], v[36:37], -2
	s_delay_alu instid0(VALU_DEP_3) | instskip(SKIP_1) | instid1(VALU_DEP_3)
	v_add_f64_e64 v[16:17], v[16:17], -v[34:35]
	v_add_f64_e32 v[34:35], v[38:39], v[40:41]
	v_cmp_neq_f64_e64 vcc_lo, 0x7ff00000, |v[32:33]|
	s_delay_alu instid0(VALU_DEP_3) | instskip(SKIP_1) | instid1(VALU_DEP_1)
	v_add_f64_e32 v[16:17], v[18:19], v[16:17]
	v_fract_f64_e32 v[18:19], v[32:33]
	v_ldexp_f64 v[18:19], v[18:19], 2
	s_delay_alu instid0(VALU_DEP_1) | instskip(SKIP_1) | instid1(VALU_DEP_3)
	v_cndmask_b32_e32 v19, 0, v19, vcc_lo
	v_add_f64_e64 v[14:15], v[36:37], -v[14:15]
	v_cndmask_b32_e32 v18, 0, v18, vcc_lo
	s_delay_alu instid0(VALU_DEP_2) | instskip(SKIP_1) | instid1(VALU_DEP_1)
	v_add_f64_e64 v[14:15], v[30:31], -v[14:15]
	v_add_f64_e32 v[30:31], v[34:35], v[16:17]
	v_add_f64_e32 v[32:33], v[14:15], v[30:31]
	v_add_f64_e64 v[44:45], v[30:31], -v[34:35]
	s_delay_alu instid0(VALU_DEP_2) | instskip(NEXT) | instid1(VALU_DEP_2)
	v_add_f64_e32 v[36:37], v[32:33], v[18:19]
	v_add_f64_e64 v[50:51], v[30:31], -v[44:45]
	v_add_f64_e64 v[16:17], v[16:17], -v[44:45]
	v_add_f64_e64 v[14:15], v[32:33], -v[14:15]
	s_delay_alu instid0(VALU_DEP_4) | instskip(SKIP_1) | instid1(VALU_DEP_3)
	v_cmp_gt_f64_e32 vcc_lo, 0, v[36:37]
	v_add_f64_e64 v[36:37], v[34:35], -v[38:39]
	v_add_f64_e64 v[14:15], v[30:31], -v[14:15]
	v_cndmask_b32_e64 v43, 0, 0x40100000, vcc_lo
	s_delay_alu instid0(VALU_DEP_3) | instskip(SKIP_2) | instid1(VALU_DEP_4)
	v_add_f64_e64 v[48:49], v[34:35], -v[36:37]
	v_add_f64_e64 v[36:37], v[40:41], -v[36:37]
	;; [unrolled: 1-line block ×3, first 2 shown]
	v_add_f64_e32 v[18:19], v[18:19], v[42:43]
	s_delay_alu instid0(VALU_DEP_4) | instskip(NEXT) | instid1(VALU_DEP_3)
	v_add_f64_e64 v[40:41], v[38:39], -v[48:49]
	v_add_f64_e32 v[16:17], v[16:17], v[34:35]
	s_delay_alu instid0(VALU_DEP_3) | instskip(NEXT) | instid1(VALU_DEP_3)
	v_add_f64_e32 v[46:47], v[32:33], v[18:19]
	v_add_f64_e32 v[36:37], v[36:37], v[40:41]
	s_delay_alu instid0(VALU_DEP_2) | instskip(NEXT) | instid1(VALU_DEP_2)
	v_cvt_i32_f64_e32 v1, v[46:47]
	v_add_f64_e32 v[16:17], v[36:37], v[16:17]
	s_delay_alu instid0(VALU_DEP_2) | instskip(NEXT) | instid1(VALU_DEP_2)
	v_cvt_f64_i32_e32 v[44:45], v1
	v_add_f64_e32 v[12:13], v[12:13], v[16:17]
	s_delay_alu instid0(VALU_DEP_2) | instskip(NEXT) | instid1(VALU_DEP_2)
	v_add_f64_e64 v[18:19], v[18:19], -v[44:45]
	v_add_f64_e32 v[12:13], v[14:15], v[12:13]
	s_delay_alu instid0(VALU_DEP_2) | instskip(NEXT) | instid1(VALU_DEP_1)
	v_add_f64_e32 v[34:35], v[32:33], v[18:19]
	v_add_f64_e64 v[16:17], v[34:35], -v[18:19]
	v_cmp_le_f64_e32 vcc_lo, 0.5, v[34:35]
	s_delay_alu instid0(VALU_DEP_2) | instskip(SKIP_2) | instid1(VALU_DEP_3)
	v_add_f64_e64 v[14:15], v[32:33], -v[16:17]
	v_cndmask_b32_e64 v43, 0, 0x3ff00000, vcc_lo
	v_add_co_ci_u32_e64 v1, null, 0, v1, vcc_lo
	v_add_f64_e32 v[12:13], v[12:13], v[14:15]
	s_delay_alu instid0(VALU_DEP_3) | instskip(NEXT) | instid1(VALU_DEP_1)
	v_add_f64_e64 v[14:15], v[34:35], -v[42:43]
	v_add_f64_e32 v[16:17], v[14:15], v[12:13]
	s_delay_alu instid0(VALU_DEP_1) | instskip(SKIP_1) | instid1(VALU_DEP_2)
	v_mul_f64_e32 v[18:19], 0x3ff921fb54442d18, v[16:17]
	v_add_f64_e64 v[14:15], v[16:17], -v[14:15]
	v_fma_f64 v[30:31], v[16:17], s[10:11], -v[18:19]
	s_delay_alu instid0(VALU_DEP_2) | instskip(NEXT) | instid1(VALU_DEP_2)
	v_add_f64_e64 v[12:13], v[12:13], -v[14:15]
	v_fmamk_f64 v[14:15], v[16:17], 0x3c91a62633145c07, v[30:31]
	s_delay_alu instid0(VALU_DEP_1) | instskip(NEXT) | instid1(VALU_DEP_1)
	v_fmac_f64_e32 v[14:15], 0x3ff921fb54442d18, v[12:13]
	v_add_f64_e32 v[12:13], v[18:19], v[14:15]
	s_delay_alu instid0(VALU_DEP_1) | instskip(NEXT) | instid1(VALU_DEP_1)
	v_add_f64_e64 v[16:17], v[12:13], -v[18:19]
	v_add_f64_e64 v[14:15], v[14:15], -v[16:17]
	s_and_not1_saveexec_b32 s1, s1
	s_cbranch_execz .LBB5_46
	s_branch .LBB5_45
.LBB5_44:
	s_and_not1_saveexec_b32 s1, s1
	s_cbranch_execz .LBB5_46
.LBB5_45:
	s_mov_b64 s[10:11], 0x3fe45f306dc9c883
	s_delay_alu instid0(SALU_CYCLE_1) | instskip(SKIP_1) | instid1(VALU_DEP_1)
	v_mul_f64_e64 v[12:13], |v[10:11]|, s[10:11]
	s_mov_b64 s[10:11], 0xbff921fb54442d18
	v_rndne_f64_e32 v[16:17], v[12:13]
	s_delay_alu instid0(VALU_DEP_1) | instskip(SKIP_2) | instid1(VALU_DEP_3)
	v_fma_f64 v[12:13], v[16:17], s[10:11], |v[10:11]|
	v_mul_f64_e32 v[14:15], 0xbc91a62633145c00, v[16:17]
	v_cvt_i32_f64_e32 v1, v[16:17]
	v_fmamk_f64 v[32:33], v[16:17], 0xbc91a62633145c00, v[12:13]
	s_delay_alu instid0(VALU_DEP_3) | instskip(NEXT) | instid1(VALU_DEP_1)
	v_add_f64_e32 v[18:19], v[12:13], v[14:15]
	v_add_f64_e64 v[30:31], v[12:13], -v[18:19]
	s_delay_alu instid0(VALU_DEP_3) | instskip(NEXT) | instid1(VALU_DEP_2)
	v_add_f64_e64 v[12:13], v[18:19], -v[32:33]
	v_add_f64_e32 v[18:19], v[30:31], v[14:15]
	v_fmamk_f64 v[14:15], v[16:17], 0x3c91a62633145c00, v[14:15]
	s_delay_alu instid0(VALU_DEP_2) | instskip(NEXT) | instid1(VALU_DEP_1)
	v_add_f64_e32 v[12:13], v[12:13], v[18:19]
	v_add_f64_e64 v[12:13], v[12:13], -v[14:15]
	s_delay_alu instid0(VALU_DEP_1) | instskip(NEXT) | instid1(VALU_DEP_1)
	v_fmamk_f64 v[14:15], v[16:17], 0xb97b839a252049c0, v[12:13]
	v_add_f64_e32 v[12:13], v[32:33], v[14:15]
	s_delay_alu instid0(VALU_DEP_1) | instskip(NEXT) | instid1(VALU_DEP_1)
	v_add_f64_e64 v[18:19], v[12:13], -v[32:33]
	v_add_f64_e64 v[14:15], v[14:15], -v[18:19]
.LBB5_46:
	s_or_b32 exec_lo, exec_lo, s1
                                        ; implicit-def: $vgpr28
                                        ; implicit-def: $vgpr16_vgpr17
                                        ; implicit-def: $vgpr18_vgpr19
	s_and_saveexec_b32 s1, s0
	s_delay_alu instid0(SALU_CYCLE_1)
	s_xor_b32 s0, exec_lo, s1
	s_cbranch_execz .LBB5_48
; %bb.47:
	v_cmp_le_f64_e64 vcc_lo, 0x7b000000, |v[10:11]|
	s_mov_b64 s[10:11], 0x3ff921fb54442d18
	v_dual_mov_b32 v38, 0 :: v_dual_cndmask_b32 v17, v29, v27
	v_cndmask_b32_e32 v16, v10, v26, vcc_lo
	s_delay_alu instid0(VALU_DEP_1) | instskip(SKIP_2) | instid1(VALU_DEP_3)
	v_mul_f64_e32 v[18:19], v[24:25], v[16:17]
	v_mul_f64_e32 v[26:27], v[22:23], v[16:17]
	;; [unrolled: 1-line block ×3, first 2 shown]
	v_fma_f64 v[24:25], v[24:25], v[16:17], -v[18:19]
	s_delay_alu instid0(VALU_DEP_3) | instskip(NEXT) | instid1(VALU_DEP_3)
	v_fma_f64 v[22:23], v[22:23], v[16:17], -v[26:27]
	v_fma_f64 v[16:17], v[20:21], v[16:17], -v[36:37]
	s_delay_alu instid0(VALU_DEP_3) | instskip(NEXT) | instid1(VALU_DEP_1)
	v_add_f64_e32 v[28:29], v[26:27], v[24:25]
	v_add_f64_e64 v[30:31], v[28:29], -v[26:27]
	v_add_f64_e32 v[34:35], v[18:19], v[28:29]
	s_delay_alu instid0(VALU_DEP_2) | instskip(SKIP_1) | instid1(VALU_DEP_3)
	v_add_f64_e64 v[32:33], v[28:29], -v[30:31]
	v_add_f64_e64 v[24:25], v[24:25], -v[30:31]
	v_ldexp_f64 v[30:31], v[34:35], -2
	s_delay_alu instid0(VALU_DEP_3) | instskip(SKIP_1) | instid1(VALU_DEP_3)
	v_add_f64_e64 v[26:27], v[26:27], -v[32:33]
	v_add_f64_e32 v[32:33], v[36:37], v[22:23]
	v_cmp_neq_f64_e64 vcc_lo, 0x7ff00000, |v[30:31]|
	s_delay_alu instid0(VALU_DEP_3) | instskip(SKIP_1) | instid1(VALU_DEP_1)
	v_add_f64_e32 v[24:25], v[24:25], v[26:27]
	v_fract_f64_e32 v[26:27], v[30:31]
	v_ldexp_f64 v[26:27], v[26:27], 2
	s_delay_alu instid0(VALU_DEP_1) | instskip(SKIP_1) | instid1(VALU_DEP_3)
	v_cndmask_b32_e32 v27, 0, v27, vcc_lo
	v_add_f64_e64 v[18:19], v[34:35], -v[18:19]
	v_cndmask_b32_e32 v26, 0, v26, vcc_lo
	s_delay_alu instid0(VALU_DEP_2) | instskip(SKIP_1) | instid1(VALU_DEP_1)
	v_add_f64_e64 v[18:19], v[28:29], -v[18:19]
	v_add_f64_e32 v[28:29], v[32:33], v[24:25]
	v_add_f64_e32 v[30:31], v[18:19], v[28:29]
	v_add_f64_e64 v[40:41], v[28:29], -v[32:33]
	s_delay_alu instid0(VALU_DEP_2) | instskip(NEXT) | instid1(VALU_DEP_2)
	v_add_f64_e32 v[34:35], v[30:31], v[26:27]
	v_add_f64_e64 v[46:47], v[28:29], -v[40:41]
	v_add_f64_e64 v[24:25], v[24:25], -v[40:41]
	;; [unrolled: 1-line block ×3, first 2 shown]
	s_delay_alu instid0(VALU_DEP_4) | instskip(SKIP_1) | instid1(VALU_DEP_3)
	v_cmp_gt_f64_e32 vcc_lo, 0, v[34:35]
	v_add_f64_e64 v[34:35], v[32:33], -v[36:37]
	v_add_f64_e64 v[18:19], v[28:29], -v[18:19]
	v_cndmask_b32_e64 v39, 0, 0x40100000, vcc_lo
	s_delay_alu instid0(VALU_DEP_3) | instskip(SKIP_2) | instid1(VALU_DEP_4)
	v_add_f64_e64 v[44:45], v[32:33], -v[34:35]
	v_add_f64_e64 v[22:23], v[22:23], -v[34:35]
	;; [unrolled: 1-line block ×3, first 2 shown]
	v_add_f64_e32 v[26:27], v[26:27], v[38:39]
	s_delay_alu instid0(VALU_DEP_4) | instskip(NEXT) | instid1(VALU_DEP_3)
	v_add_f64_e64 v[34:35], v[36:37], -v[44:45]
	v_add_f64_e32 v[24:25], v[24:25], v[32:33]
	s_delay_alu instid0(VALU_DEP_3) | instskip(NEXT) | instid1(VALU_DEP_3)
	v_add_f64_e32 v[42:43], v[30:31], v[26:27]
	v_add_f64_e32 v[22:23], v[22:23], v[34:35]
	s_delay_alu instid0(VALU_DEP_2) | instskip(NEXT) | instid1(VALU_DEP_2)
	v_cvt_i32_f64_e32 v39, v[42:43]
	v_add_f64_e32 v[20:21], v[22:23], v[24:25]
	s_delay_alu instid0(VALU_DEP_2) | instskip(NEXT) | instid1(VALU_DEP_2)
	v_cvt_f64_i32_e32 v[40:41], v39
	v_add_f64_e32 v[16:17], v[16:17], v[20:21]
	s_delay_alu instid0(VALU_DEP_2) | instskip(NEXT) | instid1(VALU_DEP_2)
	v_add_f64_e64 v[26:27], v[26:27], -v[40:41]
	v_add_f64_e32 v[16:17], v[18:19], v[16:17]
	s_delay_alu instid0(VALU_DEP_2) | instskip(NEXT) | instid1(VALU_DEP_1)
	v_add_f64_e32 v[22:23], v[30:31], v[26:27]
	v_add_f64_e64 v[20:21], v[22:23], -v[26:27]
	v_cmp_le_f64_e32 vcc_lo, 0.5, v[22:23]
	s_delay_alu instid0(VALU_DEP_2) | instskip(SKIP_2) | instid1(VALU_DEP_3)
	v_add_f64_e64 v[18:19], v[30:31], -v[20:21]
	v_add_co_ci_u32_e64 v28, null, 0, v39, vcc_lo
	v_cndmask_b32_e64 v39, 0, 0x3ff00000, vcc_lo
	v_add_f64_e32 v[16:17], v[16:17], v[18:19]
	s_delay_alu instid0(VALU_DEP_2) | instskip(NEXT) | instid1(VALU_DEP_1)
	v_add_f64_e64 v[18:19], v[22:23], -v[38:39]
	v_add_f64_e32 v[20:21], v[18:19], v[16:17]
	s_delay_alu instid0(VALU_DEP_1) | instskip(SKIP_1) | instid1(VALU_DEP_2)
	v_mul_f64_e32 v[22:23], 0x3ff921fb54442d18, v[20:21]
	v_add_f64_e64 v[18:19], v[20:21], -v[18:19]
	v_fma_f64 v[24:25], v[20:21], s[10:11], -v[22:23]
	s_delay_alu instid0(VALU_DEP_2) | instskip(NEXT) | instid1(VALU_DEP_2)
	v_add_f64_e64 v[16:17], v[16:17], -v[18:19]
	v_fmamk_f64 v[18:19], v[20:21], 0x3c91a62633145c07, v[24:25]
	s_delay_alu instid0(VALU_DEP_1) | instskip(NEXT) | instid1(VALU_DEP_1)
	v_fmac_f64_e32 v[18:19], 0x3ff921fb54442d18, v[16:17]
	v_add_f64_e32 v[16:17], v[22:23], v[18:19]
	s_delay_alu instid0(VALU_DEP_1) | instskip(NEXT) | instid1(VALU_DEP_1)
	v_add_f64_e64 v[20:21], v[16:17], -v[22:23]
	v_add_f64_e64 v[18:19], v[18:19], -v[20:21]
	s_and_not1_saveexec_b32 s0, s0
	s_cbranch_execnz .LBB5_49
	s_branch .LBB5_50
.LBB5_48:
	s_and_not1_saveexec_b32 s0, s0
	s_cbranch_execz .LBB5_50
.LBB5_49:
	s_mov_b64 s[10:11], 0x3fe45f306dc9c883
	s_delay_alu instid0(SALU_CYCLE_1) | instskip(SKIP_1) | instid1(VALU_DEP_1)
	v_mul_f64_e64 v[16:17], |v[10:11]|, s[10:11]
	s_mov_b64 s[10:11], 0xbff921fb54442d18
	v_rndne_f64_e32 v[20:21], v[16:17]
	s_delay_alu instid0(VALU_DEP_1) | instskip(SKIP_2) | instid1(VALU_DEP_3)
	v_fma_f64 v[16:17], v[20:21], s[10:11], |v[10:11]|
	v_mul_f64_e32 v[18:19], 0xbc91a62633145c00, v[20:21]
	v_cvt_i32_f64_e32 v28, v[20:21]
	v_fmamk_f64 v[26:27], v[20:21], 0xbc91a62633145c00, v[16:17]
	s_delay_alu instid0(VALU_DEP_3) | instskip(NEXT) | instid1(VALU_DEP_1)
	v_add_f64_e32 v[22:23], v[16:17], v[18:19]
	v_add_f64_e64 v[24:25], v[16:17], -v[22:23]
	s_delay_alu instid0(VALU_DEP_3) | instskip(NEXT) | instid1(VALU_DEP_2)
	v_add_f64_e64 v[16:17], v[22:23], -v[26:27]
	v_add_f64_e32 v[22:23], v[24:25], v[18:19]
	v_fmamk_f64 v[18:19], v[20:21], 0x3c91a62633145c00, v[18:19]
	s_delay_alu instid0(VALU_DEP_2) | instskip(NEXT) | instid1(VALU_DEP_1)
	v_add_f64_e32 v[16:17], v[16:17], v[22:23]
	v_add_f64_e64 v[16:17], v[16:17], -v[18:19]
	s_delay_alu instid0(VALU_DEP_1) | instskip(NEXT) | instid1(VALU_DEP_1)
	v_fmamk_f64 v[18:19], v[20:21], 0xb97b839a252049c0, v[16:17]
	v_add_f64_e32 v[16:17], v[26:27], v[18:19]
	s_delay_alu instid0(VALU_DEP_1) | instskip(NEXT) | instid1(VALU_DEP_1)
	v_add_f64_e64 v[22:23], v[16:17], -v[26:27]
	v_add_f64_e64 v[18:19], v[18:19], -v[22:23]
.LBB5_50:
	s_or_b32 exec_lo, exec_lo, s0
	v_div_scale_f64 v[20:21], null, v[2:3], v[2:3], 0x40140000
	v_div_scale_f64 v[26:27], vcc_lo, 0x40140000, v[2:3], 0x40140000
	v_cmp_gt_f64_e64 s0, 0x10000000, v[2:3]
	v_mov_b64_e32 v[44:45], 0xbe5ae600b42fdfa7
	v_mov_b64_e32 v[52:53], 0x3ec71de3796cde01
	;; [unrolled: 1-line block ×4, first 2 shown]
	v_mul_f64_e32 v[68:69], 0.5, v[18:19]
	v_mov_b64_e32 v[62:63], 0x3efa01a019f4ec90
	v_mov_b64_e32 v[76:77], 0x3fa5555555555555
	v_rcp_f64_e32 v[22:23], v[20:21]
	v_cndmask_b32_e64 v29, 0, 0x100, s0
	s_delay_alu instid0(TRANS32_DEP_1) | instskip(NEXT) | instid1(VALU_DEP_1)
	v_fma_f64 v[24:25], -v[20:21], v[22:23], 1.0
	v_fmac_f64_e32 v[22:23], v[22:23], v[24:25]
	s_delay_alu instid0(VALU_DEP_1) | instskip(NEXT) | instid1(VALU_DEP_1)
	v_fma_f64 v[24:25], -v[20:21], v[22:23], 1.0
	v_fmac_f64_e32 v[22:23], v[22:23], v[24:25]
	s_delay_alu instid0(VALU_DEP_1) | instskip(NEXT) | instid1(VALU_DEP_1)
	v_mul_f64_e32 v[24:25], v[26:27], v[22:23]
	v_fma_f64 v[20:21], -v[20:21], v[24:25], v[26:27]
	s_delay_alu instid0(VALU_DEP_1) | instskip(NEXT) | instid1(VALU_DEP_1)
	v_div_fmas_f64 v[20:21], v[20:21], v[22:23], v[24:25]
	v_div_fixup_f64 v[20:21], v[20:21], v[2:3], 0x40140000
	v_ldexp_f64 v[2:3], v[2:3], v29
	v_mul_f64_e32 v[36:37], v[12:13], v[12:13]
	v_mul_f64_e32 v[38:39], v[16:17], v[16:17]
	v_and_b32_e32 v29, 1, v28
	v_mul_f64_e32 v[22:23], v[20:21], v[20:21]
	v_rsq_f64_e32 v[64:65], v[2:3]
	s_delay_alu instid0(VALU_DEP_4) | instskip(NEXT) | instid1(VALU_DEP_4)
	v_fmamk_f64 v[46:47], v[36:37], 0x3de5e0b2f9a43bb8, v[44:45]
	v_fmac_f64_e32 v[44:45], 0x3de5e0b2f9a43bb8, v[38:39]
	v_mul_f64_e32 v[56:57], 0.5, v[38:39]
	v_mul_f64_e64 v[70:71], v[16:17], -v[38:39]
	v_mul_f64_e32 v[82:83], v[38:39], v[38:39]
	v_mul_f64_e64 v[78:79], v[12:13], -v[36:37]
	v_fmaak_f64 v[24:25], 0, v[22:23], 0x3f42b89b13443d69
	v_fmaak_f64 v[26:27], 0, v[22:23], 0x3f48f92c4c6c651b
	v_fmaak_f64 v[30:31], 0, v[22:23], 0x3faa27fa6b70ba40
	v_fmaak_f64 v[32:33], 0, v[22:23], 0x40528f3060895077
	v_fmac_f64_e32 v[52:53], v[38:39], v[44:45]
	v_fmamk_f64 v[44:45], v[36:37], 0xbda907db46cc5e42, v[54:55]
	v_fmac_f64_e32 v[54:55], 0xbda907db46cc5e42, v[38:39]
	v_fmaak_f64 v[24:25], v[22:23], v[24:25], 0x3fb19fdd5948aa83
	v_fmaak_f64 v[26:27], v[22:23], v[26:27], 0x3fb2b948a3fec4b6
	;; [unrolled: 1-line block ×4, first 2 shown]
	s_delay_alu instid0(VALU_DEP_4) | instskip(NEXT) | instid1(VALU_DEP_4)
	v_fmaak_f64 v[24:25], v[22:23], v[24:25], 0x3ff1aea9b850eed6
	v_fmaak_f64 v[26:27], v[22:23], v[26:27], 0x3ff208fec21596d6
	s_delay_alu instid0(VALU_DEP_4) | instskip(NEXT) | instid1(VALU_DEP_4)
	v_fmaak_f64 v[30:31], v[22:23], v[30:31], 0x4052f4b99acf1c67
	v_fmaak_f64 v[32:33], v[22:23], v[32:33], 0x40b37a691bfdfe81
	;; [unrolled: 3-line block ×8, first 2 shown]
	s_delay_alu instid0(VALU_DEP_4) | instskip(NEXT) | instid1(VALU_DEP_4)
	v_fma_f64 v[24:25], v[22:23], v[24:25], 1.0
	v_fma_f64 v[26:27], v[22:23], v[26:27], 1.0
	s_delay_alu instid0(VALU_DEP_4) | instskip(NEXT) | instid1(VALU_DEP_4)
	v_fmaak_f64 v[30:31], v[22:23], v[30:31], 0x406a760a4c54bb0b
	v_fmaak_f64 v[32:33], v[22:23], v[32:33], 0x4075017f6ae75997
	s_delay_alu instid0(VALU_DEP_2) | instskip(NEXT) | instid1(VALU_DEP_1)
	v_fmaak_f64 v[22:23], v[22:23], v[30:31], 0x403934ff4d159eb5
	v_div_scale_f64 v[34:35], null, v[32:33], v[32:33], v[22:23]
	v_div_scale_f64 v[30:31], null, v[24:25], v[24:25], v[26:27]
	s_delay_alu instid0(VALU_DEP_2) | instskip(NEXT) | instid1(VALU_DEP_1)
	v_rcp_f64_e32 v[42:43], v[34:35]
	v_rcp_f64_e32 v[40:41], v[30:31]
	s_delay_alu instid0(TRANS32_DEP_2) | instskip(NEXT) | instid1(TRANS32_DEP_1)
	v_fma_f64 v[50:51], -v[34:35], v[42:43], 1.0
	v_fma_f64 v[48:49], -v[30:31], v[40:41], 1.0
	s_delay_alu instid0(VALU_DEP_2) | instskip(SKIP_1) | instid1(VALU_DEP_1)
	v_fmac_f64_e32 v[42:43], v[42:43], v[50:51]
	v_mov_b64_e32 v[50:51], 0xbe927e4fa17f65f6
	v_fmac_f64_e32 v[50:51], v[38:39], v[54:55]
	s_delay_alu instid0(VALU_DEP_4) | instskip(SKIP_1) | instid1(VALU_DEP_1)
	v_fmac_f64_e32 v[40:41], v[40:41], v[48:49]
	v_mov_b64_e32 v[48:49], 0xbf2a01a019e83e5c
	v_fmac_f64_e32 v[48:49], v[38:39], v[52:53]
	v_add_f64_e64 v[52:53], -v[56:57], 1.0
	v_fma_f64 v[58:59], -v[34:35], v[42:43], 1.0
	v_fmac_f64_e32 v[62:63], v[38:39], v[50:51]
	v_div_scale_f64 v[50:51], vcc_lo, v[26:27], v[24:25], v[26:27]
	v_fma_f64 v[54:55], -v[30:31], v[40:41], 1.0
	v_fmac_f64_e32 v[60:61], v[38:39], v[48:49]
	v_add_f64_e64 v[48:49], -v[52:53], 1.0
	v_fmac_f64_e32 v[42:43], v[42:43], v[58:59]
	v_mov_b64_e32 v[58:59], 0xbf56c16c16c16967
	s_delay_alu instid0(VALU_DEP_1)
	v_fmac_f64_e32 v[58:59], v[38:39], v[62:63]
	v_fmac_f64_e32 v[40:41], v[40:41], v[54:55]
	v_div_scale_f64 v[54:55], s1, v[22:23], v[32:33], v[22:23]
	v_fmac_f64_e32 v[68:69], v[70:71], v[60:61]
	v_add_f64_e64 v[48:49], v[48:49], -v[56:57]
	v_fmac_f64_e32 v[76:77], v[38:39], v[58:59]
	v_mul_f64_e32 v[56:57], v[50:51], v[40:41]
	v_mul_f64_e32 v[62:63], v[54:55], v[42:43]
	v_fma_f64 v[68:69], v[38:39], v[68:69], -v[18:19]
	v_fma_f64 v[18:19], v[16:17], -v[18:19], v[48:49]
	v_fmaak_f64 v[38:39], v[36:37], v[46:47], 0x3ec71de3796cde01
	s_delay_alu instid0(VALU_DEP_1) | instskip(NEXT) | instid1(VALU_DEP_1)
	v_fmaak_f64 v[38:39], v[36:37], v[38:39], 0xbf2a01a019e83e5c
	v_fmaak_f64 v[38:39], v[36:37], v[38:39], 0x3f81111111110bb3
	v_fma_f64 v[30:31], -v[30:31], v[56:57], v[50:51]
	v_fma_f64 v[34:35], -v[34:35], v[62:63], v[54:55]
	v_fmac_f64_e32 v[68:69], 0xbfc5555555555555, v[70:71]
	v_fmac_f64_e32 v[18:19], v[82:83], v[76:77]
	s_delay_alu instid0(VALU_DEP_4)
	v_div_fmas_f64 v[30:31], v[30:31], v[40:41], v[56:57]
	s_mov_b32 vcc_lo, s1
	v_mul_f64_e32 v[40:41], v[36:37], v[36:37]
	v_div_fmas_f64 v[34:35], v[34:35], v[42:43], v[62:63]
	v_cmp_eq_u32_e32 vcc_lo, 0, v29
	v_add_f64_e64 v[16:17], v[16:17], -v[68:69]
	v_add_f64_e32 v[18:19], v[52:53], v[18:19]
	v_mul_f64_e32 v[60:61], v[2:3], v[64:65]
	v_mul_f64_e32 v[64:65], 0.5, v[64:65]
	v_div_fixup_f64 v[22:23], v[34:35], v[32:33], v[22:23]
	v_xor_b32_e32 v17, 0x80000000, v17
	v_dual_mul_f64 v[66:67], 0.5, v[36:37] :: v_dual_cndmask_b32 v29, v16, v18, vcc_lo
	s_delay_alu instid0(VALU_DEP_4) | instskip(NEXT) | instid1(VALU_DEP_3)
	v_fma_f64 v[84:85], -v[64:65], v[60:61], 0.5
	v_cndmask_b32_e32 v19, v17, v19, vcc_lo
	v_cmp_class_f64_e64 vcc_lo, v[10:11], 0x1f8
	v_lshlrev_b32_e32 v10, 30, v28
	s_delay_alu instid0(VALU_DEP_1)
	v_bitop3_b32 v10, v19, v10, 0x80000000 bitop3:0x78
	v_mul_f64_e32 v[16:17], v[20:21], v[22:23]
	v_div_fixup_f64 v[22:23], v[30:31], v[24:25], v[26:27]
	v_add_f64_e64 v[72:73], -v[66:67], 1.0
	v_fmac_f64_e32 v[60:61], v[60:61], v[84:85]
	v_fmac_f64_e32 v[64:65], v[64:65], v[84:85]
	v_dual_cndmask_b32 v21, 0x7ff80000, v10 :: v_dual_lshlrev_b32 v10, 30, v1
	v_and_b32_e32 v1, 1, v1
	s_delay_alu instid0(VALU_DEP_2) | instskip(NEXT) | instid1(VALU_DEP_2)
	v_dual_cndmask_b32 v20, 0, v29, vcc_lo :: v_dual_bitop2_b32 v10, v10, v11 bitop3:0x14
	v_cmp_eq_u32_e64 s1, 0, v1
	v_mul_f64_e32 v[74:75], 0.5, v[14:15]
	s_delay_alu instid0(VALU_DEP_3) | instskip(SKIP_1) | instid1(VALU_DEP_3)
	v_mul_f64_e32 v[16:17], v[16:17], v[20:21]
	v_add_f64_e64 v[80:81], -v[72:73], 1.0
	v_fmac_f64_e32 v[74:75], v[78:79], v[38:39]
	s_delay_alu instid0(VALU_DEP_2) | instskip(NEXT) | instid1(VALU_DEP_2)
	v_add_f64_e64 v[38:39], v[80:81], -v[66:67]
	v_fma_f64 v[42:43], v[36:37], v[74:75], -v[14:15]
	s_delay_alu instid0(VALU_DEP_2) | instskip(SKIP_2) | instid1(VALU_DEP_2)
	v_fma_f64 v[14:15], v[12:13], -v[14:15], v[38:39]
	v_fmaak_f64 v[38:39], v[36:37], v[44:45], 0xbe927e4fa17f65f6
	v_fma_f64 v[44:45], -v[60:61], v[60:61], v[2:3]
	v_fmaak_f64 v[38:39], v[36:37], v[38:39], 0x3efa01a019f4ec90
	v_fmac_f64_e32 v[42:43], 0xbfc5555555555555, v[78:79]
	s_delay_alu instid0(VALU_DEP_2) | instskip(NEXT) | instid1(VALU_DEP_1)
	v_fmaak_f64 v[32:33], v[36:37], v[38:39], 0xbf56c16c16c16967
	v_fmaak_f64 v[32:33], v[36:37], v[32:33], 0x3fa5555555555555
	s_delay_alu instid0(VALU_DEP_1) | instskip(SKIP_2) | instid1(VALU_DEP_3)
	v_fmac_f64_e32 v[14:15], v[40:41], v[32:33]
	v_fmac_f64_e32 v[60:61], v[44:45], v[64:65]
	v_add_f64_e64 v[12:13], v[12:13], -v[42:43]
	v_add_f64_e32 v[14:15], v[72:73], v[14:15]
	s_delay_alu instid0(VALU_DEP_3) | instskip(NEXT) | instid1(VALU_DEP_2)
	v_fma_f64 v[18:19], -v[60:61], v[60:61], v[2:3]
	v_dual_cndmask_b32 v1, v15, v13, s1 :: v_dual_cndmask_b32 v11, v14, v12, s1
	s_delay_alu instid0(VALU_DEP_2) | instskip(NEXT) | instid1(VALU_DEP_2)
	v_fmac_f64_e32 v[60:61], v[18:19], v[64:65]
	v_bitop3_b32 v1, v1, v10, 0x80000000 bitop3:0x78
	s_delay_alu instid0(VALU_DEP_3) | instskip(NEXT) | instid1(VALU_DEP_2)
	v_cndmask_b32_e32 v10, 0, v11, vcc_lo
	v_cndmask_b32_e32 v11, 0x7ff80000, v1, vcc_lo
	v_cndmask_b32_e64 v1, 0, 0xffffff80, s0
	v_cmp_class_f64_e64 vcc_lo, v[2:3], 0x260
	s_delay_alu instid0(VALU_DEP_3) | instskip(NEXT) | instid1(VALU_DEP_3)
	v_fmac_f64_e32 v[16:17], v[22:23], v[10:11]
	v_ldexp_f64 v[10:11], v[60:61], v1
	s_delay_alu instid0(VALU_DEP_2) | instskip(NEXT) | instid1(VALU_DEP_2)
	v_mul_f64_e32 v[12:13], 0x3fe9884533d43651, v[16:17]
	v_dual_cndmask_b32 v3, v11, v3 :: v_dual_cndmask_b32 v2, v10, v2
	s_delay_alu instid0(VALU_DEP_1) | instskip(NEXT) | instid1(VALU_DEP_1)
	v_div_scale_f64 v[10:11], null, v[2:3], v[2:3], v[12:13]
	v_rcp_f64_e32 v[14:15], v[10:11]
	v_nop
	s_delay_alu instid0(TRANS32_DEP_1) | instskip(NEXT) | instid1(VALU_DEP_1)
	v_fma_f64 v[16:17], -v[10:11], v[14:15], 1.0
	v_fmac_f64_e32 v[14:15], v[14:15], v[16:17]
	s_delay_alu instid0(VALU_DEP_1) | instskip(NEXT) | instid1(VALU_DEP_1)
	v_fma_f64 v[16:17], -v[10:11], v[14:15], 1.0
	v_fmac_f64_e32 v[14:15], v[14:15], v[16:17]
	v_div_scale_f64 v[16:17], vcc_lo, v[12:13], v[2:3], v[12:13]
	s_delay_alu instid0(VALU_DEP_1) | instskip(NEXT) | instid1(VALU_DEP_1)
	v_mul_f64_e32 v[18:19], v[16:17], v[14:15]
	v_fma_f64 v[10:11], -v[10:11], v[18:19], v[16:17]
	s_delay_alu instid0(VALU_DEP_1) | instskip(NEXT) | instid1(VALU_DEP_1)
	v_div_fmas_f64 v[10:11], v[10:11], v[14:15], v[18:19]
	v_div_fixup_f64 v[10:11], v[10:11], v[2:3], v[12:13]
.LBB5_51:
	s_or_b32 exec_lo, exec_lo, s2
	s_delay_alu instid0(SALU_CYCLE_1)
	s_mov_b32 s0, exec_lo
	v_cmpx_ge_f64_e32 0x40140000, v[4:5]
	s_xor_b32 s1, exec_lo, s0
	s_cbranch_execz .LBB5_57
; %bb.52:
	v_mov_b64_e32 v[12:13], 0xfff0000000000000
	s_mov_b32 s2, exec_lo
	v_cmpx_neq_f64_e32 0, v[4:5]
	s_cbranch_execz .LBB5_56
; %bb.53:
	v_mov_b64_e32 v[12:13], 0x7ff8000000000000
	s_mov_b32 s10, exec_lo
	v_cmpx_nge_f64_e32 0, v[4:5]
	s_cbranch_execz .LBB5_55
; %bb.54:
	v_frexp_mant_f64_e32 v[2:3], v[4:5]
	s_mov_b64 s[12:13], 0x3fe5555555555555
	s_delay_alu instid0(VALU_DEP_1) | instid1(SALU_CYCLE_1)
	v_cmp_gt_f64_e32 vcc_lo, s[12:13], v[2:3]
	s_mov_b64 s[12:13], 0x3fc3ab76bf559e2b
	v_cndmask_b32_e64 v1, 0, 1, vcc_lo
	s_delay_alu instid0(VALU_DEP_1) | instskip(SKIP_1) | instid1(VALU_DEP_2)
	v_ldexp_f64 v[2:3], v[2:3], v1
	v_frexp_exp_i32_f64_e32 v1, v[4:5]
	v_add_f64_e32 v[12:13], 1.0, v[2:3]
	v_add_f64_e32 v[18:19], -1.0, v[2:3]
	s_delay_alu instid0(VALU_DEP_3) | instskip(NEXT) | instid1(VALU_DEP_3)
	v_subrev_co_ci_u32_e64 v1, null, 0, v1, vcc_lo
	v_rcp_f64_e32 v[14:15], v[12:13]
	v_add_f64_e32 v[20:21], -1.0, v[12:13]
	s_delay_alu instid0(VALU_DEP_1) | instskip(NEXT) | instid1(TRANS32_DEP_1)
	v_add_f64_e64 v[2:3], v[2:3], -v[20:21]
	v_fma_f64 v[16:17], -v[12:13], v[14:15], 1.0
	s_delay_alu instid0(VALU_DEP_1) | instskip(NEXT) | instid1(VALU_DEP_1)
	v_fmac_f64_e32 v[14:15], v[16:17], v[14:15]
	v_fma_f64 v[16:17], -v[12:13], v[14:15], 1.0
	s_delay_alu instid0(VALU_DEP_1) | instskip(NEXT) | instid1(VALU_DEP_1)
	v_fmac_f64_e32 v[14:15], v[16:17], v[14:15]
	v_mul_f64_e32 v[16:17], v[18:19], v[14:15]
	s_delay_alu instid0(VALU_DEP_1) | instskip(NEXT) | instid1(VALU_DEP_1)
	v_mul_f64_e32 v[22:23], v[12:13], v[16:17]
	v_fma_f64 v[12:13], v[16:17], v[12:13], -v[22:23]
	s_delay_alu instid0(VALU_DEP_1) | instskip(NEXT) | instid1(VALU_DEP_1)
	v_fmac_f64_e32 v[12:13], v[16:17], v[2:3]
	v_add_f64_e32 v[2:3], v[22:23], v[12:13]
	s_delay_alu instid0(VALU_DEP_1) | instskip(SKIP_1) | instid1(VALU_DEP_2)
	v_add_f64_e64 v[20:21], v[18:19], -v[2:3]
	v_add_f64_e64 v[22:23], v[2:3], -v[22:23]
	;; [unrolled: 1-line block ×3, first 2 shown]
	s_delay_alu instid0(VALU_DEP_2) | instskip(SKIP_1) | instid1(VALU_DEP_3)
	v_add_f64_e64 v[12:13], v[22:23], -v[12:13]
	v_cvt_f64_i32_e32 v[22:23], v1
	v_add_f64_e64 v[2:3], v[18:19], -v[2:3]
	s_delay_alu instid0(VALU_DEP_2) | instskip(NEXT) | instid1(VALU_DEP_2)
	v_mul_f64_e32 v[28:29], 0x3fe62e42fefa39ef, v[22:23]
	v_add_f64_e32 v[2:3], v[12:13], v[2:3]
	s_delay_alu instid0(VALU_DEP_1) | instskip(NEXT) | instid1(VALU_DEP_1)
	v_add_f64_e32 v[2:3], v[20:21], v[2:3]
	v_mul_f64_e32 v[2:3], v[14:15], v[2:3]
	s_delay_alu instid0(VALU_DEP_1) | instskip(NEXT) | instid1(VALU_DEP_1)
	v_add_f64_e32 v[12:13], v[16:17], v[2:3]
	v_mul_f64_e32 v[14:15], v[12:13], v[12:13]
	s_delay_alu instid0(VALU_DEP_1) | instskip(SKIP_2) | instid1(SALU_CYCLE_1)
	v_fmaak_f64 v[18:19], s[12:13], v[14:15], 0x3fc385386b47b09a
	v_mul_f64_e32 v[20:21], v[12:13], v[14:15]
	s_mov_b64 s[12:13], 0x3fe62e42fefa39ef
	v_fma_f64 v[32:33], v[22:23], s[12:13], -v[28:29]
	s_delay_alu instid0(VALU_DEP_3) | instskip(NEXT) | instid1(VALU_DEP_1)
	v_fmaak_f64 v[18:19], v[14:15], v[18:19], 0x3fc7474dd7f4df2e
	v_fmaak_f64 v[18:19], v[14:15], v[18:19], 0x3fcc71c016291751
	s_delay_alu instid0(VALU_DEP_1) | instskip(NEXT) | instid1(VALU_DEP_1)
	v_fmaak_f64 v[18:19], v[14:15], v[18:19], 0x3fd249249b27acf1
	v_fmaak_f64 v[18:19], v[14:15], v[18:19], 0x3fd99999998ef7b6
	s_delay_alu instid0(VALU_DEP_1) | instskip(SKIP_3) | instid1(VALU_DEP_4)
	v_fmaak_f64 v[14:15], v[14:15], v[18:19], 0x3fe5555555555780
	v_ldexp_f64 v[18:19], v[12:13], 1
	v_add_f64_e64 v[12:13], v[12:13], -v[16:17]
	v_fmamk_f64 v[22:23], v[22:23], 0x3c7abc9e3b39803f, v[32:33]
	v_mul_f64_e32 v[14:15], v[20:21], v[14:15]
	v_mul_f64_e32 v[20:21], v[4:5], v[4:5]
	s_delay_alu instid0(VALU_DEP_3) | instskip(SKIP_1) | instid1(VALU_DEP_4)
	v_add_f64_e32 v[32:33], v[28:29], v[22:23]
	v_add_f64_e64 v[2:3], v[2:3], -v[12:13]
	v_add_f64_e32 v[16:17], v[18:19], v[14:15]
	s_delay_alu instid0(VALU_DEP_4)
	v_fmaak_f64 v[24:25], 0, v[20:21], 0x40829269a93f7ac2
	v_fmaak_f64 v[26:27], 0, v[20:21], 0x408366b11b7086e7
	;; [unrolled: 1-line block ×3, first 2 shown]
	v_add_f64_e64 v[28:29], v[32:33], -v[28:29]
	v_ldexp_f64 v[2:3], v[2:3], 1
	v_add_f64_e64 v[12:13], v[16:17], -v[18:19]
	v_fmaak_f64 v[18:19], v[20:21], v[24:25], 0x410cc160be58ef7f
	v_fmaak_f64 v[24:25], v[20:21], v[26:27], 0x410f5eda0dd701b2
	;; [unrolled: 1-line block ×3, first 2 shown]
	v_add_f64_e64 v[22:23], v[22:23], -v[28:29]
	s_delay_alu instid0(VALU_DEP_4) | instskip(NEXT) | instid1(VALU_DEP_4)
	v_fmaak_f64 v[18:19], v[20:21], v[18:19], 0x419184efa9c8acee
	v_fmaak_f64 v[24:25], v[20:21], v[24:25], 0x4193e954dc92a1b1
	s_delay_alu instid0(VALU_DEP_4) | instskip(NEXT) | instid1(VALU_DEP_3)
	v_fmaak_f64 v[26:27], v[20:21], v[26:27], 0xc262d72d58836521
	v_fmaak_f64 v[18:19], v[20:21], v[18:19], 0x421178c3906b7b83
	s_delay_alu instid0(VALU_DEP_3) | instskip(NEXT) | instid1(VALU_DEP_3)
	v_fmaak_f64 v[24:25], v[20:21], v[24:25], 0x4214a13f7befeac1
	v_fmaak_f64 v[26:27], v[20:21], v[26:27], 0x42da0954b0910fef
	s_delay_alu instid0(VALU_DEP_3) | instskip(NEXT) | instid1(VALU_DEP_3)
	;; [unrolled: 3-line block ×4, first 2 shown]
	v_fmaak_f64 v[24:25], v[20:21], v[24:25], 0x43064b0a3eccf45f
	v_fmaak_f64 v[26:27], v[20:21], v[26:27], 0x438679ad0b7366b1
	v_add_f64_e64 v[12:13], v[14:15], -v[12:13]
	v_fmaak_f64 v[14:15], v[20:21], v[30:31], 0x425a52ba0d438c6b
	v_fmaak_f64 v[18:19], v[20:21], v[18:19], 0x436e83e3c547a488
	;; [unrolled: 1-line block ×4, first 2 shown]
	s_delay_alu instid0(VALU_DEP_4) | instskip(NEXT) | instid1(VALU_DEP_4)
	v_fmaak_f64 v[14:15], v[20:21], v[14:15], 0xc2d08a92e6ccf175
	v_fmaak_f64 v[18:19], v[20:21], v[18:19], 0x43cb90f190f6747f
	s_delay_alu instid0(VALU_DEP_2) | instskip(SKIP_1) | instid1(VALU_DEP_3)
	v_fmaak_f64 v[14:15], v[20:21], v[14:15], 0x432a2b42a697c482
	v_fmaak_f64 v[20:21], v[20:21], v[24:25], 0x43d2779576702939
	v_div_scale_f64 v[24:25], null, v[18:19], v[18:19], v[26:27]
	v_div_scale_f64 v[52:53], vcc_lo, v[26:27], v[18:19], v[26:27]
	s_delay_alu instid0(VALU_DEP_3) | instskip(SKIP_1) | instid1(VALU_DEP_4)
	v_div_scale_f64 v[30:31], null, v[20:21], v[20:21], v[14:15]
	v_add_f64_e32 v[2:3], v[2:3], v[12:13]
	v_rcp_f64_e32 v[12:13], v[24:25]
	s_delay_alu instid0(VALU_DEP_2) | instskip(NEXT) | instid1(VALU_DEP_1)
	v_rcp_f64_e32 v[34:35], v[30:31]
	v_add_f64_e32 v[36:37], v[16:17], v[2:3]
	s_delay_alu instid0(TRANS32_DEP_2) | instskip(NEXT) | instid1(TRANS32_DEP_1)
	v_fma_f64 v[38:39], -v[24:25], v[12:13], 1.0
	v_fma_f64 v[40:41], -v[30:31], v[34:35], 1.0
	s_delay_alu instid0(VALU_DEP_3) | instskip(SKIP_1) | instid1(VALU_DEP_4)
	v_add_f64_e32 v[42:43], v[32:33], v[36:37]
	v_add_f64_e64 v[16:17], v[36:37], -v[16:17]
	v_fmac_f64_e32 v[12:13], v[12:13], v[38:39]
	v_div_scale_f64 v[38:39], null, v[4:5], v[4:5], -1.0
	v_fmac_f64_e32 v[34:35], v[34:35], v[40:41]
	v_add_f64_e64 v[40:41], v[42:43], -v[32:33]
	v_add_f64_e64 v[2:3], v[2:3], -v[16:17]
	v_fma_f64 v[44:45], -v[24:25], v[12:13], 1.0
	v_rcp_f64_e32 v[46:47], v[38:39]
	s_delay_alu instid0(VALU_DEP_4) | instskip(NEXT) | instid1(VALU_DEP_4)
	v_fma_f64 v[48:49], -v[30:31], v[34:35], 1.0
	v_add_f64_e64 v[50:51], v[42:43], -v[40:41]
	v_add_f64_e64 v[16:17], v[36:37], -v[40:41]
	s_delay_alu instid0(VALU_DEP_4) | instskip(SKIP_4) | instid1(TRANS32_DEP_1)
	v_fmac_f64_e32 v[12:13], v[12:13], v[44:45]
	v_div_scale_f64 v[44:45], s0, v[14:15], v[20:21], v[14:15]
	v_fmac_f64_e32 v[34:35], v[34:35], v[48:49]
	v_add_f64_e32 v[48:49], v[22:23], v[2:3]
	v_add_f64_e64 v[28:29], v[32:33], -v[50:51]
	v_fma_f64 v[32:33], -v[38:39], v[46:47], 1.0
	v_mul_f64_e32 v[36:37], v[52:53], v[12:13]
	v_mul_f64_e32 v[40:41], v[44:45], v[34:35]
	s_delay_alu instid0(VALU_DEP_4) | instskip(NEXT) | instid1(VALU_DEP_4)
	v_add_f64_e32 v[16:17], v[16:17], v[28:29]
	v_fmac_f64_e32 v[46:47], v[46:47], v[32:33]
	s_delay_alu instid0(VALU_DEP_4) | instskip(NEXT) | instid1(VALU_DEP_4)
	v_fma_f64 v[24:25], -v[24:25], v[36:37], v[52:53]
	v_fma_f64 v[28:29], -v[30:31], v[40:41], v[44:45]
	v_add_f64_e64 v[30:31], v[48:49], -v[22:23]
	v_add_f64_e32 v[16:17], v[48:49], v[16:17]
	v_fma_f64 v[32:33], -v[38:39], v[46:47], 1.0
	v_div_fmas_f64 v[12:13], v[24:25], v[12:13], v[36:37]
	s_mov_b32 vcc_lo, s0
	v_div_fmas_f64 v[24:25], v[28:29], v[34:35], v[40:41]
	v_add_f64_e64 v[28:29], v[48:49], -v[30:31]
	v_div_scale_f64 v[36:37], vcc_lo, -1.0, v[4:5], -1.0
	v_add_f64_e32 v[34:35], v[42:43], v[16:17]
	v_fmac_f64_e32 v[46:47], v[46:47], v[32:33]
	v_add_f64_e64 v[2:3], v[2:3], -v[30:31]
	v_div_fixup_f64 v[14:15], v[24:25], v[20:21], v[14:15]
	v_add_f64_e64 v[20:21], v[22:23], -v[28:29]
	v_add_f64_e64 v[22:23], v[34:35], -v[42:43]
	v_mul_f64_e32 v[24:25], v[36:37], v[46:47]
	s_delay_alu instid0(VALU_DEP_4) | instskip(NEXT) | instid1(VALU_DEP_4)
	v_mul_f64_e32 v[14:15], v[4:5], v[14:15]
	v_add_f64_e32 v[2:3], v[2:3], v[20:21]
	s_delay_alu instid0(VALU_DEP_4) | instskip(NEXT) | instid1(VALU_DEP_4)
	v_add_f64_e64 v[16:17], v[16:17], -v[22:23]
	v_fma_f64 v[20:21], -v[38:39], v[24:25], v[36:37]
	v_fmaak_f64 v[22:23], v[4:5], v[4:5], 0xc02d5d2b4189822c
	s_delay_alu instid0(VALU_DEP_1) | instskip(NEXT) | instid1(VALU_DEP_4)
	v_mul_f64_e32 v[14:15], v[22:23], v[14:15]
	v_add_f64_e32 v[2:3], v[2:3], v[16:17]
	s_delay_alu instid0(VALU_DEP_4) | instskip(SKIP_1) | instid1(VALU_DEP_1)
	v_div_fmas_f64 v[16:17], v[20:21], v[46:47], v[24:25]
	v_fmaak_f64 v[20:21], v[4:5], v[4:5], 0xc0489bf66072a432
	v_mul_f64_e32 v[14:15], v[20:21], v[14:15]
	s_delay_alu instid0(VALU_DEP_4) | instskip(NEXT) | instid1(VALU_DEP_4)
	v_add_f64_e32 v[2:3], v[34:35], v[2:3]
	v_div_fixup_f64 v[16:17], v[16:17], v[4:5], -1.0
	s_delay_alu instid0(VALU_DEP_1) | instskip(SKIP_1) | instid1(VALU_DEP_2)
	v_fmac_f64_e32 v[16:17], v[14:15], v[2:3]
	v_div_fixup_f64 v[2:3], v[12:13], v[18:19], v[26:27]
	v_mul_f64_e32 v[12:13], 0x3fe45f306dc9c883, v[16:17]
	s_delay_alu instid0(VALU_DEP_1)
	v_fmac_f64_e32 v[12:13], v[4:5], v[2:3]
.LBB5_55:
	s_or_b32 exec_lo, exec_lo, s10
.LBB5_56:
	s_delay_alu instid0(SALU_CYCLE_1)
	s_or_b32 exec_lo, exec_lo, s2
                                        ; implicit-def: $vgpr4_vgpr5
.LBB5_57:
	s_and_not1_saveexec_b32 s2, s1
	s_cbranch_execz .LBB5_67
; %bb.58:
	v_add_f64_e32 v[2:3], 0xc002d97c7f3321d2, v[4:5]
                                        ; implicit-def: $vgpr1
                                        ; implicit-def: $vgpr12_vgpr13
                                        ; implicit-def: $vgpr14_vgpr15
	s_delay_alu instid0(VALU_DEP_1)
	v_cmp_ngt_f64_e64 s0, 0x41d00000, |v[2:3]|
	v_trig_preop_f64 v[24:25], |v[2:3]|, 0
	v_trig_preop_f64 v[22:23], |v[2:3]|, 1
	v_ldexp_f64 v[26:27], |v[2:3]|, 0xffffff80
	v_trig_preop_f64 v[20:21], |v[2:3]|, 2
	v_and_b32_e32 v29, 0x7fffffff, v3
	s_and_saveexec_b32 s1, s0
	s_delay_alu instid0(SALU_CYCLE_1)
	s_xor_b32 s1, exec_lo, s1
	s_cbranch_execz .LBB5_60
; %bb.59:
	v_cmp_le_f64_e64 vcc_lo, 0x7b000000, |v[2:3]|
	s_mov_b64 s[10:11], 0x3ff921fb54442d18
	v_dual_mov_b32 v42, 0 :: v_dual_cndmask_b32 v13, v29, v27
	v_cndmask_b32_e32 v12, v2, v26, vcc_lo
	s_delay_alu instid0(VALU_DEP_1) | instskip(SKIP_2) | instid1(VALU_DEP_3)
	v_mul_f64_e32 v[14:15], v[24:25], v[12:13]
	v_mul_f64_e32 v[16:17], v[22:23], v[12:13]
	v_mul_f64_e32 v[38:39], v[20:21], v[12:13]
	v_fma_f64 v[18:19], v[24:25], v[12:13], -v[14:15]
	s_delay_alu instid0(VALU_DEP_3) | instskip(NEXT) | instid1(VALU_DEP_3)
	v_fma_f64 v[40:41], v[22:23], v[12:13], -v[16:17]
	v_fma_f64 v[12:13], v[20:21], v[12:13], -v[38:39]
	s_delay_alu instid0(VALU_DEP_3) | instskip(NEXT) | instid1(VALU_DEP_1)
	v_add_f64_e32 v[30:31], v[16:17], v[18:19]
	v_add_f64_e64 v[32:33], v[30:31], -v[16:17]
	v_add_f64_e32 v[36:37], v[14:15], v[30:31]
	s_delay_alu instid0(VALU_DEP_2) | instskip(SKIP_1) | instid1(VALU_DEP_3)
	v_add_f64_e64 v[34:35], v[30:31], -v[32:33]
	v_add_f64_e64 v[18:19], v[18:19], -v[32:33]
	v_ldexp_f64 v[32:33], v[36:37], -2
	s_delay_alu instid0(VALU_DEP_3) | instskip(SKIP_1) | instid1(VALU_DEP_3)
	v_add_f64_e64 v[16:17], v[16:17], -v[34:35]
	v_add_f64_e32 v[34:35], v[38:39], v[40:41]
	v_cmp_neq_f64_e64 vcc_lo, 0x7ff00000, |v[32:33]|
	s_delay_alu instid0(VALU_DEP_3) | instskip(SKIP_1) | instid1(VALU_DEP_1)
	v_add_f64_e32 v[16:17], v[18:19], v[16:17]
	v_fract_f64_e32 v[18:19], v[32:33]
	v_ldexp_f64 v[18:19], v[18:19], 2
	s_delay_alu instid0(VALU_DEP_1) | instskip(SKIP_1) | instid1(VALU_DEP_3)
	v_cndmask_b32_e32 v19, 0, v19, vcc_lo
	v_add_f64_e64 v[14:15], v[36:37], -v[14:15]
	v_cndmask_b32_e32 v18, 0, v18, vcc_lo
	s_delay_alu instid0(VALU_DEP_2) | instskip(SKIP_1) | instid1(VALU_DEP_1)
	v_add_f64_e64 v[14:15], v[30:31], -v[14:15]
	v_add_f64_e32 v[30:31], v[34:35], v[16:17]
	v_add_f64_e32 v[32:33], v[14:15], v[30:31]
	v_add_f64_e64 v[44:45], v[30:31], -v[34:35]
	s_delay_alu instid0(VALU_DEP_2) | instskip(NEXT) | instid1(VALU_DEP_2)
	v_add_f64_e32 v[36:37], v[32:33], v[18:19]
	v_add_f64_e64 v[50:51], v[30:31], -v[44:45]
	v_add_f64_e64 v[16:17], v[16:17], -v[44:45]
	;; [unrolled: 1-line block ×3, first 2 shown]
	s_delay_alu instid0(VALU_DEP_4) | instskip(SKIP_1) | instid1(VALU_DEP_3)
	v_cmp_gt_f64_e32 vcc_lo, 0, v[36:37]
	v_add_f64_e64 v[36:37], v[34:35], -v[38:39]
	v_add_f64_e64 v[14:15], v[30:31], -v[14:15]
	v_cndmask_b32_e64 v43, 0, 0x40100000, vcc_lo
	s_delay_alu instid0(VALU_DEP_3) | instskip(SKIP_2) | instid1(VALU_DEP_4)
	v_add_f64_e64 v[48:49], v[34:35], -v[36:37]
	v_add_f64_e64 v[36:37], v[40:41], -v[36:37]
	;; [unrolled: 1-line block ×3, first 2 shown]
	v_add_f64_e32 v[18:19], v[18:19], v[42:43]
	s_delay_alu instid0(VALU_DEP_4) | instskip(NEXT) | instid1(VALU_DEP_3)
	v_add_f64_e64 v[40:41], v[38:39], -v[48:49]
	v_add_f64_e32 v[16:17], v[16:17], v[34:35]
	s_delay_alu instid0(VALU_DEP_3) | instskip(NEXT) | instid1(VALU_DEP_3)
	v_add_f64_e32 v[46:47], v[32:33], v[18:19]
	v_add_f64_e32 v[36:37], v[36:37], v[40:41]
	s_delay_alu instid0(VALU_DEP_2) | instskip(NEXT) | instid1(VALU_DEP_2)
	v_cvt_i32_f64_e32 v1, v[46:47]
	v_add_f64_e32 v[16:17], v[36:37], v[16:17]
	s_delay_alu instid0(VALU_DEP_2) | instskip(NEXT) | instid1(VALU_DEP_2)
	v_cvt_f64_i32_e32 v[44:45], v1
	v_add_f64_e32 v[12:13], v[12:13], v[16:17]
	s_delay_alu instid0(VALU_DEP_2) | instskip(NEXT) | instid1(VALU_DEP_2)
	v_add_f64_e64 v[18:19], v[18:19], -v[44:45]
	v_add_f64_e32 v[12:13], v[14:15], v[12:13]
	s_delay_alu instid0(VALU_DEP_2) | instskip(NEXT) | instid1(VALU_DEP_1)
	v_add_f64_e32 v[34:35], v[32:33], v[18:19]
	v_add_f64_e64 v[16:17], v[34:35], -v[18:19]
	v_cmp_le_f64_e32 vcc_lo, 0.5, v[34:35]
	s_delay_alu instid0(VALU_DEP_2) | instskip(SKIP_2) | instid1(VALU_DEP_3)
	v_add_f64_e64 v[14:15], v[32:33], -v[16:17]
	v_cndmask_b32_e64 v43, 0, 0x3ff00000, vcc_lo
	v_add_co_ci_u32_e64 v1, null, 0, v1, vcc_lo
	v_add_f64_e32 v[12:13], v[12:13], v[14:15]
	s_delay_alu instid0(VALU_DEP_3) | instskip(NEXT) | instid1(VALU_DEP_1)
	v_add_f64_e64 v[14:15], v[34:35], -v[42:43]
	v_add_f64_e32 v[16:17], v[14:15], v[12:13]
	s_delay_alu instid0(VALU_DEP_1) | instskip(SKIP_1) | instid1(VALU_DEP_2)
	v_mul_f64_e32 v[18:19], 0x3ff921fb54442d18, v[16:17]
	v_add_f64_e64 v[14:15], v[16:17], -v[14:15]
	v_fma_f64 v[30:31], v[16:17], s[10:11], -v[18:19]
	s_delay_alu instid0(VALU_DEP_2) | instskip(NEXT) | instid1(VALU_DEP_2)
	v_add_f64_e64 v[12:13], v[12:13], -v[14:15]
	v_fmamk_f64 v[14:15], v[16:17], 0x3c91a62633145c07, v[30:31]
	s_delay_alu instid0(VALU_DEP_1) | instskip(NEXT) | instid1(VALU_DEP_1)
	v_fmac_f64_e32 v[14:15], 0x3ff921fb54442d18, v[12:13]
	v_add_f64_e32 v[12:13], v[18:19], v[14:15]
	s_delay_alu instid0(VALU_DEP_1) | instskip(NEXT) | instid1(VALU_DEP_1)
	v_add_f64_e64 v[16:17], v[12:13], -v[18:19]
	v_add_f64_e64 v[14:15], v[14:15], -v[16:17]
	s_and_not1_saveexec_b32 s1, s1
	s_cbranch_execz .LBB5_62
	s_branch .LBB5_61
.LBB5_60:
	s_and_not1_saveexec_b32 s1, s1
	s_cbranch_execz .LBB5_62
.LBB5_61:
	s_mov_b64 s[10:11], 0x3fe45f306dc9c883
	s_delay_alu instid0(SALU_CYCLE_1) | instskip(SKIP_1) | instid1(VALU_DEP_1)
	v_mul_f64_e64 v[12:13], |v[2:3]|, s[10:11]
	s_mov_b64 s[10:11], 0xbff921fb54442d18
	v_rndne_f64_e32 v[16:17], v[12:13]
	s_delay_alu instid0(VALU_DEP_1) | instskip(SKIP_2) | instid1(VALU_DEP_3)
	v_fma_f64 v[12:13], v[16:17], s[10:11], |v[2:3]|
	v_mul_f64_e32 v[14:15], 0xbc91a62633145c00, v[16:17]
	v_cvt_i32_f64_e32 v1, v[16:17]
	v_fmamk_f64 v[32:33], v[16:17], 0xbc91a62633145c00, v[12:13]
	s_delay_alu instid0(VALU_DEP_3) | instskip(NEXT) | instid1(VALU_DEP_1)
	v_add_f64_e32 v[18:19], v[12:13], v[14:15]
	v_add_f64_e64 v[30:31], v[12:13], -v[18:19]
	s_delay_alu instid0(VALU_DEP_3) | instskip(NEXT) | instid1(VALU_DEP_2)
	v_add_f64_e64 v[12:13], v[18:19], -v[32:33]
	v_add_f64_e32 v[18:19], v[30:31], v[14:15]
	v_fmamk_f64 v[14:15], v[16:17], 0x3c91a62633145c00, v[14:15]
	s_delay_alu instid0(VALU_DEP_2) | instskip(NEXT) | instid1(VALU_DEP_1)
	v_add_f64_e32 v[12:13], v[12:13], v[18:19]
	v_add_f64_e64 v[12:13], v[12:13], -v[14:15]
	s_delay_alu instid0(VALU_DEP_1) | instskip(NEXT) | instid1(VALU_DEP_1)
	v_fmamk_f64 v[14:15], v[16:17], 0xb97b839a252049c0, v[12:13]
	v_add_f64_e32 v[12:13], v[32:33], v[14:15]
	s_delay_alu instid0(VALU_DEP_1) | instskip(NEXT) | instid1(VALU_DEP_1)
	v_add_f64_e64 v[18:19], v[12:13], -v[32:33]
	v_add_f64_e64 v[14:15], v[14:15], -v[18:19]
.LBB5_62:
	s_or_b32 exec_lo, exec_lo, s1
                                        ; implicit-def: $vgpr28
                                        ; implicit-def: $vgpr16_vgpr17
                                        ; implicit-def: $vgpr18_vgpr19
	s_and_saveexec_b32 s1, s0
	s_delay_alu instid0(SALU_CYCLE_1)
	s_xor_b32 s0, exec_lo, s1
	s_cbranch_execz .LBB5_64
; %bb.63:
	v_cmp_le_f64_e64 vcc_lo, 0x7b000000, |v[2:3]|
	s_mov_b64 s[10:11], 0x3ff921fb54442d18
	v_dual_mov_b32 v38, 0 :: v_dual_cndmask_b32 v17, v29, v27
	v_cndmask_b32_e32 v16, v2, v26, vcc_lo
	s_delay_alu instid0(VALU_DEP_1) | instskip(SKIP_2) | instid1(VALU_DEP_3)
	v_mul_f64_e32 v[18:19], v[24:25], v[16:17]
	v_mul_f64_e32 v[26:27], v[22:23], v[16:17]
	;; [unrolled: 1-line block ×3, first 2 shown]
	v_fma_f64 v[24:25], v[24:25], v[16:17], -v[18:19]
	s_delay_alu instid0(VALU_DEP_3) | instskip(NEXT) | instid1(VALU_DEP_3)
	v_fma_f64 v[22:23], v[22:23], v[16:17], -v[26:27]
	v_fma_f64 v[16:17], v[20:21], v[16:17], -v[36:37]
	s_delay_alu instid0(VALU_DEP_3) | instskip(NEXT) | instid1(VALU_DEP_1)
	v_add_f64_e32 v[28:29], v[26:27], v[24:25]
	v_add_f64_e64 v[30:31], v[28:29], -v[26:27]
	v_add_f64_e32 v[34:35], v[18:19], v[28:29]
	s_delay_alu instid0(VALU_DEP_2) | instskip(SKIP_1) | instid1(VALU_DEP_3)
	v_add_f64_e64 v[32:33], v[28:29], -v[30:31]
	v_add_f64_e64 v[24:25], v[24:25], -v[30:31]
	v_ldexp_f64 v[30:31], v[34:35], -2
	s_delay_alu instid0(VALU_DEP_3) | instskip(SKIP_1) | instid1(VALU_DEP_3)
	v_add_f64_e64 v[26:27], v[26:27], -v[32:33]
	v_add_f64_e32 v[32:33], v[36:37], v[22:23]
	v_cmp_neq_f64_e64 vcc_lo, 0x7ff00000, |v[30:31]|
	s_delay_alu instid0(VALU_DEP_3) | instskip(SKIP_1) | instid1(VALU_DEP_1)
	v_add_f64_e32 v[24:25], v[24:25], v[26:27]
	v_fract_f64_e32 v[26:27], v[30:31]
	v_ldexp_f64 v[26:27], v[26:27], 2
	s_delay_alu instid0(VALU_DEP_1) | instskip(SKIP_1) | instid1(VALU_DEP_3)
	v_cndmask_b32_e32 v27, 0, v27, vcc_lo
	v_add_f64_e64 v[18:19], v[34:35], -v[18:19]
	v_cndmask_b32_e32 v26, 0, v26, vcc_lo
	s_delay_alu instid0(VALU_DEP_2) | instskip(SKIP_1) | instid1(VALU_DEP_1)
	v_add_f64_e64 v[18:19], v[28:29], -v[18:19]
	v_add_f64_e32 v[28:29], v[32:33], v[24:25]
	v_add_f64_e32 v[30:31], v[18:19], v[28:29]
	v_add_f64_e64 v[40:41], v[28:29], -v[32:33]
	s_delay_alu instid0(VALU_DEP_2) | instskip(NEXT) | instid1(VALU_DEP_2)
	v_add_f64_e32 v[34:35], v[30:31], v[26:27]
	v_add_f64_e64 v[46:47], v[28:29], -v[40:41]
	v_add_f64_e64 v[24:25], v[24:25], -v[40:41]
	;; [unrolled: 1-line block ×3, first 2 shown]
	s_delay_alu instid0(VALU_DEP_4) | instskip(SKIP_1) | instid1(VALU_DEP_3)
	v_cmp_gt_f64_e32 vcc_lo, 0, v[34:35]
	v_add_f64_e64 v[34:35], v[32:33], -v[36:37]
	v_add_f64_e64 v[18:19], v[28:29], -v[18:19]
	v_cndmask_b32_e64 v39, 0, 0x40100000, vcc_lo
	s_delay_alu instid0(VALU_DEP_3) | instskip(SKIP_2) | instid1(VALU_DEP_4)
	v_add_f64_e64 v[44:45], v[32:33], -v[34:35]
	v_add_f64_e64 v[22:23], v[22:23], -v[34:35]
	;; [unrolled: 1-line block ×3, first 2 shown]
	v_add_f64_e32 v[26:27], v[26:27], v[38:39]
	s_delay_alu instid0(VALU_DEP_4) | instskip(NEXT) | instid1(VALU_DEP_3)
	v_add_f64_e64 v[34:35], v[36:37], -v[44:45]
	v_add_f64_e32 v[24:25], v[24:25], v[32:33]
	s_delay_alu instid0(VALU_DEP_3) | instskip(NEXT) | instid1(VALU_DEP_3)
	v_add_f64_e32 v[42:43], v[30:31], v[26:27]
	v_add_f64_e32 v[22:23], v[22:23], v[34:35]
	s_delay_alu instid0(VALU_DEP_2) | instskip(NEXT) | instid1(VALU_DEP_2)
	v_cvt_i32_f64_e32 v39, v[42:43]
	v_add_f64_e32 v[20:21], v[22:23], v[24:25]
	s_delay_alu instid0(VALU_DEP_2) | instskip(NEXT) | instid1(VALU_DEP_2)
	v_cvt_f64_i32_e32 v[40:41], v39
	v_add_f64_e32 v[16:17], v[16:17], v[20:21]
	s_delay_alu instid0(VALU_DEP_2) | instskip(NEXT) | instid1(VALU_DEP_2)
	v_add_f64_e64 v[26:27], v[26:27], -v[40:41]
	v_add_f64_e32 v[16:17], v[18:19], v[16:17]
	s_delay_alu instid0(VALU_DEP_2) | instskip(NEXT) | instid1(VALU_DEP_1)
	v_add_f64_e32 v[22:23], v[30:31], v[26:27]
	v_add_f64_e64 v[20:21], v[22:23], -v[26:27]
	v_cmp_le_f64_e32 vcc_lo, 0.5, v[22:23]
	s_delay_alu instid0(VALU_DEP_2) | instskip(SKIP_2) | instid1(VALU_DEP_3)
	v_add_f64_e64 v[18:19], v[30:31], -v[20:21]
	v_add_co_ci_u32_e64 v28, null, 0, v39, vcc_lo
	v_cndmask_b32_e64 v39, 0, 0x3ff00000, vcc_lo
	v_add_f64_e32 v[16:17], v[16:17], v[18:19]
	s_delay_alu instid0(VALU_DEP_2) | instskip(NEXT) | instid1(VALU_DEP_1)
	v_add_f64_e64 v[18:19], v[22:23], -v[38:39]
	v_add_f64_e32 v[20:21], v[18:19], v[16:17]
	s_delay_alu instid0(VALU_DEP_1) | instskip(SKIP_1) | instid1(VALU_DEP_2)
	v_mul_f64_e32 v[22:23], 0x3ff921fb54442d18, v[20:21]
	v_add_f64_e64 v[18:19], v[20:21], -v[18:19]
	v_fma_f64 v[24:25], v[20:21], s[10:11], -v[22:23]
	s_delay_alu instid0(VALU_DEP_2) | instskip(NEXT) | instid1(VALU_DEP_2)
	v_add_f64_e64 v[16:17], v[16:17], -v[18:19]
	v_fmamk_f64 v[18:19], v[20:21], 0x3c91a62633145c07, v[24:25]
	s_delay_alu instid0(VALU_DEP_1) | instskip(NEXT) | instid1(VALU_DEP_1)
	v_fmac_f64_e32 v[18:19], 0x3ff921fb54442d18, v[16:17]
	v_add_f64_e32 v[16:17], v[22:23], v[18:19]
	s_delay_alu instid0(VALU_DEP_1) | instskip(NEXT) | instid1(VALU_DEP_1)
	v_add_f64_e64 v[20:21], v[16:17], -v[22:23]
	v_add_f64_e64 v[18:19], v[18:19], -v[20:21]
	s_and_not1_saveexec_b32 s0, s0
	s_cbranch_execnz .LBB5_65
	s_branch .LBB5_66
.LBB5_64:
	s_and_not1_saveexec_b32 s0, s0
	s_cbranch_execz .LBB5_66
.LBB5_65:
	s_mov_b64 s[10:11], 0x3fe45f306dc9c883
	s_delay_alu instid0(SALU_CYCLE_1) | instskip(SKIP_1) | instid1(VALU_DEP_1)
	v_mul_f64_e64 v[16:17], |v[2:3]|, s[10:11]
	s_mov_b64 s[10:11], 0xbff921fb54442d18
	v_rndne_f64_e32 v[20:21], v[16:17]
	s_delay_alu instid0(VALU_DEP_1) | instskip(SKIP_2) | instid1(VALU_DEP_3)
	v_fma_f64 v[16:17], v[20:21], s[10:11], |v[2:3]|
	v_mul_f64_e32 v[18:19], 0xbc91a62633145c00, v[20:21]
	v_cvt_i32_f64_e32 v28, v[20:21]
	v_fmamk_f64 v[26:27], v[20:21], 0xbc91a62633145c00, v[16:17]
	s_delay_alu instid0(VALU_DEP_3) | instskip(NEXT) | instid1(VALU_DEP_1)
	v_add_f64_e32 v[22:23], v[16:17], v[18:19]
	v_add_f64_e64 v[24:25], v[16:17], -v[22:23]
	s_delay_alu instid0(VALU_DEP_3) | instskip(NEXT) | instid1(VALU_DEP_2)
	v_add_f64_e64 v[16:17], v[22:23], -v[26:27]
	v_add_f64_e32 v[22:23], v[24:25], v[18:19]
	v_fmamk_f64 v[18:19], v[20:21], 0x3c91a62633145c00, v[18:19]
	s_delay_alu instid0(VALU_DEP_2) | instskip(NEXT) | instid1(VALU_DEP_1)
	v_add_f64_e32 v[16:17], v[16:17], v[22:23]
	v_add_f64_e64 v[16:17], v[16:17], -v[18:19]
	s_delay_alu instid0(VALU_DEP_1) | instskip(NEXT) | instid1(VALU_DEP_1)
	v_fmamk_f64 v[18:19], v[20:21], 0xb97b839a252049c0, v[16:17]
	v_add_f64_e32 v[16:17], v[26:27], v[18:19]
	s_delay_alu instid0(VALU_DEP_1) | instskip(NEXT) | instid1(VALU_DEP_1)
	v_add_f64_e64 v[22:23], v[16:17], -v[26:27]
	v_add_f64_e64 v[18:19], v[18:19], -v[22:23]
.LBB5_66:
	s_or_b32 exec_lo, exec_lo, s0
	v_div_scale_f64 v[20:21], null, v[4:5], v[4:5], 0x40140000
	v_div_scale_f64 v[26:27], vcc_lo, 0x40140000, v[4:5], 0x40140000
	v_mul_f64_e32 v[36:37], v[12:13], v[12:13]
	v_mul_f64_e32 v[38:39], v[16:17], v[16:17]
	v_mov_b64_e32 v[44:45], 0xbe5ae600b42fdfa7
	v_mov_b64_e32 v[52:53], 0x3ec71de3796cde01
	;; [unrolled: 1-line block ×4, first 2 shown]
	v_mul_f64_e32 v[68:69], 0.5, v[18:19]
	v_mov_b64_e32 v[62:63], 0x3efa01a019f4ec90
	v_cmp_gt_f64_e64 s0, 0x10000000, v[4:5]
	v_mov_b64_e32 v[76:77], 0x3fa5555555555555
	v_rcp_f64_e32 v[22:23], v[20:21]
	v_fmamk_f64 v[46:47], v[36:37], 0x3de5e0b2f9a43bb8, v[44:45]
	v_fmac_f64_e32 v[44:45], 0x3de5e0b2f9a43bb8, v[38:39]
	v_mul_f64_e32 v[56:57], 0.5, v[38:39]
	v_mul_f64_e64 v[70:71], v[16:17], -v[38:39]
	v_mul_f64_e32 v[82:83], v[38:39], v[38:39]
	v_mul_f64_e64 v[78:79], v[12:13], -v[36:37]
	v_cndmask_b32_e64 v29, 0, 0x100, s0
	v_fmac_f64_e32 v[52:53], v[38:39], v[44:45]
	s_delay_alu instid0(TRANS32_DEP_1) | instskip(SKIP_2) | instid1(VALU_DEP_3)
	v_fma_f64 v[24:25], -v[20:21], v[22:23], 1.0
	v_fmamk_f64 v[44:45], v[36:37], 0xbda907db46cc5e42, v[54:55]
	v_fmac_f64_e32 v[54:55], 0xbda907db46cc5e42, v[38:39]
	v_fmac_f64_e32 v[22:23], v[22:23], v[24:25]
	s_delay_alu instid0(VALU_DEP_1) | instskip(NEXT) | instid1(VALU_DEP_1)
	v_fma_f64 v[24:25], -v[20:21], v[22:23], 1.0
	v_fmac_f64_e32 v[22:23], v[22:23], v[24:25]
	s_delay_alu instid0(VALU_DEP_1) | instskip(NEXT) | instid1(VALU_DEP_1)
	v_mul_f64_e32 v[24:25], v[26:27], v[22:23]
	v_fma_f64 v[20:21], -v[20:21], v[24:25], v[26:27]
	s_delay_alu instid0(VALU_DEP_1) | instskip(NEXT) | instid1(VALU_DEP_1)
	v_div_fmas_f64 v[20:21], v[20:21], v[22:23], v[24:25]
	v_div_fixup_f64 v[20:21], v[20:21], v[4:5], 0x40140000
	v_ldexp_f64 v[4:5], v[4:5], v29
	v_and_b32_e32 v29, 1, v28
	s_delay_alu instid0(VALU_DEP_3) | instskip(NEXT) | instid1(VALU_DEP_3)
	v_mul_f64_e32 v[22:23], v[20:21], v[20:21]
	v_rsq_f64_e32 v[64:65], v[4:5]
	s_delay_alu instid0(VALU_DEP_1) | instskip(SKIP_3) | instid1(VALU_DEP_4)
	v_fmaak_f64 v[24:25], 0, v[22:23], 0x3f42b89b13443d69
	v_fmaak_f64 v[26:27], 0, v[22:23], 0x3f48f92c4c6c651b
	;; [unrolled: 1-line block ×5, first 2 shown]
	s_delay_alu instid0(VALU_DEP_4) | instskip(NEXT) | instid1(VALU_DEP_4)
	v_fmaak_f64 v[26:27], v[22:23], v[26:27], 0x3fb2b948a3fec4b6
	v_fmaak_f64 v[30:31], v[22:23], v[30:31], 0x4013edb5c66d8fd6
	s_delay_alu instid0(VALU_DEP_4) | instskip(NEXT) | instid1(VALU_DEP_4)
	v_fmaak_f64 v[32:33], v[22:23], v[32:33], 0x409081cba20e5f6f
	v_fmaak_f64 v[24:25], v[22:23], v[24:25], 0x3ff1aea9b850eed6
	;; [unrolled: 3-line block ×9, first 2 shown]
	s_delay_alu instid0(VALU_DEP_4) | instskip(NEXT) | instid1(VALU_DEP_4)
	v_fmaak_f64 v[32:33], v[22:23], v[32:33], 0x40a61462b4bd1781
	v_fma_f64 v[24:25], v[22:23], v[24:25], 1.0
	s_delay_alu instid0(VALU_DEP_4) | instskip(NEXT) | instid1(VALU_DEP_4)
	v_fma_f64 v[26:27], v[22:23], v[26:27], 1.0
	v_fmaak_f64 v[30:31], v[22:23], v[30:31], 0x406a760a4c54bb0b
	s_delay_alu instid0(VALU_DEP_4) | instskip(NEXT) | instid1(VALU_DEP_2)
	v_fmaak_f64 v[32:33], v[22:23], v[32:33], 0x4075017f6ae75997
	v_fmaak_f64 v[22:23], v[22:23], v[30:31], 0x403934ff4d159eb5
	s_delay_alu instid0(VALU_DEP_1) | instskip(SKIP_1) | instid1(VALU_DEP_2)
	v_div_scale_f64 v[34:35], null, v[32:33], v[32:33], v[22:23]
	v_div_scale_f64 v[30:31], null, v[24:25], v[24:25], v[26:27]
	v_rcp_f64_e32 v[42:43], v[34:35]
	s_delay_alu instid0(VALU_DEP_1) | instskip(NEXT) | instid1(TRANS32_DEP_2)
	v_rcp_f64_e32 v[40:41], v[30:31]
	v_fma_f64 v[50:51], -v[34:35], v[42:43], 1.0
	s_delay_alu instid0(TRANS32_DEP_1) | instskip(NEXT) | instid1(VALU_DEP_2)
	v_fma_f64 v[48:49], -v[30:31], v[40:41], 1.0
	v_fmac_f64_e32 v[42:43], v[42:43], v[50:51]
	v_mov_b64_e32 v[50:51], 0xbe927e4fa17f65f6
	s_delay_alu instid0(VALU_DEP_1) | instskip(NEXT) | instid1(VALU_DEP_4)
	v_fmac_f64_e32 v[50:51], v[38:39], v[54:55]
	v_fmac_f64_e32 v[40:41], v[40:41], v[48:49]
	v_mov_b64_e32 v[48:49], 0xbf2a01a019e83e5c
	s_delay_alu instid0(VALU_DEP_1)
	v_fmac_f64_e32 v[48:49], v[38:39], v[52:53]
	v_add_f64_e64 v[52:53], -v[56:57], 1.0
	v_fma_f64 v[58:59], -v[34:35], v[42:43], 1.0
	v_fmac_f64_e32 v[62:63], v[38:39], v[50:51]
	v_div_scale_f64 v[50:51], vcc_lo, v[26:27], v[24:25], v[26:27]
	v_fma_f64 v[54:55], -v[30:31], v[40:41], 1.0
	v_fmac_f64_e32 v[60:61], v[38:39], v[48:49]
	v_add_f64_e64 v[48:49], -v[52:53], 1.0
	v_fmac_f64_e32 v[42:43], v[42:43], v[58:59]
	v_mov_b64_e32 v[58:59], 0xbf56c16c16c16967
	s_delay_alu instid0(VALU_DEP_1)
	v_fmac_f64_e32 v[58:59], v[38:39], v[62:63]
	v_fmac_f64_e32 v[40:41], v[40:41], v[54:55]
	v_div_scale_f64 v[54:55], s1, v[22:23], v[32:33], v[22:23]
	v_fmac_f64_e32 v[68:69], v[70:71], v[60:61]
	v_add_f64_e64 v[48:49], v[48:49], -v[56:57]
	v_mul_f64_e32 v[60:61], v[4:5], v[64:65]
	v_fmac_f64_e32 v[76:77], v[38:39], v[58:59]
	v_mul_f64_e32 v[56:57], v[50:51], v[40:41]
	v_mul_f64_e32 v[62:63], v[54:55], v[42:43]
	v_fma_f64 v[68:69], v[38:39], v[68:69], -v[18:19]
	v_fma_f64 v[18:19], v[16:17], -v[18:19], v[48:49]
	v_fmaak_f64 v[38:39], v[36:37], v[46:47], 0x3ec71de3796cde01
	s_delay_alu instid0(VALU_DEP_1) | instskip(NEXT) | instid1(VALU_DEP_1)
	v_fmaak_f64 v[38:39], v[36:37], v[38:39], 0xbf2a01a019e83e5c
	v_fmaak_f64 v[38:39], v[36:37], v[38:39], 0x3f81111111110bb3
	v_fma_f64 v[30:31], -v[30:31], v[56:57], v[50:51]
	v_fma_f64 v[34:35], -v[34:35], v[62:63], v[54:55]
	v_fmac_f64_e32 v[68:69], 0xbfc5555555555555, v[70:71]
	v_fmac_f64_e32 v[18:19], v[82:83], v[76:77]
	s_delay_alu instid0(VALU_DEP_4)
	v_div_fmas_f64 v[30:31], v[30:31], v[40:41], v[56:57]
	s_mov_b32 vcc_lo, s1
	v_mul_f64_e32 v[40:41], v[36:37], v[36:37]
	v_div_fmas_f64 v[34:35], v[34:35], v[42:43], v[62:63]
	v_cmp_eq_u32_e32 vcc_lo, 0, v29
	v_add_f64_e64 v[16:17], v[16:17], -v[68:69]
	v_add_f64_e32 v[18:19], v[52:53], v[18:19]
	v_mul_f64_e32 v[64:65], 0.5, v[64:65]
	v_div_fixup_f64 v[22:23], v[34:35], v[32:33], v[22:23]
	s_delay_alu instid0(VALU_DEP_4) | instskip(NEXT) | instid1(VALU_DEP_4)
	v_xor_b32_e32 v17, 0x80000000, v17
	v_dual_mul_f64 v[66:67], 0.5, v[36:37] :: v_dual_cndmask_b32 v29, v16, v18, vcc_lo
	s_delay_alu instid0(VALU_DEP_4) | instskip(NEXT) | instid1(VALU_DEP_3)
	v_fma_f64 v[84:85], -v[64:65], v[60:61], 0.5
	v_cndmask_b32_e32 v19, v17, v19, vcc_lo
	v_cmp_class_f64_e64 vcc_lo, v[2:3], 0x1f8
	v_lshlrev_b32_e32 v2, 30, v28
	s_delay_alu instid0(VALU_DEP_1)
	v_bitop3_b32 v2, v19, v2, 0x80000000 bitop3:0x78
	v_mul_f64_e32 v[16:17], v[20:21], v[22:23]
	v_div_fixup_f64 v[22:23], v[30:31], v[24:25], v[26:27]
	v_add_f64_e64 v[72:73], -v[66:67], 1.0
	v_fmac_f64_e32 v[60:61], v[60:61], v[84:85]
	v_fmac_f64_e32 v[64:65], v[64:65], v[84:85]
	v_dual_cndmask_b32 v21, 0x7ff80000, v2 :: v_dual_lshlrev_b32 v2, 30, v1
	v_and_b32_e32 v1, 1, v1
	s_delay_alu instid0(VALU_DEP_2) | instskip(NEXT) | instid1(VALU_DEP_2)
	v_dual_cndmask_b32 v20, 0, v29, vcc_lo :: v_dual_bitop2_b32 v2, v2, v3 bitop3:0x14
	v_cmp_eq_u32_e64 s1, 0, v1
	v_mul_f64_e32 v[74:75], 0.5, v[14:15]
	s_delay_alu instid0(VALU_DEP_3) | instskip(SKIP_1) | instid1(VALU_DEP_3)
	v_mul_f64_e32 v[16:17], v[16:17], v[20:21]
	v_add_f64_e64 v[80:81], -v[72:73], 1.0
	v_fmac_f64_e32 v[74:75], v[78:79], v[38:39]
	s_delay_alu instid0(VALU_DEP_2) | instskip(NEXT) | instid1(VALU_DEP_2)
	v_add_f64_e64 v[38:39], v[80:81], -v[66:67]
	v_fma_f64 v[42:43], v[36:37], v[74:75], -v[14:15]
	s_delay_alu instid0(VALU_DEP_2) | instskip(SKIP_2) | instid1(VALU_DEP_2)
	v_fma_f64 v[14:15], v[12:13], -v[14:15], v[38:39]
	v_fmaak_f64 v[38:39], v[36:37], v[44:45], 0xbe927e4fa17f65f6
	v_fma_f64 v[44:45], -v[60:61], v[60:61], v[4:5]
	v_fmaak_f64 v[38:39], v[36:37], v[38:39], 0x3efa01a019f4ec90
	v_fmac_f64_e32 v[42:43], 0xbfc5555555555555, v[78:79]
	s_delay_alu instid0(VALU_DEP_2) | instskip(NEXT) | instid1(VALU_DEP_1)
	v_fmaak_f64 v[32:33], v[36:37], v[38:39], 0xbf56c16c16c16967
	v_fmaak_f64 v[32:33], v[36:37], v[32:33], 0x3fa5555555555555
	s_delay_alu instid0(VALU_DEP_1) | instskip(SKIP_2) | instid1(VALU_DEP_3)
	v_fmac_f64_e32 v[14:15], v[40:41], v[32:33]
	v_fmac_f64_e32 v[60:61], v[44:45], v[64:65]
	v_add_f64_e64 v[12:13], v[12:13], -v[42:43]
	v_add_f64_e32 v[14:15], v[72:73], v[14:15]
	s_delay_alu instid0(VALU_DEP_3) | instskip(NEXT) | instid1(VALU_DEP_2)
	v_fma_f64 v[18:19], -v[60:61], v[60:61], v[4:5]
	v_dual_cndmask_b32 v1, v15, v13, s1 :: v_dual_cndmask_b32 v3, v14, v12, s1
	s_delay_alu instid0(VALU_DEP_2) | instskip(NEXT) | instid1(VALU_DEP_2)
	v_fmac_f64_e32 v[60:61], v[18:19], v[64:65]
	v_bitop3_b32 v1, v1, v2, 0x80000000 bitop3:0x78
	s_delay_alu instid0(VALU_DEP_3) | instskip(NEXT) | instid1(VALU_DEP_2)
	v_cndmask_b32_e32 v2, 0, v3, vcc_lo
	v_cndmask_b32_e32 v3, 0x7ff80000, v1, vcc_lo
	v_cndmask_b32_e64 v1, 0, 0xffffff80, s0
	v_cmp_class_f64_e64 vcc_lo, v[4:5], 0x260
	s_delay_alu instid0(VALU_DEP_3) | instskip(NEXT) | instid1(VALU_DEP_3)
	v_fmac_f64_e32 v[16:17], v[22:23], v[2:3]
	v_ldexp_f64 v[2:3], v[60:61], v1
	s_delay_alu instid0(VALU_DEP_2) | instskip(NEXT) | instid1(VALU_DEP_2)
	v_mul_f64_e32 v[12:13], 0x3fe9884533d43651, v[16:17]
	v_dual_cndmask_b32 v3, v3, v5 :: v_dual_cndmask_b32 v2, v2, v4
	s_delay_alu instid0(VALU_DEP_1) | instskip(NEXT) | instid1(VALU_DEP_1)
	v_div_scale_f64 v[4:5], null, v[2:3], v[2:3], v[12:13]
	v_rcp_f64_e32 v[14:15], v[4:5]
	v_nop
	s_delay_alu instid0(TRANS32_DEP_1) | instskip(NEXT) | instid1(VALU_DEP_1)
	v_fma_f64 v[16:17], -v[4:5], v[14:15], 1.0
	v_fmac_f64_e32 v[14:15], v[14:15], v[16:17]
	s_delay_alu instid0(VALU_DEP_1) | instskip(NEXT) | instid1(VALU_DEP_1)
	v_fma_f64 v[16:17], -v[4:5], v[14:15], 1.0
	v_fmac_f64_e32 v[14:15], v[14:15], v[16:17]
	v_div_scale_f64 v[16:17], vcc_lo, v[12:13], v[2:3], v[12:13]
	s_delay_alu instid0(VALU_DEP_1) | instskip(NEXT) | instid1(VALU_DEP_1)
	v_mul_f64_e32 v[18:19], v[16:17], v[14:15]
	v_fma_f64 v[4:5], -v[4:5], v[18:19], v[16:17]
	s_delay_alu instid0(VALU_DEP_1) | instskip(NEXT) | instid1(VALU_DEP_1)
	v_div_fmas_f64 v[4:5], v[4:5], v[14:15], v[18:19]
	v_div_fixup_f64 v[12:13], v[4:5], v[2:3], v[12:13]
.LBB5_67:
	s_or_b32 exec_lo, exec_lo, s2
	s_add_nc_u64 s[8:9], s[4:5], s[8:9]
	s_clause 0x1
	global_store_b128 v0, v[6:9], s[8:9] scale_offset
	global_store_b128 v0, v[10:13], s[8:9] offset:4096 scale_offset
.LBB5_68:
	s_sendmsg sendmsg(MSG_DEALLOC_VGPRS)
	s_endpgm
	.section	.rodata,"a",@progbits
	.p2align	6, 0x0
	.amdhsa_kernel _ZN2at6native29vectorized_elementwise_kernelILi2EZZZNS0_12_GLOBAL__N_121bessel_y1_kernel_cudaERNS_18TensorIteratorBaseEENKUlvE_clEvENKUlvE_clEvEUldE_St5arrayIPcLm2EEEEviT0_T1_
		.amdhsa_group_segment_fixed_size 0
		.amdhsa_private_segment_fixed_size 0
		.amdhsa_kernarg_size 24
		.amdhsa_user_sgpr_count 2
		.amdhsa_user_sgpr_dispatch_ptr 0
		.amdhsa_user_sgpr_queue_ptr 0
		.amdhsa_user_sgpr_kernarg_segment_ptr 1
		.amdhsa_user_sgpr_dispatch_id 0
		.amdhsa_user_sgpr_kernarg_preload_length 0
		.amdhsa_user_sgpr_kernarg_preload_offset 0
		.amdhsa_user_sgpr_private_segment_size 0
		.amdhsa_wavefront_size32 1
		.amdhsa_uses_dynamic_stack 0
		.amdhsa_enable_private_segment 0
		.amdhsa_system_sgpr_workgroup_id_x 1
		.amdhsa_system_sgpr_workgroup_id_y 0
		.amdhsa_system_sgpr_workgroup_id_z 0
		.amdhsa_system_sgpr_workgroup_info 0
		.amdhsa_system_vgpr_workitem_id 0
		.amdhsa_next_free_vgpr 101
		.amdhsa_next_free_sgpr 33
		.amdhsa_named_barrier_count 0
		.amdhsa_reserve_vcc 1
		.amdhsa_float_round_mode_32 0
		.amdhsa_float_round_mode_16_64 0
		.amdhsa_float_denorm_mode_32 3
		.amdhsa_float_denorm_mode_16_64 3
		.amdhsa_fp16_overflow 0
		.amdhsa_memory_ordered 1
		.amdhsa_forward_progress 1
		.amdhsa_inst_pref_size 146
		.amdhsa_round_robin_scheduling 0
		.amdhsa_exception_fp_ieee_invalid_op 0
		.amdhsa_exception_fp_denorm_src 0
		.amdhsa_exception_fp_ieee_div_zero 0
		.amdhsa_exception_fp_ieee_overflow 0
		.amdhsa_exception_fp_ieee_underflow 0
		.amdhsa_exception_fp_ieee_inexact 0
		.amdhsa_exception_int_div_zero 0
	.end_amdhsa_kernel
	.section	.text._ZN2at6native29vectorized_elementwise_kernelILi2EZZZNS0_12_GLOBAL__N_121bessel_y1_kernel_cudaERNS_18TensorIteratorBaseEENKUlvE_clEvENKUlvE_clEvEUldE_St5arrayIPcLm2EEEEviT0_T1_,"axG",@progbits,_ZN2at6native29vectorized_elementwise_kernelILi2EZZZNS0_12_GLOBAL__N_121bessel_y1_kernel_cudaERNS_18TensorIteratorBaseEENKUlvE_clEvENKUlvE_clEvEUldE_St5arrayIPcLm2EEEEviT0_T1_,comdat
.Lfunc_end5:
	.size	_ZN2at6native29vectorized_elementwise_kernelILi2EZZZNS0_12_GLOBAL__N_121bessel_y1_kernel_cudaERNS_18TensorIteratorBaseEENKUlvE_clEvENKUlvE_clEvEUldE_St5arrayIPcLm2EEEEviT0_T1_, .Lfunc_end5-_ZN2at6native29vectorized_elementwise_kernelILi2EZZZNS0_12_GLOBAL__N_121bessel_y1_kernel_cudaERNS_18TensorIteratorBaseEENKUlvE_clEvENKUlvE_clEvEUldE_St5arrayIPcLm2EEEEviT0_T1_
                                        ; -- End function
	.set _ZN2at6native29vectorized_elementwise_kernelILi2EZZZNS0_12_GLOBAL__N_121bessel_y1_kernel_cudaERNS_18TensorIteratorBaseEENKUlvE_clEvENKUlvE_clEvEUldE_St5arrayIPcLm2EEEEviT0_T1_.num_vgpr, max(86, .L_ZN2at6native25elementwise_kernel_helperILb0EZZZNS0_12_GLOBAL__N_121bessel_y1_kernel_cudaERNS_18TensorIteratorBaseEENKUlvE_clEvENKUlvE_clEvEUldE_NS0_6memory8policies11unroll_baseILi256ESt5arrayIPcLm2EE23TrivialOffsetCalculatorILi1EjESF_NS8_15LoadWithoutCastENS8_16StoreWithoutCastELi4ELi1EEEEEvT0_T1_.num_vgpr)
	.set _ZN2at6native29vectorized_elementwise_kernelILi2EZZZNS0_12_GLOBAL__N_121bessel_y1_kernel_cudaERNS_18TensorIteratorBaseEENKUlvE_clEvENKUlvE_clEvEUldE_St5arrayIPcLm2EEEEviT0_T1_.num_agpr, max(0, .L_ZN2at6native25elementwise_kernel_helperILb0EZZZNS0_12_GLOBAL__N_121bessel_y1_kernel_cudaERNS_18TensorIteratorBaseEENKUlvE_clEvENKUlvE_clEvEUldE_NS0_6memory8policies11unroll_baseILi256ESt5arrayIPcLm2EE23TrivialOffsetCalculatorILi1EjESF_NS8_15LoadWithoutCastENS8_16StoreWithoutCastELi4ELi1EEEEEvT0_T1_.num_agpr)
	.set _ZN2at6native29vectorized_elementwise_kernelILi2EZZZNS0_12_GLOBAL__N_121bessel_y1_kernel_cudaERNS_18TensorIteratorBaseEENKUlvE_clEvENKUlvE_clEvEUldE_St5arrayIPcLm2EEEEviT0_T1_.numbered_sgpr, max(33, .L_ZN2at6native25elementwise_kernel_helperILb0EZZZNS0_12_GLOBAL__N_121bessel_y1_kernel_cudaERNS_18TensorIteratorBaseEENKUlvE_clEvENKUlvE_clEvEUldE_NS0_6memory8policies11unroll_baseILi256ESt5arrayIPcLm2EE23TrivialOffsetCalculatorILi1EjESF_NS8_15LoadWithoutCastENS8_16StoreWithoutCastELi4ELi1EEEEEvT0_T1_.numbered_sgpr)
	.set _ZN2at6native29vectorized_elementwise_kernelILi2EZZZNS0_12_GLOBAL__N_121bessel_y1_kernel_cudaERNS_18TensorIteratorBaseEENKUlvE_clEvENKUlvE_clEvEUldE_St5arrayIPcLm2EEEEviT0_T1_.num_named_barrier, max(0, .L_ZN2at6native25elementwise_kernel_helperILb0EZZZNS0_12_GLOBAL__N_121bessel_y1_kernel_cudaERNS_18TensorIteratorBaseEENKUlvE_clEvENKUlvE_clEvEUldE_NS0_6memory8policies11unroll_baseILi256ESt5arrayIPcLm2EE23TrivialOffsetCalculatorILi1EjESF_NS8_15LoadWithoutCastENS8_16StoreWithoutCastELi4ELi1EEEEEvT0_T1_.num_named_barrier)
	.set _ZN2at6native29vectorized_elementwise_kernelILi2EZZZNS0_12_GLOBAL__N_121bessel_y1_kernel_cudaERNS_18TensorIteratorBaseEENKUlvE_clEvENKUlvE_clEvEUldE_St5arrayIPcLm2EEEEviT0_T1_.private_seg_size, 0+max(.L_ZN2at6native25elementwise_kernel_helperILb0EZZZNS0_12_GLOBAL__N_121bessel_y1_kernel_cudaERNS_18TensorIteratorBaseEENKUlvE_clEvENKUlvE_clEvEUldE_NS0_6memory8policies11unroll_baseILi256ESt5arrayIPcLm2EE23TrivialOffsetCalculatorILi1EjESF_NS8_15LoadWithoutCastENS8_16StoreWithoutCastELi4ELi1EEEEEvT0_T1_.private_seg_size)
	.set _ZN2at6native29vectorized_elementwise_kernelILi2EZZZNS0_12_GLOBAL__N_121bessel_y1_kernel_cudaERNS_18TensorIteratorBaseEENKUlvE_clEvENKUlvE_clEvEUldE_St5arrayIPcLm2EEEEviT0_T1_.uses_vcc, or(1, .L_ZN2at6native25elementwise_kernel_helperILb0EZZZNS0_12_GLOBAL__N_121bessel_y1_kernel_cudaERNS_18TensorIteratorBaseEENKUlvE_clEvENKUlvE_clEvEUldE_NS0_6memory8policies11unroll_baseILi256ESt5arrayIPcLm2EE23TrivialOffsetCalculatorILi1EjESF_NS8_15LoadWithoutCastENS8_16StoreWithoutCastELi4ELi1EEEEEvT0_T1_.uses_vcc)
	.set _ZN2at6native29vectorized_elementwise_kernelILi2EZZZNS0_12_GLOBAL__N_121bessel_y1_kernel_cudaERNS_18TensorIteratorBaseEENKUlvE_clEvENKUlvE_clEvEUldE_St5arrayIPcLm2EEEEviT0_T1_.uses_flat_scratch, or(0, .L_ZN2at6native25elementwise_kernel_helperILb0EZZZNS0_12_GLOBAL__N_121bessel_y1_kernel_cudaERNS_18TensorIteratorBaseEENKUlvE_clEvENKUlvE_clEvEUldE_NS0_6memory8policies11unroll_baseILi256ESt5arrayIPcLm2EE23TrivialOffsetCalculatorILi1EjESF_NS8_15LoadWithoutCastENS8_16StoreWithoutCastELi4ELi1EEEEEvT0_T1_.uses_flat_scratch)
	.set _ZN2at6native29vectorized_elementwise_kernelILi2EZZZNS0_12_GLOBAL__N_121bessel_y1_kernel_cudaERNS_18TensorIteratorBaseEENKUlvE_clEvENKUlvE_clEvEUldE_St5arrayIPcLm2EEEEviT0_T1_.has_dyn_sized_stack, or(0, .L_ZN2at6native25elementwise_kernel_helperILb0EZZZNS0_12_GLOBAL__N_121bessel_y1_kernel_cudaERNS_18TensorIteratorBaseEENKUlvE_clEvENKUlvE_clEvEUldE_NS0_6memory8policies11unroll_baseILi256ESt5arrayIPcLm2EE23TrivialOffsetCalculatorILi1EjESF_NS8_15LoadWithoutCastENS8_16StoreWithoutCastELi4ELi1EEEEEvT0_T1_.has_dyn_sized_stack)
	.set _ZN2at6native29vectorized_elementwise_kernelILi2EZZZNS0_12_GLOBAL__N_121bessel_y1_kernel_cudaERNS_18TensorIteratorBaseEENKUlvE_clEvENKUlvE_clEvEUldE_St5arrayIPcLm2EEEEviT0_T1_.has_recursion, or(0, .L_ZN2at6native25elementwise_kernel_helperILb0EZZZNS0_12_GLOBAL__N_121bessel_y1_kernel_cudaERNS_18TensorIteratorBaseEENKUlvE_clEvENKUlvE_clEvEUldE_NS0_6memory8policies11unroll_baseILi256ESt5arrayIPcLm2EE23TrivialOffsetCalculatorILi1EjESF_NS8_15LoadWithoutCastENS8_16StoreWithoutCastELi4ELi1EEEEEvT0_T1_.has_recursion)
	.set _ZN2at6native29vectorized_elementwise_kernelILi2EZZZNS0_12_GLOBAL__N_121bessel_y1_kernel_cudaERNS_18TensorIteratorBaseEENKUlvE_clEvENKUlvE_clEvEUldE_St5arrayIPcLm2EEEEviT0_T1_.has_indirect_call, or(0, .L_ZN2at6native25elementwise_kernel_helperILb0EZZZNS0_12_GLOBAL__N_121bessel_y1_kernel_cudaERNS_18TensorIteratorBaseEENKUlvE_clEvENKUlvE_clEvEUldE_NS0_6memory8policies11unroll_baseILi256ESt5arrayIPcLm2EE23TrivialOffsetCalculatorILi1EjESF_NS8_15LoadWithoutCastENS8_16StoreWithoutCastELi4ELi1EEEEEvT0_T1_.has_indirect_call)
	.section	.AMDGPU.csdata,"",@progbits
; Kernel info:
; codeLenInByte = 18592
; TotalNumSgprs: 35
; NumVgprs: 101
; ScratchSize: 0
; MemoryBound: 0
; FloatMode: 240
; IeeeMode: 1
; LDSByteSize: 0 bytes/workgroup (compile time only)
; SGPRBlocks: 0
; VGPRBlocks: 6
; NumSGPRsForWavesPerEU: 35
; NumVGPRsForWavesPerEU: 101
; NamedBarCnt: 0
; Occupancy: 9
; WaveLimiterHint : 1
; COMPUTE_PGM_RSRC2:SCRATCH_EN: 0
; COMPUTE_PGM_RSRC2:USER_SGPR: 2
; COMPUTE_PGM_RSRC2:TRAP_HANDLER: 0
; COMPUTE_PGM_RSRC2:TGID_X_EN: 1
; COMPUTE_PGM_RSRC2:TGID_Y_EN: 0
; COMPUTE_PGM_RSRC2:TGID_Z_EN: 0
; COMPUTE_PGM_RSRC2:TIDIG_COMP_CNT: 0
	.section	.text._ZN2at6native27unrolled_elementwise_kernelIZZZNS0_12_GLOBAL__N_121bessel_y1_kernel_cudaERNS_18TensorIteratorBaseEENKUlvE_clEvENKUlvE_clEvEUldE_St5arrayIPcLm2EELi4E23TrivialOffsetCalculatorILi1EjESC_NS0_6memory15LoadWithoutCastENSD_16StoreWithoutCastEEEviT_T0_T2_T3_T4_T5_,"axG",@progbits,_ZN2at6native27unrolled_elementwise_kernelIZZZNS0_12_GLOBAL__N_121bessel_y1_kernel_cudaERNS_18TensorIteratorBaseEENKUlvE_clEvENKUlvE_clEvEUldE_St5arrayIPcLm2EELi4E23TrivialOffsetCalculatorILi1EjESC_NS0_6memory15LoadWithoutCastENSD_16StoreWithoutCastEEEviT_T0_T2_T3_T4_T5_,comdat
	.globl	_ZN2at6native27unrolled_elementwise_kernelIZZZNS0_12_GLOBAL__N_121bessel_y1_kernel_cudaERNS_18TensorIteratorBaseEENKUlvE_clEvENKUlvE_clEvEUldE_St5arrayIPcLm2EELi4E23TrivialOffsetCalculatorILi1EjESC_NS0_6memory15LoadWithoutCastENSD_16StoreWithoutCastEEEviT_T0_T2_T3_T4_T5_ ; -- Begin function _ZN2at6native27unrolled_elementwise_kernelIZZZNS0_12_GLOBAL__N_121bessel_y1_kernel_cudaERNS_18TensorIteratorBaseEENKUlvE_clEvENKUlvE_clEvEUldE_St5arrayIPcLm2EELi4E23TrivialOffsetCalculatorILi1EjESC_NS0_6memory15LoadWithoutCastENSD_16StoreWithoutCastEEEviT_T0_T2_T3_T4_T5_
	.p2align	8
	.type	_ZN2at6native27unrolled_elementwise_kernelIZZZNS0_12_GLOBAL__N_121bessel_y1_kernel_cudaERNS_18TensorIteratorBaseEENKUlvE_clEvENKUlvE_clEvEUldE_St5arrayIPcLm2EELi4E23TrivialOffsetCalculatorILi1EjESC_NS0_6memory15LoadWithoutCastENSD_16StoreWithoutCastEEEviT_T0_T2_T3_T4_T5_,@function
_ZN2at6native27unrolled_elementwise_kernelIZZZNS0_12_GLOBAL__N_121bessel_y1_kernel_cudaERNS_18TensorIteratorBaseEENKUlvE_clEvENKUlvE_clEvEUldE_St5arrayIPcLm2EELi4E23TrivialOffsetCalculatorILi1EjESC_NS0_6memory15LoadWithoutCastENSD_16StoreWithoutCastEEEviT_T0_T2_T3_T4_T5_: ; @_ZN2at6native27unrolled_elementwise_kernelIZZZNS0_12_GLOBAL__N_121bessel_y1_kernel_cudaERNS_18TensorIteratorBaseEENKUlvE_clEvENKUlvE_clEvEUldE_St5arrayIPcLm2EELi4E23TrivialOffsetCalculatorILi1EjESC_NS0_6memory15LoadWithoutCastENSD_16StoreWithoutCastEEEviT_T0_T2_T3_T4_T5_
; %bb.0:
	s_clause 0x1
	s_load_b32 s2, s[0:1], 0x0
	s_load_b128 s[4:7], s[0:1], 0x8
	s_wait_xcnt 0x0
	s_bfe_u32 s0, ttmp6, 0x4000c
	s_and_b32 s1, ttmp6, 15
	s_add_co_i32 s0, s0, 1
	s_getreg_b32 s3, hwreg(HW_REG_IB_STS2, 6, 4)
	s_mul_i32 s0, ttmp9, s0
	v_mov_b32_e32 v31, v0
	s_add_co_i32 s1, s1, s0
	s_cmp_eq_u32 s3, 0
	s_mov_b32 s32, 0
	s_cselect_b32 s3, ttmp9, s1
	s_get_pc_i64 s[0:1]
	s_add_nc_u64 s[0:1], s[0:1], _ZN2at6native25elementwise_kernel_helperILb0EZZZNS0_12_GLOBAL__N_121bessel_y1_kernel_cudaERNS_18TensorIteratorBaseEENKUlvE_clEvENKUlvE_clEvEUldE_NS0_6memory8policies11unroll_baseILi256ESt5arrayIPcLm2EE23TrivialOffsetCalculatorILi1EjESF_NS8_15LoadWithoutCastENS8_16StoreWithoutCastELi4ELi1EEEEEvT0_T1_@rel64+4
	s_lshl_b32 s3, s3, 10
	s_wait_kmcnt 0x0
	s_sub_co_i32 s2, s2, s3
	v_dual_mov_b32 v0, s4 :: v_dual_mov_b32 v1, s5
	v_dual_mov_b32 v2, s6 :: v_dual_mov_b32 v3, s7
	v_mov_b32_e32 v4, s2
	s_swap_pc_i64 s[30:31], s[0:1]
	s_endpgm
	.section	.rodata,"a",@progbits
	.p2align	6, 0x0
	.amdhsa_kernel _ZN2at6native27unrolled_elementwise_kernelIZZZNS0_12_GLOBAL__N_121bessel_y1_kernel_cudaERNS_18TensorIteratorBaseEENKUlvE_clEvENKUlvE_clEvEUldE_St5arrayIPcLm2EELi4E23TrivialOffsetCalculatorILi1EjESC_NS0_6memory15LoadWithoutCastENSD_16StoreWithoutCastEEEviT_T0_T2_T3_T4_T5_
		.amdhsa_group_segment_fixed_size 0
		.amdhsa_private_segment_fixed_size 0
		.amdhsa_kernarg_size 28
		.amdhsa_user_sgpr_count 2
		.amdhsa_user_sgpr_dispatch_ptr 0
		.amdhsa_user_sgpr_queue_ptr 0
		.amdhsa_user_sgpr_kernarg_segment_ptr 1
		.amdhsa_user_sgpr_dispatch_id 0
		.amdhsa_user_sgpr_kernarg_preload_length 0
		.amdhsa_user_sgpr_kernarg_preload_offset 0
		.amdhsa_user_sgpr_private_segment_size 0
		.amdhsa_wavefront_size32 1
		.amdhsa_uses_dynamic_stack 0
		.amdhsa_enable_private_segment 0
		.amdhsa_system_sgpr_workgroup_id_x 1
		.amdhsa_system_sgpr_workgroup_id_y 0
		.amdhsa_system_sgpr_workgroup_id_z 0
		.amdhsa_system_sgpr_workgroup_info 0
		.amdhsa_system_vgpr_workitem_id 0
		.amdhsa_next_free_vgpr 101
		.amdhsa_next_free_sgpr 33
		.amdhsa_named_barrier_count 0
		.amdhsa_reserve_vcc 1
		.amdhsa_float_round_mode_32 0
		.amdhsa_float_round_mode_16_64 0
		.amdhsa_float_denorm_mode_32 3
		.amdhsa_float_denorm_mode_16_64 3
		.amdhsa_fp16_overflow 0
		.amdhsa_memory_ordered 1
		.amdhsa_forward_progress 1
		.amdhsa_inst_pref_size 1
		.amdhsa_round_robin_scheduling 0
		.amdhsa_exception_fp_ieee_invalid_op 0
		.amdhsa_exception_fp_denorm_src 0
		.amdhsa_exception_fp_ieee_div_zero 0
		.amdhsa_exception_fp_ieee_overflow 0
		.amdhsa_exception_fp_ieee_underflow 0
		.amdhsa_exception_fp_ieee_inexact 0
		.amdhsa_exception_int_div_zero 0
	.end_amdhsa_kernel
	.section	.text._ZN2at6native27unrolled_elementwise_kernelIZZZNS0_12_GLOBAL__N_121bessel_y1_kernel_cudaERNS_18TensorIteratorBaseEENKUlvE_clEvENKUlvE_clEvEUldE_St5arrayIPcLm2EELi4E23TrivialOffsetCalculatorILi1EjESC_NS0_6memory15LoadWithoutCastENSD_16StoreWithoutCastEEEviT_T0_T2_T3_T4_T5_,"axG",@progbits,_ZN2at6native27unrolled_elementwise_kernelIZZZNS0_12_GLOBAL__N_121bessel_y1_kernel_cudaERNS_18TensorIteratorBaseEENKUlvE_clEvENKUlvE_clEvEUldE_St5arrayIPcLm2EELi4E23TrivialOffsetCalculatorILi1EjESC_NS0_6memory15LoadWithoutCastENSD_16StoreWithoutCastEEEviT_T0_T2_T3_T4_T5_,comdat
.Lfunc_end6:
	.size	_ZN2at6native27unrolled_elementwise_kernelIZZZNS0_12_GLOBAL__N_121bessel_y1_kernel_cudaERNS_18TensorIteratorBaseEENKUlvE_clEvENKUlvE_clEvEUldE_St5arrayIPcLm2EELi4E23TrivialOffsetCalculatorILi1EjESC_NS0_6memory15LoadWithoutCastENSD_16StoreWithoutCastEEEviT_T0_T2_T3_T4_T5_, .Lfunc_end6-_ZN2at6native27unrolled_elementwise_kernelIZZZNS0_12_GLOBAL__N_121bessel_y1_kernel_cudaERNS_18TensorIteratorBaseEENKUlvE_clEvENKUlvE_clEvEUldE_St5arrayIPcLm2EELi4E23TrivialOffsetCalculatorILi1EjESC_NS0_6memory15LoadWithoutCastENSD_16StoreWithoutCastEEEviT_T0_T2_T3_T4_T5_
                                        ; -- End function
	.set _ZN2at6native27unrolled_elementwise_kernelIZZZNS0_12_GLOBAL__N_121bessel_y1_kernel_cudaERNS_18TensorIteratorBaseEENKUlvE_clEvENKUlvE_clEvEUldE_St5arrayIPcLm2EELi4E23TrivialOffsetCalculatorILi1EjESC_NS0_6memory15LoadWithoutCastENSD_16StoreWithoutCastEEEviT_T0_T2_T3_T4_T5_.num_vgpr, max(32, .L_ZN2at6native25elementwise_kernel_helperILb0EZZZNS0_12_GLOBAL__N_121bessel_y1_kernel_cudaERNS_18TensorIteratorBaseEENKUlvE_clEvENKUlvE_clEvEUldE_NS0_6memory8policies11unroll_baseILi256ESt5arrayIPcLm2EE23TrivialOffsetCalculatorILi1EjESF_NS8_15LoadWithoutCastENS8_16StoreWithoutCastELi4ELi1EEEEEvT0_T1_.num_vgpr)
	.set _ZN2at6native27unrolled_elementwise_kernelIZZZNS0_12_GLOBAL__N_121bessel_y1_kernel_cudaERNS_18TensorIteratorBaseEENKUlvE_clEvENKUlvE_clEvEUldE_St5arrayIPcLm2EELi4E23TrivialOffsetCalculatorILi1EjESC_NS0_6memory15LoadWithoutCastENSD_16StoreWithoutCastEEEviT_T0_T2_T3_T4_T5_.num_agpr, max(0, .L_ZN2at6native25elementwise_kernel_helperILb0EZZZNS0_12_GLOBAL__N_121bessel_y1_kernel_cudaERNS_18TensorIteratorBaseEENKUlvE_clEvENKUlvE_clEvEUldE_NS0_6memory8policies11unroll_baseILi256ESt5arrayIPcLm2EE23TrivialOffsetCalculatorILi1EjESF_NS8_15LoadWithoutCastENS8_16StoreWithoutCastELi4ELi1EEEEEvT0_T1_.num_agpr)
	.set _ZN2at6native27unrolled_elementwise_kernelIZZZNS0_12_GLOBAL__N_121bessel_y1_kernel_cudaERNS_18TensorIteratorBaseEENKUlvE_clEvENKUlvE_clEvEUldE_St5arrayIPcLm2EELi4E23TrivialOffsetCalculatorILi1EjESC_NS0_6memory15LoadWithoutCastENSD_16StoreWithoutCastEEEviT_T0_T2_T3_T4_T5_.numbered_sgpr, max(33, .L_ZN2at6native25elementwise_kernel_helperILb0EZZZNS0_12_GLOBAL__N_121bessel_y1_kernel_cudaERNS_18TensorIteratorBaseEENKUlvE_clEvENKUlvE_clEvEUldE_NS0_6memory8policies11unroll_baseILi256ESt5arrayIPcLm2EE23TrivialOffsetCalculatorILi1EjESF_NS8_15LoadWithoutCastENS8_16StoreWithoutCastELi4ELi1EEEEEvT0_T1_.numbered_sgpr)
	.set _ZN2at6native27unrolled_elementwise_kernelIZZZNS0_12_GLOBAL__N_121bessel_y1_kernel_cudaERNS_18TensorIteratorBaseEENKUlvE_clEvENKUlvE_clEvEUldE_St5arrayIPcLm2EELi4E23TrivialOffsetCalculatorILi1EjESC_NS0_6memory15LoadWithoutCastENSD_16StoreWithoutCastEEEviT_T0_T2_T3_T4_T5_.num_named_barrier, max(0, .L_ZN2at6native25elementwise_kernel_helperILb0EZZZNS0_12_GLOBAL__N_121bessel_y1_kernel_cudaERNS_18TensorIteratorBaseEENKUlvE_clEvENKUlvE_clEvEUldE_NS0_6memory8policies11unroll_baseILi256ESt5arrayIPcLm2EE23TrivialOffsetCalculatorILi1EjESF_NS8_15LoadWithoutCastENS8_16StoreWithoutCastELi4ELi1EEEEEvT0_T1_.num_named_barrier)
	.set _ZN2at6native27unrolled_elementwise_kernelIZZZNS0_12_GLOBAL__N_121bessel_y1_kernel_cudaERNS_18TensorIteratorBaseEENKUlvE_clEvENKUlvE_clEvEUldE_St5arrayIPcLm2EELi4E23TrivialOffsetCalculatorILi1EjESC_NS0_6memory15LoadWithoutCastENSD_16StoreWithoutCastEEEviT_T0_T2_T3_T4_T5_.private_seg_size, 0+max(.L_ZN2at6native25elementwise_kernel_helperILb0EZZZNS0_12_GLOBAL__N_121bessel_y1_kernel_cudaERNS_18TensorIteratorBaseEENKUlvE_clEvENKUlvE_clEvEUldE_NS0_6memory8policies11unroll_baseILi256ESt5arrayIPcLm2EE23TrivialOffsetCalculatorILi1EjESF_NS8_15LoadWithoutCastENS8_16StoreWithoutCastELi4ELi1EEEEEvT0_T1_.private_seg_size)
	.set _ZN2at6native27unrolled_elementwise_kernelIZZZNS0_12_GLOBAL__N_121bessel_y1_kernel_cudaERNS_18TensorIteratorBaseEENKUlvE_clEvENKUlvE_clEvEUldE_St5arrayIPcLm2EELi4E23TrivialOffsetCalculatorILi1EjESC_NS0_6memory15LoadWithoutCastENSD_16StoreWithoutCastEEEviT_T0_T2_T3_T4_T5_.uses_vcc, or(1, .L_ZN2at6native25elementwise_kernel_helperILb0EZZZNS0_12_GLOBAL__N_121bessel_y1_kernel_cudaERNS_18TensorIteratorBaseEENKUlvE_clEvENKUlvE_clEvEUldE_NS0_6memory8policies11unroll_baseILi256ESt5arrayIPcLm2EE23TrivialOffsetCalculatorILi1EjESF_NS8_15LoadWithoutCastENS8_16StoreWithoutCastELi4ELi1EEEEEvT0_T1_.uses_vcc)
	.set _ZN2at6native27unrolled_elementwise_kernelIZZZNS0_12_GLOBAL__N_121bessel_y1_kernel_cudaERNS_18TensorIteratorBaseEENKUlvE_clEvENKUlvE_clEvEUldE_St5arrayIPcLm2EELi4E23TrivialOffsetCalculatorILi1EjESC_NS0_6memory15LoadWithoutCastENSD_16StoreWithoutCastEEEviT_T0_T2_T3_T4_T5_.uses_flat_scratch, or(0, .L_ZN2at6native25elementwise_kernel_helperILb0EZZZNS0_12_GLOBAL__N_121bessel_y1_kernel_cudaERNS_18TensorIteratorBaseEENKUlvE_clEvENKUlvE_clEvEUldE_NS0_6memory8policies11unroll_baseILi256ESt5arrayIPcLm2EE23TrivialOffsetCalculatorILi1EjESF_NS8_15LoadWithoutCastENS8_16StoreWithoutCastELi4ELi1EEEEEvT0_T1_.uses_flat_scratch)
	.set _ZN2at6native27unrolled_elementwise_kernelIZZZNS0_12_GLOBAL__N_121bessel_y1_kernel_cudaERNS_18TensorIteratorBaseEENKUlvE_clEvENKUlvE_clEvEUldE_St5arrayIPcLm2EELi4E23TrivialOffsetCalculatorILi1EjESC_NS0_6memory15LoadWithoutCastENSD_16StoreWithoutCastEEEviT_T0_T2_T3_T4_T5_.has_dyn_sized_stack, or(0, .L_ZN2at6native25elementwise_kernel_helperILb0EZZZNS0_12_GLOBAL__N_121bessel_y1_kernel_cudaERNS_18TensorIteratorBaseEENKUlvE_clEvENKUlvE_clEvEUldE_NS0_6memory8policies11unroll_baseILi256ESt5arrayIPcLm2EE23TrivialOffsetCalculatorILi1EjESF_NS8_15LoadWithoutCastENS8_16StoreWithoutCastELi4ELi1EEEEEvT0_T1_.has_dyn_sized_stack)
	.set _ZN2at6native27unrolled_elementwise_kernelIZZZNS0_12_GLOBAL__N_121bessel_y1_kernel_cudaERNS_18TensorIteratorBaseEENKUlvE_clEvENKUlvE_clEvEUldE_St5arrayIPcLm2EELi4E23TrivialOffsetCalculatorILi1EjESC_NS0_6memory15LoadWithoutCastENSD_16StoreWithoutCastEEEviT_T0_T2_T3_T4_T5_.has_recursion, or(0, .L_ZN2at6native25elementwise_kernel_helperILb0EZZZNS0_12_GLOBAL__N_121bessel_y1_kernel_cudaERNS_18TensorIteratorBaseEENKUlvE_clEvENKUlvE_clEvEUldE_NS0_6memory8policies11unroll_baseILi256ESt5arrayIPcLm2EE23TrivialOffsetCalculatorILi1EjESF_NS8_15LoadWithoutCastENS8_16StoreWithoutCastELi4ELi1EEEEEvT0_T1_.has_recursion)
	.set _ZN2at6native27unrolled_elementwise_kernelIZZZNS0_12_GLOBAL__N_121bessel_y1_kernel_cudaERNS_18TensorIteratorBaseEENKUlvE_clEvENKUlvE_clEvEUldE_St5arrayIPcLm2EELi4E23TrivialOffsetCalculatorILi1EjESC_NS0_6memory15LoadWithoutCastENSD_16StoreWithoutCastEEEviT_T0_T2_T3_T4_T5_.has_indirect_call, or(0, .L_ZN2at6native25elementwise_kernel_helperILb0EZZZNS0_12_GLOBAL__N_121bessel_y1_kernel_cudaERNS_18TensorIteratorBaseEENKUlvE_clEvENKUlvE_clEvEUldE_NS0_6memory8policies11unroll_baseILi256ESt5arrayIPcLm2EE23TrivialOffsetCalculatorILi1EjESF_NS8_15LoadWithoutCastENS8_16StoreWithoutCastELi4ELi1EEEEEvT0_T1_.has_indirect_call)
	.section	.AMDGPU.csdata,"",@progbits
; Kernel info:
; codeLenInByte = 124
; TotalNumSgprs: 35
; NumVgprs: 101
; ScratchSize: 0
; MemoryBound: 0
; FloatMode: 240
; IeeeMode: 1
; LDSByteSize: 0 bytes/workgroup (compile time only)
; SGPRBlocks: 0
; VGPRBlocks: 6
; NumSGPRsForWavesPerEU: 35
; NumVGPRsForWavesPerEU: 101
; NamedBarCnt: 0
; Occupancy: 9
; WaveLimiterHint : 0
; COMPUTE_PGM_RSRC2:SCRATCH_EN: 0
; COMPUTE_PGM_RSRC2:USER_SGPR: 2
; COMPUTE_PGM_RSRC2:TRAP_HANDLER: 0
; COMPUTE_PGM_RSRC2:TGID_X_EN: 1
; COMPUTE_PGM_RSRC2:TGID_Y_EN: 0
; COMPUTE_PGM_RSRC2:TGID_Z_EN: 0
; COMPUTE_PGM_RSRC2:TIDIG_COMP_CNT: 0
	.section	.text._ZN2at6native32elementwise_kernel_manual_unrollILi128ELi4EZNS0_22gpu_kernel_impl_nocastIZZZNS0_12_GLOBAL__N_121bessel_y1_kernel_cudaERNS_18TensorIteratorBaseEENKUlvE_clEvENKUlvE_clEvEUldE_EEvS5_RKT_EUlibE_EEviT1_,"axG",@progbits,_ZN2at6native32elementwise_kernel_manual_unrollILi128ELi4EZNS0_22gpu_kernel_impl_nocastIZZZNS0_12_GLOBAL__N_121bessel_y1_kernel_cudaERNS_18TensorIteratorBaseEENKUlvE_clEvENKUlvE_clEvEUldE_EEvS5_RKT_EUlibE_EEviT1_,comdat
	.globl	_ZN2at6native32elementwise_kernel_manual_unrollILi128ELi4EZNS0_22gpu_kernel_impl_nocastIZZZNS0_12_GLOBAL__N_121bessel_y1_kernel_cudaERNS_18TensorIteratorBaseEENKUlvE_clEvENKUlvE_clEvEUldE_EEvS5_RKT_EUlibE_EEviT1_ ; -- Begin function _ZN2at6native32elementwise_kernel_manual_unrollILi128ELi4EZNS0_22gpu_kernel_impl_nocastIZZZNS0_12_GLOBAL__N_121bessel_y1_kernel_cudaERNS_18TensorIteratorBaseEENKUlvE_clEvENKUlvE_clEvEUldE_EEvS5_RKT_EUlibE_EEviT1_
	.p2align	8
	.type	_ZN2at6native32elementwise_kernel_manual_unrollILi128ELi4EZNS0_22gpu_kernel_impl_nocastIZZZNS0_12_GLOBAL__N_121bessel_y1_kernel_cudaERNS_18TensorIteratorBaseEENKUlvE_clEvENKUlvE_clEvEUldE_EEvS5_RKT_EUlibE_EEviT1_,@function
_ZN2at6native32elementwise_kernel_manual_unrollILi128ELi4EZNS0_22gpu_kernel_impl_nocastIZZZNS0_12_GLOBAL__N_121bessel_y1_kernel_cudaERNS_18TensorIteratorBaseEENKUlvE_clEvENKUlvE_clEvEUldE_EEvS5_RKT_EUlibE_EEviT1_: ; @_ZN2at6native32elementwise_kernel_manual_unrollILi128ELi4EZNS0_22gpu_kernel_impl_nocastIZZZNS0_12_GLOBAL__N_121bessel_y1_kernel_cudaERNS_18TensorIteratorBaseEENKUlvE_clEvENKUlvE_clEvEUldE_EEvS5_RKT_EUlibE_EEviT1_
; %bb.0:
	s_clause 0x1
	s_load_b32 s28, s[0:1], 0x8
	s_load_b32 s34, s[0:1], 0x0
	s_bfe_u32 s2, ttmp6, 0x4000c
	s_and_b32 s3, ttmp6, 15
	s_add_co_i32 s2, s2, 1
	s_getreg_b32 s4, hwreg(HW_REG_IB_STS2, 6, 4)
	s_mul_i32 s2, ttmp9, s2
	s_add_nc_u64 s[16:17], s[0:1], 8
	s_add_co_i32 s3, s3, s2
	s_cmp_eq_u32 s4, 0
	s_mov_b32 s19, 0
	s_cselect_b32 s2, ttmp9, s3
	s_wait_xcnt 0x0
	s_mov_b32 s0, exec_lo
	v_lshl_or_b32 v4, s2, 9, v0
	s_delay_alu instid0(VALU_DEP_1) | instskip(SKIP_2) | instid1(SALU_CYCLE_1)
	v_or_b32_e32 v8, 0x180, v4
	s_wait_kmcnt 0x0
	s_add_co_i32 s29, s28, -1
	s_cmp_gt_u32 s29, 1
	s_cselect_b32 s30, -1, 0
	v_cmpx_le_i32_e64 s34, v8
	s_xor_b32 s31, exec_lo, s0
	s_cbranch_execz .LBB7_7
; %bb.1:
	s_clause 0x3
	s_load_b128 s[8:11], s[16:17], 0x4
	s_load_b64 s[2:3], s[16:17], 0x14
	s_load_b128 s[12:15], s[16:17], 0xc4
	s_load_b128 s[4:7], s[16:17], 0x148
	s_cmp_lg_u32 s28, 0
	s_add_nc_u64 s[22:23], s[16:17], 0xc4
	s_cselect_b32 s36, -1, 0
	s_min_u32 s35, s29, 15
	s_cmp_gt_u32 s28, 1
	s_mov_b32 s21, s19
	s_cselect_b32 s33, -1, 0
	s_wait_kmcnt 0x0
	s_mov_b32 s18, s9
	s_mov_b32 s20, s2
	s_mov_b32 s9, exec_lo
	v_cmpx_gt_i32_e64 s34, v4
	s_cbranch_execz .LBB7_14
; %bb.2:
	s_and_not1_b32 vcc_lo, exec_lo, s30
	s_cbranch_vccnz .LBB7_21
; %bb.3:
	s_and_not1_b32 vcc_lo, exec_lo, s36
	s_cbranch_vccnz .LBB7_137
; %bb.4:
	s_add_co_i32 s1, s35, 1
	s_cmp_eq_u32 s29, 2
	s_cbranch_scc1 .LBB7_139
; %bb.5:
	v_dual_mov_b32 v0, 0 :: v_dual_mov_b32 v1, 0
	v_mov_b32_e32 v2, v4
	s_and_b32 s0, s1, 28
	s_mov_b32 s2, 0
	s_mov_b64 s[24:25], s[16:17]
	s_mov_b64 s[26:27], s[22:23]
.LBB7_6:                                ; =>This Inner Loop Header: Depth=1
	s_clause 0x1
	s_load_b256 s[40:47], s[24:25], 0x4
	s_load_b128 s[56:59], s[24:25], 0x24
	s_load_b256 s[48:55], s[26:27], 0x0
	s_add_co_i32 s2, s2, 4
	s_wait_xcnt 0x0
	s_add_nc_u64 s[24:25], s[24:25], 48
	s_cmp_lg_u32 s0, s2
	s_add_nc_u64 s[26:27], s[26:27], 32
	s_wait_kmcnt 0x0
	v_mul_hi_u32 v3, s41, v2
	s_delay_alu instid0(VALU_DEP_1) | instskip(NEXT) | instid1(VALU_DEP_1)
	v_add_nc_u32_e32 v3, v2, v3
	v_lshrrev_b32_e32 v3, s42, v3
	s_delay_alu instid0(VALU_DEP_1) | instskip(NEXT) | instid1(VALU_DEP_1)
	v_mul_hi_u32 v5, s44, v3
	v_add_nc_u32_e32 v5, v3, v5
	s_delay_alu instid0(VALU_DEP_1) | instskip(NEXT) | instid1(VALU_DEP_1)
	v_lshrrev_b32_e32 v5, s45, v5
	v_mul_hi_u32 v6, s47, v5
	s_delay_alu instid0(VALU_DEP_1) | instskip(SKIP_1) | instid1(VALU_DEP_1)
	v_add_nc_u32_e32 v6, v5, v6
	v_mul_lo_u32 v7, v3, s40
	v_sub_nc_u32_e32 v2, v2, v7
	v_mul_lo_u32 v7, v5, s43
	s_delay_alu instid0(VALU_DEP_4) | instskip(NEXT) | instid1(VALU_DEP_3)
	v_lshrrev_b32_e32 v6, s56, v6
	v_mad_u32 v1, v2, s49, v1
	v_mad_u32 v0, v2, s48, v0
	s_delay_alu instid0(VALU_DEP_4) | instskip(NEXT) | instid1(VALU_DEP_4)
	v_sub_nc_u32_e32 v2, v3, v7
	v_mul_hi_u32 v8, s58, v6
	v_mul_lo_u32 v3, v6, s46
	s_delay_alu instid0(VALU_DEP_3) | instskip(SKIP_1) | instid1(VALU_DEP_3)
	v_mad_u32 v1, v2, s51, v1
	v_mad_u32 v0, v2, s50, v0
	v_dual_add_nc_u32 v7, v6, v8 :: v_dual_sub_nc_u32 v3, v5, v3
	s_delay_alu instid0(VALU_DEP_1) | instskip(NEXT) | instid1(VALU_DEP_2)
	v_lshrrev_b32_e32 v2, s59, v7
	v_mad_u32 v1, v3, s53, v1
	s_delay_alu instid0(VALU_DEP_4) | instskip(NEXT) | instid1(VALU_DEP_3)
	v_mad_u32 v0, v3, s52, v0
	v_mul_lo_u32 v5, v2, s57
	s_delay_alu instid0(VALU_DEP_1) | instskip(NEXT) | instid1(VALU_DEP_1)
	v_sub_nc_u32_e32 v3, v6, v5
	v_mad_u32 v1, v3, s55, v1
	s_delay_alu instid0(VALU_DEP_4)
	v_mad_u32 v0, v3, s54, v0
	s_cbranch_scc1 .LBB7_6
	s_branch .LBB7_140
.LBB7_7:
	s_and_not1_saveexec_b32 s0, s31
	s_cbranch_execz .LBB7_197
.LBB7_8:
	v_cndmask_b32_e64 v6, 0, 1, s30
	s_and_not1_b32 vcc_lo, exec_lo, s30
	s_cbranch_vccnz .LBB7_20
; %bb.9:
	s_cmp_lg_u32 s28, 0
	s_mov_b32 s6, 0
	s_cbranch_scc0 .LBB7_23
; %bb.10:
	s_min_u32 s1, s29, 15
	s_delay_alu instid0(SALU_CYCLE_1)
	s_add_co_i32 s1, s1, 1
	s_cmp_eq_u32 s29, 2
	s_cbranch_scc1 .LBB7_24
; %bb.11:
	v_dual_mov_b32 v0, 0 :: v_dual_mov_b32 v1, 0
	v_mov_b32_e32 v2, v4
	s_and_b32 s0, s1, 28
	s_add_nc_u64 s[2:3], s[16:17], 0xc4
	s_mov_b32 s7, 0
	s_mov_b64 s[4:5], s[16:17]
.LBB7_12:                               ; =>This Inner Loop Header: Depth=1
	s_clause 0x1
	s_load_b256 s[8:15], s[4:5], 0x4
	s_load_b128 s[36:39], s[4:5], 0x24
	s_load_b256 s[20:27], s[2:3], 0x0
	s_add_co_i32 s7, s7, 4
	s_wait_xcnt 0x0
	s_add_nc_u64 s[4:5], s[4:5], 48
	s_cmp_lg_u32 s0, s7
	s_add_nc_u64 s[2:3], s[2:3], 32
	s_wait_kmcnt 0x0
	v_mul_hi_u32 v3, s9, v2
	s_delay_alu instid0(VALU_DEP_1) | instskip(NEXT) | instid1(VALU_DEP_1)
	v_add_nc_u32_e32 v3, v2, v3
	v_lshrrev_b32_e32 v3, s10, v3
	s_delay_alu instid0(VALU_DEP_1) | instskip(NEXT) | instid1(VALU_DEP_1)
	v_mul_lo_u32 v9, v3, s8
	v_sub_nc_u32_e32 v2, v2, v9
	v_mul_hi_u32 v5, s12, v3
	s_delay_alu instid0(VALU_DEP_2) | instskip(SKIP_1) | instid1(VALU_DEP_3)
	v_mad_u32 v1, v2, s21, v1
	v_mad_u32 v0, v2, s20, v0
	v_add_nc_u32_e32 v5, v3, v5
	s_delay_alu instid0(VALU_DEP_1) | instskip(NEXT) | instid1(VALU_DEP_1)
	v_lshrrev_b32_e32 v5, s13, v5
	v_mul_hi_u32 v7, s15, v5
	v_mul_lo_u32 v9, v5, s11
	s_delay_alu instid0(VALU_DEP_1) | instskip(NEXT) | instid1(VALU_DEP_1)
	v_dual_add_nc_u32 v7, v5, v7 :: v_dual_sub_nc_u32 v2, v3, v9
	v_lshrrev_b32_e32 v7, s36, v7
	s_delay_alu instid0(VALU_DEP_2) | instskip(SKIP_1) | instid1(VALU_DEP_3)
	v_mad_u32 v1, v2, s23, v1
	v_mad_u32 v0, v2, s22, v0
	v_mul_hi_u32 v10, s38, v7
	v_mul_lo_u32 v3, v7, s14
	s_delay_alu instid0(VALU_DEP_1) | instskip(NEXT) | instid1(VALU_DEP_1)
	v_dual_add_nc_u32 v9, v7, v10 :: v_dual_sub_nc_u32 v3, v5, v3
	v_lshrrev_b32_e32 v2, s39, v9
	s_delay_alu instid0(VALU_DEP_2) | instskip(SKIP_1) | instid1(VALU_DEP_3)
	v_mad_u32 v1, v3, s25, v1
	v_mad_u32 v0, v3, s24, v0
	v_mul_lo_u32 v5, v2, s37
	s_delay_alu instid0(VALU_DEP_1) | instskip(NEXT) | instid1(VALU_DEP_1)
	v_sub_nc_u32_e32 v3, v7, v5
	v_mad_u32 v1, v3, s27, v1
	s_delay_alu instid0(VALU_DEP_4)
	v_mad_u32 v0, v3, s26, v0
	s_cbranch_scc1 .LBB7_12
; %bb.13:
	s_and_b32 s4, s1, 3
	s_mov_b32 s1, 0
	s_cmp_eq_u32 s4, 0
	s_cbranch_scc0 .LBB7_25
	s_branch .LBB7_27
.LBB7_14:
	s_or_b32 exec_lo, exec_lo, s9
	s_delay_alu instid0(SALU_CYCLE_1)
	s_mov_b32 s9, exec_lo
	v_cmpx_gt_i32_e64 s34, v4
	s_cbranch_execz .LBB7_163
.LBB7_15:
	s_and_not1_b32 vcc_lo, exec_lo, s30
	s_cbranch_vccnz .LBB7_22
; %bb.16:
	s_and_not1_b32 vcc_lo, exec_lo, s36
	s_cbranch_vccnz .LBB7_138
; %bb.17:
	s_add_co_i32 s1, s35, 1
	s_cmp_eq_u32 s29, 2
	s_cbranch_scc1 .LBB7_171
; %bb.18:
	v_dual_mov_b32 v0, 0 :: v_dual_mov_b32 v1, 0
	v_mov_b32_e32 v2, v4
	s_and_b32 s0, s1, 28
	s_mov_b32 s2, 0
	s_mov_b64 s[24:25], s[16:17]
	s_mov_b64 s[26:27], s[22:23]
.LBB7_19:                               ; =>This Inner Loop Header: Depth=1
	s_clause 0x1
	s_load_b256 s[40:47], s[24:25], 0x4
	s_load_b128 s[56:59], s[24:25], 0x24
	s_load_b256 s[48:55], s[26:27], 0x0
	s_add_co_i32 s2, s2, 4
	s_wait_xcnt 0x0
	s_add_nc_u64 s[24:25], s[24:25], 48
	s_cmp_eq_u32 s0, s2
	s_add_nc_u64 s[26:27], s[26:27], 32
	s_wait_kmcnt 0x0
	v_mul_hi_u32 v3, s41, v2
	s_delay_alu instid0(VALU_DEP_1) | instskip(NEXT) | instid1(VALU_DEP_1)
	v_add_nc_u32_e32 v3, v2, v3
	v_lshrrev_b32_e32 v3, s42, v3
	s_delay_alu instid0(VALU_DEP_1) | instskip(NEXT) | instid1(VALU_DEP_1)
	v_mul_hi_u32 v5, s44, v3
	v_add_nc_u32_e32 v5, v3, v5
	s_delay_alu instid0(VALU_DEP_1) | instskip(NEXT) | instid1(VALU_DEP_1)
	v_lshrrev_b32_e32 v5, s45, v5
	v_mul_hi_u32 v6, s47, v5
	s_delay_alu instid0(VALU_DEP_1) | instskip(SKIP_1) | instid1(VALU_DEP_1)
	v_add_nc_u32_e32 v6, v5, v6
	v_mul_lo_u32 v7, v3, s40
	v_sub_nc_u32_e32 v2, v2, v7
	v_mul_lo_u32 v7, v5, s43
	s_delay_alu instid0(VALU_DEP_4) | instskip(NEXT) | instid1(VALU_DEP_3)
	v_lshrrev_b32_e32 v6, s56, v6
	v_mad_u32 v1, v2, s49, v1
	v_mad_u32 v0, v2, s48, v0
	s_delay_alu instid0(VALU_DEP_4) | instskip(NEXT) | instid1(VALU_DEP_4)
	v_sub_nc_u32_e32 v2, v3, v7
	v_mul_hi_u32 v8, s58, v6
	v_mul_lo_u32 v3, v6, s46
	s_delay_alu instid0(VALU_DEP_3) | instskip(SKIP_1) | instid1(VALU_DEP_3)
	v_mad_u32 v1, v2, s51, v1
	v_mad_u32 v0, v2, s50, v0
	v_dual_add_nc_u32 v7, v6, v8 :: v_dual_sub_nc_u32 v3, v5, v3
	s_delay_alu instid0(VALU_DEP_1) | instskip(NEXT) | instid1(VALU_DEP_2)
	v_lshrrev_b32_e32 v2, s59, v7
	v_mad_u32 v1, v3, s53, v1
	s_delay_alu instid0(VALU_DEP_4) | instskip(NEXT) | instid1(VALU_DEP_3)
	v_mad_u32 v0, v3, s52, v0
	v_mul_lo_u32 v5, v2, s57
	s_delay_alu instid0(VALU_DEP_1) | instskip(NEXT) | instid1(VALU_DEP_1)
	v_sub_nc_u32_e32 v3, v6, v5
	v_mad_u32 v1, v3, s55, v1
	s_delay_alu instid0(VALU_DEP_4)
	v_mad_u32 v0, v3, s54, v0
	s_cbranch_scc0 .LBB7_19
	s_branch .LBB7_172
.LBB7_20:
	s_mov_b32 s6, -1
                                        ; implicit-def: $vgpr1
	s_branch .LBB7_27
.LBB7_21:
                                        ; implicit-def: $vgpr1
	s_branch .LBB7_144
.LBB7_22:
                                        ; implicit-def: $vgpr1
	s_branch .LBB7_176
.LBB7_23:
	v_dual_mov_b32 v1, 0 :: v_dual_mov_b32 v0, 0
	s_branch .LBB7_27
.LBB7_24:
	v_mov_b64_e32 v[0:1], 0
	v_mov_b32_e32 v2, v4
	s_mov_b32 s0, 0
	s_and_b32 s4, s1, 3
	s_mov_b32 s1, 0
	s_cmp_eq_u32 s4, 0
	s_cbranch_scc1 .LBB7_27
.LBB7_25:
	s_lshl_b32 s2, s0, 3
	s_mov_b32 s3, s1
	s_mul_u64 s[8:9], s[0:1], 12
	s_add_nc_u64 s[2:3], s[16:17], s[2:3]
	s_delay_alu instid0(SALU_CYCLE_1)
	s_add_nc_u64 s[0:1], s[2:3], 0xc4
	s_add_nc_u64 s[2:3], s[16:17], s[8:9]
.LBB7_26:                               ; =>This Inner Loop Header: Depth=1
	s_load_b96 s[8:10], s[2:3], 0x4
	s_add_co_i32 s4, s4, -1
	s_wait_xcnt 0x0
	s_add_nc_u64 s[2:3], s[2:3], 12
	s_cmp_lg_u32 s4, 0
	s_wait_kmcnt 0x0
	v_mul_hi_u32 v3, s9, v2
	s_delay_alu instid0(VALU_DEP_1) | instskip(NEXT) | instid1(VALU_DEP_1)
	v_add_nc_u32_e32 v3, v2, v3
	v_lshrrev_b32_e32 v3, s10, v3
	s_load_b64 s[10:11], s[0:1], 0x0
	s_wait_xcnt 0x0
	s_add_nc_u64 s[0:1], s[0:1], 8
	s_delay_alu instid0(VALU_DEP_1) | instskip(NEXT) | instid1(VALU_DEP_1)
	v_mul_lo_u32 v5, v3, s8
	v_sub_nc_u32_e32 v2, v2, v5
	s_wait_kmcnt 0x0
	s_delay_alu instid0(VALU_DEP_1)
	v_mad_u32 v1, v2, s11, v1
	v_mad_u32 v0, v2, s10, v0
	v_mov_b32_e32 v2, v3
	s_cbranch_scc1 .LBB7_26
.LBB7_27:
	s_and_not1_b32 vcc_lo, exec_lo, s6
	s_cbranch_vccnz .LBB7_30
; %bb.28:
	s_clause 0x1
	s_load_b96 s[0:2], s[16:17], 0x4
	s_load_b64 s[4:5], s[16:17], 0xc4
	s_cmp_lt_u32 s28, 2
	s_wait_kmcnt 0x0
	v_mul_hi_u32 v0, s1, v4
	s_delay_alu instid0(VALU_DEP_1) | instskip(NEXT) | instid1(VALU_DEP_1)
	v_add_nc_u32_e32 v0, v4, v0
	v_lshrrev_b32_e32 v2, s2, v0
	s_delay_alu instid0(VALU_DEP_1) | instskip(NEXT) | instid1(VALU_DEP_1)
	v_mul_lo_u32 v0, v2, s0
	v_sub_nc_u32_e32 v0, v4, v0
	s_delay_alu instid0(VALU_DEP_1)
	v_mul_lo_u32 v1, v0, s5
	v_mul_lo_u32 v0, v0, s4
	s_cbranch_scc1 .LBB7_30
; %bb.29:
	s_clause 0x1
	s_load_b96 s[0:2], s[16:17], 0x10
	s_load_b64 s[4:5], s[16:17], 0xcc
	s_wait_kmcnt 0x0
	v_mul_hi_u32 v3, s1, v2
	s_delay_alu instid0(VALU_DEP_1) | instskip(NEXT) | instid1(VALU_DEP_1)
	v_add_nc_u32_e32 v3, v2, v3
	v_lshrrev_b32_e32 v3, s2, v3
	s_delay_alu instid0(VALU_DEP_1) | instskip(NEXT) | instid1(VALU_DEP_1)
	v_mul_lo_u32 v3, v3, s0
	v_sub_nc_u32_e32 v2, v2, v3
	s_delay_alu instid0(VALU_DEP_1)
	v_mad_u32 v0, v2, s4, v0
	v_mad_u32 v1, v2, s5, v1
.LBB7_30:
	v_cmp_ne_u32_e32 vcc_lo, 1, v6
	v_add_nc_u32_e32 v5, 0x80, v4
	s_cbranch_vccnz .LBB7_36
; %bb.31:
	s_cmp_lg_u32 s28, 0
	s_mov_b32 s6, 0
	s_cbranch_scc0 .LBB7_37
; %bb.32:
	s_min_u32 s1, s29, 15
	s_delay_alu instid0(SALU_CYCLE_1)
	s_add_co_i32 s1, s1, 1
	s_cmp_eq_u32 s29, 2
	s_cbranch_scc1 .LBB7_38
; %bb.33:
	v_dual_mov_b32 v2, 0 :: v_dual_mov_b32 v3, 0
	v_mov_b32_e32 v7, v5
	s_and_b32 s0, s1, 28
	s_add_nc_u64 s[2:3], s[16:17], 0xc4
	s_mov_b32 s7, 0
	s_mov_b64 s[4:5], s[16:17]
.LBB7_34:                               ; =>This Inner Loop Header: Depth=1
	s_clause 0x1
	s_load_b256 s[8:15], s[4:5], 0x4
	s_load_b128 s[36:39], s[4:5], 0x24
	s_load_b256 s[20:27], s[2:3], 0x0
	s_add_co_i32 s7, s7, 4
	s_wait_xcnt 0x0
	s_add_nc_u64 s[4:5], s[4:5], 48
	s_cmp_lg_u32 s0, s7
	s_add_nc_u64 s[2:3], s[2:3], 32
	s_wait_kmcnt 0x0
	v_mul_hi_u32 v9, s9, v7
	s_delay_alu instid0(VALU_DEP_1) | instskip(NEXT) | instid1(VALU_DEP_1)
	v_add_nc_u32_e32 v9, v7, v9
	v_lshrrev_b32_e32 v9, s10, v9
	s_delay_alu instid0(VALU_DEP_1) | instskip(NEXT) | instid1(VALU_DEP_1)
	v_mul_hi_u32 v10, s12, v9
	v_add_nc_u32_e32 v10, v9, v10
	s_delay_alu instid0(VALU_DEP_1) | instskip(NEXT) | instid1(VALU_DEP_1)
	v_lshrrev_b32_e32 v10, s13, v10
	v_mul_hi_u32 v11, s15, v10
	s_delay_alu instid0(VALU_DEP_1) | instskip(SKIP_1) | instid1(VALU_DEP_1)
	v_add_nc_u32_e32 v11, v10, v11
	v_mul_lo_u32 v12, v9, s8
	v_sub_nc_u32_e32 v7, v7, v12
	v_mul_lo_u32 v12, v10, s11
	s_delay_alu instid0(VALU_DEP_4) | instskip(NEXT) | instid1(VALU_DEP_3)
	v_lshrrev_b32_e32 v11, s36, v11
	v_mad_u32 v3, v7, s21, v3
	v_mad_u32 v2, v7, s20, v2
	s_delay_alu instid0(VALU_DEP_4) | instskip(NEXT) | instid1(VALU_DEP_4)
	v_sub_nc_u32_e32 v7, v9, v12
	v_mul_hi_u32 v13, s38, v11
	v_mul_lo_u32 v9, v11, s14
	s_delay_alu instid0(VALU_DEP_3) | instskip(SKIP_1) | instid1(VALU_DEP_4)
	v_mad_u32 v3, v7, s23, v3
	v_mad_u32 v2, v7, s22, v2
	v_add_nc_u32_e32 v12, v11, v13
	s_delay_alu instid0(VALU_DEP_1) | instskip(NEXT) | instid1(VALU_DEP_1)
	v_dual_sub_nc_u32 v9, v10, v9 :: v_dual_lshrrev_b32 v7, s39, v12
	v_mad_u32 v3, v9, s25, v3
	s_delay_alu instid0(VALU_DEP_4) | instskip(NEXT) | instid1(VALU_DEP_3)
	v_mad_u32 v2, v9, s24, v2
	v_mul_lo_u32 v10, v7, s37
	s_delay_alu instid0(VALU_DEP_1) | instskip(NEXT) | instid1(VALU_DEP_1)
	v_sub_nc_u32_e32 v9, v11, v10
	v_mad_u32 v3, v9, s27, v3
	s_delay_alu instid0(VALU_DEP_4)
	v_mad_u32 v2, v9, s26, v2
	s_cbranch_scc1 .LBB7_34
; %bb.35:
	s_and_b32 s4, s1, 3
	s_mov_b32 s1, 0
	s_cmp_eq_u32 s4, 0
	s_cbranch_scc0 .LBB7_39
	s_branch .LBB7_41
.LBB7_36:
	s_mov_b32 s6, -1
                                        ; implicit-def: $vgpr3
	s_branch .LBB7_41
.LBB7_37:
	v_dual_mov_b32 v3, 0 :: v_dual_mov_b32 v2, 0
	s_branch .LBB7_41
.LBB7_38:
	v_mov_b64_e32 v[2:3], 0
	v_mov_b32_e32 v7, v5
	s_mov_b32 s0, 0
	s_and_b32 s4, s1, 3
	s_mov_b32 s1, 0
	s_cmp_eq_u32 s4, 0
	s_cbranch_scc1 .LBB7_41
.LBB7_39:
	s_lshl_b32 s2, s0, 3
	s_mov_b32 s3, s1
	s_mul_u64 s[8:9], s[0:1], 12
	s_add_nc_u64 s[2:3], s[16:17], s[2:3]
	s_delay_alu instid0(SALU_CYCLE_1)
	s_add_nc_u64 s[0:1], s[2:3], 0xc4
	s_add_nc_u64 s[2:3], s[16:17], s[8:9]
.LBB7_40:                               ; =>This Inner Loop Header: Depth=1
	s_load_b96 s[8:10], s[2:3], 0x4
	s_add_co_i32 s4, s4, -1
	s_wait_xcnt 0x0
	s_add_nc_u64 s[2:3], s[2:3], 12
	s_cmp_lg_u32 s4, 0
	s_wait_kmcnt 0x0
	v_mul_hi_u32 v9, s9, v7
	s_delay_alu instid0(VALU_DEP_1) | instskip(NEXT) | instid1(VALU_DEP_1)
	v_add_nc_u32_e32 v9, v7, v9
	v_lshrrev_b32_e32 v9, s10, v9
	s_load_b64 s[10:11], s[0:1], 0x0
	s_wait_xcnt 0x0
	s_add_nc_u64 s[0:1], s[0:1], 8
	s_delay_alu instid0(VALU_DEP_1) | instskip(NEXT) | instid1(VALU_DEP_1)
	v_mul_lo_u32 v10, v9, s8
	v_sub_nc_u32_e32 v7, v7, v10
	s_wait_kmcnt 0x0
	s_delay_alu instid0(VALU_DEP_1)
	v_mad_u32 v3, v7, s11, v3
	v_mad_u32 v2, v7, s10, v2
	v_mov_b32_e32 v7, v9
	s_cbranch_scc1 .LBB7_40
.LBB7_41:
	s_and_not1_b32 vcc_lo, exec_lo, s6
	s_cbranch_vccnz .LBB7_44
; %bb.42:
	s_clause 0x1
	s_load_b96 s[0:2], s[16:17], 0x4
	s_load_b64 s[4:5], s[16:17], 0xc4
	s_cmp_lt_u32 s28, 2
	s_wait_kmcnt 0x0
	v_mul_hi_u32 v2, s1, v5
	s_delay_alu instid0(VALU_DEP_1) | instskip(NEXT) | instid1(VALU_DEP_1)
	v_add_nc_u32_e32 v2, v5, v2
	v_lshrrev_b32_e32 v7, s2, v2
	s_delay_alu instid0(VALU_DEP_1) | instskip(NEXT) | instid1(VALU_DEP_1)
	v_mul_lo_u32 v2, v7, s0
	v_sub_nc_u32_e32 v2, v5, v2
	s_delay_alu instid0(VALU_DEP_1)
	v_mul_lo_u32 v3, v2, s5
	v_mul_lo_u32 v2, v2, s4
	s_cbranch_scc1 .LBB7_44
; %bb.43:
	s_clause 0x1
	s_load_b96 s[0:2], s[16:17], 0x10
	s_load_b64 s[4:5], s[16:17], 0xcc
	s_wait_kmcnt 0x0
	v_mul_hi_u32 v5, s1, v7
	s_delay_alu instid0(VALU_DEP_1) | instskip(NEXT) | instid1(VALU_DEP_1)
	v_add_nc_u32_e32 v5, v7, v5
	v_lshrrev_b32_e32 v5, s2, v5
	s_delay_alu instid0(VALU_DEP_1) | instskip(NEXT) | instid1(VALU_DEP_1)
	v_mul_lo_u32 v5, v5, s0
	v_sub_nc_u32_e32 v5, v7, v5
	s_delay_alu instid0(VALU_DEP_1)
	v_mad_u32 v2, v5, s4, v2
	v_mad_u32 v3, v5, s5, v3
.LBB7_44:
	v_cmp_ne_u32_e32 vcc_lo, 1, v6
	v_add_nc_u32_e32 v7, 0x100, v4
	s_cbranch_vccnz .LBB7_50
; %bb.45:
	s_cmp_lg_u32 s28, 0
	s_mov_b32 s6, 0
	s_cbranch_scc0 .LBB7_51
; %bb.46:
	s_min_u32 s1, s29, 15
	s_delay_alu instid0(SALU_CYCLE_1)
	s_add_co_i32 s1, s1, 1
	s_cmp_eq_u32 s29, 2
	s_cbranch_scc1 .LBB7_52
; %bb.47:
	v_dual_mov_b32 v4, 0 :: v_dual_mov_b32 v5, 0
	v_mov_b32_e32 v9, v7
	s_and_b32 s0, s1, 28
	s_add_nc_u64 s[2:3], s[16:17], 0xc4
	s_mov_b32 s7, 0
	s_mov_b64 s[4:5], s[16:17]
.LBB7_48:                               ; =>This Inner Loop Header: Depth=1
	s_clause 0x1
	s_load_b256 s[8:15], s[4:5], 0x4
	s_load_b128 s[36:39], s[4:5], 0x24
	s_load_b256 s[20:27], s[2:3], 0x0
	s_add_co_i32 s7, s7, 4
	s_wait_xcnt 0x0
	s_add_nc_u64 s[4:5], s[4:5], 48
	s_cmp_lg_u32 s0, s7
	s_add_nc_u64 s[2:3], s[2:3], 32
	s_wait_kmcnt 0x0
	v_mul_hi_u32 v10, s9, v9
	s_delay_alu instid0(VALU_DEP_1) | instskip(NEXT) | instid1(VALU_DEP_1)
	v_add_nc_u32_e32 v10, v9, v10
	v_lshrrev_b32_e32 v10, s10, v10
	s_delay_alu instid0(VALU_DEP_1) | instskip(NEXT) | instid1(VALU_DEP_1)
	v_mul_hi_u32 v11, s12, v10
	v_add_nc_u32_e32 v11, v10, v11
	s_delay_alu instid0(VALU_DEP_1) | instskip(NEXT) | instid1(VALU_DEP_1)
	v_lshrrev_b32_e32 v11, s13, v11
	v_mul_hi_u32 v12, s15, v11
	s_delay_alu instid0(VALU_DEP_1) | instskip(SKIP_1) | instid1(VALU_DEP_1)
	v_add_nc_u32_e32 v12, v11, v12
	v_mul_lo_u32 v13, v10, s8
	v_sub_nc_u32_e32 v9, v9, v13
	v_mul_lo_u32 v13, v11, s11
	s_delay_alu instid0(VALU_DEP_4) | instskip(NEXT) | instid1(VALU_DEP_3)
	v_lshrrev_b32_e32 v12, s36, v12
	v_mad_u32 v5, v9, s21, v5
	v_mad_u32 v4, v9, s20, v4
	s_delay_alu instid0(VALU_DEP_4) | instskip(NEXT) | instid1(VALU_DEP_4)
	v_sub_nc_u32_e32 v9, v10, v13
	v_mul_hi_u32 v14, s38, v12
	v_mul_lo_u32 v10, v12, s14
	s_delay_alu instid0(VALU_DEP_3) | instskip(SKIP_1) | instid1(VALU_DEP_4)
	v_mad_u32 v5, v9, s23, v5
	v_mad_u32 v4, v9, s22, v4
	v_add_nc_u32_e32 v13, v12, v14
	s_delay_alu instid0(VALU_DEP_1) | instskip(NEXT) | instid1(VALU_DEP_1)
	v_dual_sub_nc_u32 v10, v11, v10 :: v_dual_lshrrev_b32 v9, s39, v13
	v_mad_u32 v5, v10, s25, v5
	s_delay_alu instid0(VALU_DEP_4) | instskip(NEXT) | instid1(VALU_DEP_3)
	v_mad_u32 v4, v10, s24, v4
	v_mul_lo_u32 v11, v9, s37
	s_delay_alu instid0(VALU_DEP_1) | instskip(NEXT) | instid1(VALU_DEP_1)
	v_sub_nc_u32_e32 v10, v12, v11
	v_mad_u32 v5, v10, s27, v5
	s_delay_alu instid0(VALU_DEP_4)
	v_mad_u32 v4, v10, s26, v4
	s_cbranch_scc1 .LBB7_48
; %bb.49:
	s_and_b32 s4, s1, 3
	s_mov_b32 s1, 0
	s_cmp_eq_u32 s4, 0
	s_cbranch_scc0 .LBB7_53
	s_branch .LBB7_55
.LBB7_50:
	s_mov_b32 s6, -1
                                        ; implicit-def: $vgpr5
	s_branch .LBB7_55
.LBB7_51:
	v_dual_mov_b32 v5, 0 :: v_dual_mov_b32 v4, 0
	s_branch .LBB7_55
.LBB7_52:
	v_mov_b64_e32 v[4:5], 0
	v_mov_b32_e32 v9, v7
	s_mov_b32 s0, 0
	s_and_b32 s4, s1, 3
	s_mov_b32 s1, 0
	s_cmp_eq_u32 s4, 0
	s_cbranch_scc1 .LBB7_55
.LBB7_53:
	s_lshl_b32 s2, s0, 3
	s_mov_b32 s3, s1
	s_mul_u64 s[8:9], s[0:1], 12
	s_add_nc_u64 s[2:3], s[16:17], s[2:3]
	s_delay_alu instid0(SALU_CYCLE_1)
	s_add_nc_u64 s[0:1], s[2:3], 0xc4
	s_add_nc_u64 s[2:3], s[16:17], s[8:9]
.LBB7_54:                               ; =>This Inner Loop Header: Depth=1
	s_load_b96 s[8:10], s[2:3], 0x4
	s_add_co_i32 s4, s4, -1
	s_wait_xcnt 0x0
	s_add_nc_u64 s[2:3], s[2:3], 12
	s_cmp_lg_u32 s4, 0
	s_wait_kmcnt 0x0
	v_mul_hi_u32 v10, s9, v9
	s_delay_alu instid0(VALU_DEP_1) | instskip(NEXT) | instid1(VALU_DEP_1)
	v_add_nc_u32_e32 v10, v9, v10
	v_lshrrev_b32_e32 v10, s10, v10
	s_load_b64 s[10:11], s[0:1], 0x0
	s_wait_xcnt 0x0
	s_add_nc_u64 s[0:1], s[0:1], 8
	s_delay_alu instid0(VALU_DEP_1) | instskip(NEXT) | instid1(VALU_DEP_1)
	v_mul_lo_u32 v11, v10, s8
	v_sub_nc_u32_e32 v9, v9, v11
	s_wait_kmcnt 0x0
	s_delay_alu instid0(VALU_DEP_1)
	v_mad_u32 v5, v9, s11, v5
	v_mad_u32 v4, v9, s10, v4
	v_mov_b32_e32 v9, v10
	s_cbranch_scc1 .LBB7_54
.LBB7_55:
	s_and_not1_b32 vcc_lo, exec_lo, s6
	s_cbranch_vccnz .LBB7_58
; %bb.56:
	s_clause 0x1
	s_load_b96 s[0:2], s[16:17], 0x4
	s_load_b64 s[4:5], s[16:17], 0xc4
	s_cmp_lt_u32 s28, 2
	s_wait_kmcnt 0x0
	v_mul_hi_u32 v4, s1, v7
	s_delay_alu instid0(VALU_DEP_1) | instskip(NEXT) | instid1(VALU_DEP_1)
	v_add_nc_u32_e32 v4, v7, v4
	v_lshrrev_b32_e32 v9, s2, v4
	s_delay_alu instid0(VALU_DEP_1) | instskip(NEXT) | instid1(VALU_DEP_1)
	v_mul_lo_u32 v4, v9, s0
	v_sub_nc_u32_e32 v4, v7, v4
	s_delay_alu instid0(VALU_DEP_1)
	v_mul_lo_u32 v5, v4, s5
	v_mul_lo_u32 v4, v4, s4
	s_cbranch_scc1 .LBB7_58
; %bb.57:
	s_clause 0x1
	s_load_b96 s[0:2], s[16:17], 0x10
	s_load_b64 s[4:5], s[16:17], 0xcc
	s_wait_kmcnt 0x0
	v_mul_hi_u32 v7, s1, v9
	s_delay_alu instid0(VALU_DEP_1) | instskip(NEXT) | instid1(VALU_DEP_1)
	v_add_nc_u32_e32 v7, v9, v7
	v_lshrrev_b32_e32 v7, s2, v7
	s_delay_alu instid0(VALU_DEP_1) | instskip(NEXT) | instid1(VALU_DEP_1)
	v_mul_lo_u32 v7, v7, s0
	v_sub_nc_u32_e32 v7, v9, v7
	s_delay_alu instid0(VALU_DEP_1)
	v_mad_u32 v4, v7, s4, v4
	v_mad_u32 v5, v7, s5, v5
.LBB7_58:
	v_cmp_ne_u32_e32 vcc_lo, 1, v6
	s_cbranch_vccnz .LBB7_64
; %bb.59:
	s_cmp_lg_u32 s28, 0
	s_mov_b32 s6, 0
	s_cbranch_scc0 .LBB7_65
; %bb.60:
	s_min_u32 s1, s29, 15
	s_delay_alu instid0(SALU_CYCLE_1)
	s_add_co_i32 s1, s1, 1
	s_cmp_eq_u32 s29, 2
	s_cbranch_scc1 .LBB7_66
; %bb.61:
	v_dual_mov_b32 v6, 0 :: v_dual_mov_b32 v7, 0
	v_mov_b32_e32 v9, v8
	s_and_b32 s0, s1, 28
	s_add_nc_u64 s[2:3], s[16:17], 0xc4
	s_mov_b32 s7, 0
	s_mov_b64 s[4:5], s[16:17]
.LBB7_62:                               ; =>This Inner Loop Header: Depth=1
	s_clause 0x1
	s_load_b256 s[8:15], s[4:5], 0x4
	s_load_b128 s[36:39], s[4:5], 0x24
	s_load_b256 s[20:27], s[2:3], 0x0
	s_add_co_i32 s7, s7, 4
	s_wait_xcnt 0x0
	s_add_nc_u64 s[4:5], s[4:5], 48
	s_cmp_lg_u32 s0, s7
	s_add_nc_u64 s[2:3], s[2:3], 32
	s_wait_kmcnt 0x0
	v_mul_hi_u32 v10, s9, v9
	s_delay_alu instid0(VALU_DEP_1) | instskip(NEXT) | instid1(VALU_DEP_1)
	v_add_nc_u32_e32 v10, v9, v10
	v_lshrrev_b32_e32 v10, s10, v10
	s_delay_alu instid0(VALU_DEP_1) | instskip(NEXT) | instid1(VALU_DEP_1)
	v_mul_hi_u32 v11, s12, v10
	v_add_nc_u32_e32 v11, v10, v11
	s_delay_alu instid0(VALU_DEP_1) | instskip(NEXT) | instid1(VALU_DEP_1)
	v_lshrrev_b32_e32 v11, s13, v11
	v_mul_hi_u32 v12, s15, v11
	s_delay_alu instid0(VALU_DEP_1) | instskip(SKIP_1) | instid1(VALU_DEP_1)
	v_add_nc_u32_e32 v12, v11, v12
	v_mul_lo_u32 v13, v10, s8
	v_sub_nc_u32_e32 v9, v9, v13
	v_mul_lo_u32 v13, v11, s11
	s_delay_alu instid0(VALU_DEP_4) | instskip(NEXT) | instid1(VALU_DEP_3)
	v_lshrrev_b32_e32 v12, s36, v12
	v_mad_u32 v7, v9, s21, v7
	v_mad_u32 v6, v9, s20, v6
	s_delay_alu instid0(VALU_DEP_4) | instskip(NEXT) | instid1(VALU_DEP_4)
	v_sub_nc_u32_e32 v9, v10, v13
	v_mul_hi_u32 v14, s38, v12
	v_mul_lo_u32 v10, v12, s14
	s_delay_alu instid0(VALU_DEP_3) | instskip(SKIP_1) | instid1(VALU_DEP_4)
	v_mad_u32 v7, v9, s23, v7
	v_mad_u32 v6, v9, s22, v6
	v_add_nc_u32_e32 v13, v12, v14
	s_delay_alu instid0(VALU_DEP_1) | instskip(NEXT) | instid1(VALU_DEP_1)
	v_dual_sub_nc_u32 v10, v11, v10 :: v_dual_lshrrev_b32 v9, s39, v13
	v_mad_u32 v7, v10, s25, v7
	s_delay_alu instid0(VALU_DEP_4) | instskip(NEXT) | instid1(VALU_DEP_3)
	v_mad_u32 v6, v10, s24, v6
	v_mul_lo_u32 v11, v9, s37
	s_delay_alu instid0(VALU_DEP_1) | instskip(NEXT) | instid1(VALU_DEP_1)
	v_sub_nc_u32_e32 v10, v12, v11
	v_mad_u32 v7, v10, s27, v7
	s_delay_alu instid0(VALU_DEP_4)
	v_mad_u32 v6, v10, s26, v6
	s_cbranch_scc1 .LBB7_62
; %bb.63:
	s_and_b32 s4, s1, 3
	s_mov_b32 s1, 0
	s_cmp_eq_u32 s4, 0
	s_cbranch_scc0 .LBB7_67
	s_branch .LBB7_69
.LBB7_64:
	s_mov_b32 s6, -1
                                        ; implicit-def: $vgpr7
	s_branch .LBB7_69
.LBB7_65:
	v_dual_mov_b32 v7, 0 :: v_dual_mov_b32 v6, 0
	s_branch .LBB7_69
.LBB7_66:
	v_mov_b64_e32 v[6:7], 0
	v_mov_b32_e32 v9, v8
	s_mov_b32 s0, 0
	s_and_b32 s4, s1, 3
	s_mov_b32 s1, 0
	s_cmp_eq_u32 s4, 0
	s_cbranch_scc1 .LBB7_69
.LBB7_67:
	s_lshl_b32 s2, s0, 3
	s_mov_b32 s3, s1
	s_mul_u64 s[8:9], s[0:1], 12
	s_add_nc_u64 s[2:3], s[16:17], s[2:3]
	s_delay_alu instid0(SALU_CYCLE_1)
	s_add_nc_u64 s[0:1], s[2:3], 0xc4
	s_add_nc_u64 s[2:3], s[16:17], s[8:9]
.LBB7_68:                               ; =>This Inner Loop Header: Depth=1
	s_load_b96 s[8:10], s[2:3], 0x4
	s_add_co_i32 s4, s4, -1
	s_wait_xcnt 0x0
	s_add_nc_u64 s[2:3], s[2:3], 12
	s_cmp_lg_u32 s4, 0
	s_wait_kmcnt 0x0
	v_mul_hi_u32 v10, s9, v9
	s_delay_alu instid0(VALU_DEP_1) | instskip(NEXT) | instid1(VALU_DEP_1)
	v_add_nc_u32_e32 v10, v9, v10
	v_lshrrev_b32_e32 v10, s10, v10
	s_load_b64 s[10:11], s[0:1], 0x0
	s_wait_xcnt 0x0
	s_add_nc_u64 s[0:1], s[0:1], 8
	s_delay_alu instid0(VALU_DEP_1) | instskip(NEXT) | instid1(VALU_DEP_1)
	v_mul_lo_u32 v11, v10, s8
	v_sub_nc_u32_e32 v9, v9, v11
	s_wait_kmcnt 0x0
	s_delay_alu instid0(VALU_DEP_1)
	v_mad_u32 v7, v9, s11, v7
	v_mad_u32 v6, v9, s10, v6
	v_mov_b32_e32 v9, v10
	s_cbranch_scc1 .LBB7_68
.LBB7_69:
	s_and_not1_b32 vcc_lo, exec_lo, s6
	s_cbranch_vccnz .LBB7_72
; %bb.70:
	s_clause 0x1
	s_load_b96 s[0:2], s[16:17], 0x4
	s_load_b64 s[4:5], s[16:17], 0xc4
	s_cmp_lt_u32 s28, 2
	s_wait_kmcnt 0x0
	v_mul_hi_u32 v6, s1, v8
	s_delay_alu instid0(VALU_DEP_1) | instskip(NEXT) | instid1(VALU_DEP_1)
	v_add_nc_u32_e32 v6, v8, v6
	v_lshrrev_b32_e32 v9, s2, v6
	s_delay_alu instid0(VALU_DEP_1) | instskip(NEXT) | instid1(VALU_DEP_1)
	v_mul_lo_u32 v6, v9, s0
	v_sub_nc_u32_e32 v6, v8, v6
	s_delay_alu instid0(VALU_DEP_1)
	v_mul_lo_u32 v7, v6, s5
	v_mul_lo_u32 v6, v6, s4
	s_cbranch_scc1 .LBB7_72
; %bb.71:
	s_clause 0x1
	s_load_b96 s[0:2], s[16:17], 0x10
	s_load_b64 s[4:5], s[16:17], 0xcc
	s_wait_kmcnt 0x0
	v_mul_hi_u32 v8, s1, v9
	s_delay_alu instid0(VALU_DEP_1) | instskip(NEXT) | instid1(VALU_DEP_1)
	v_add_nc_u32_e32 v8, v9, v8
	v_lshrrev_b32_e32 v8, s2, v8
	s_delay_alu instid0(VALU_DEP_1) | instskip(NEXT) | instid1(VALU_DEP_1)
	v_mul_lo_u32 v8, v8, s0
	v_sub_nc_u32_e32 v8, v9, v8
	s_delay_alu instid0(VALU_DEP_1)
	v_mad_u32 v6, v8, s4, v6
	v_mad_u32 v7, v8, s5, v7
.LBB7_72:
	s_load_b128 s[4:7], s[16:17], 0x148
                                        ; implicit-def: $vgpr8_vgpr9
	s_mov_b32 s0, exec_lo
	s_wait_kmcnt 0x0
	global_load_b64 v[10:11], v1, s[6:7]
	s_wait_loadcnt 0x0
	v_cmpx_ge_f64_e32 0x40140000, v[10:11]
	s_xor_b32 s1, exec_lo, s0
	s_cbranch_execz .LBB7_78
; %bb.73:
	v_mov_b64_e32 v[8:9], 0xfff0000000000000
	s_mov_b32 s2, exec_lo
	v_cmpx_neq_f64_e32 0, v[10:11]
	s_cbranch_execz .LBB7_77
; %bb.74:
	v_mov_b64_e32 v[8:9], 0x7ff8000000000000
	s_mov_b32 s3, exec_lo
	v_cmpx_nge_f64_e32 0, v[10:11]
	s_cbranch_execz .LBB7_76
; %bb.75:
	v_frexp_mant_f64_e32 v[8:9], v[10:11]
	s_mov_b64 s[8:9], 0x3fe5555555555555
	s_delay_alu instid0(VALU_DEP_1) | instid1(SALU_CYCLE_1)
	v_cmp_gt_f64_e32 vcc_lo, s[8:9], v[8:9]
	s_mov_b64 s[8:9], 0x3fc3ab76bf559e2b
	v_cndmask_b32_e64 v1, 0, 1, vcc_lo
	s_delay_alu instid0(VALU_DEP_1) | instskip(SKIP_1) | instid1(VALU_DEP_2)
	v_ldexp_f64 v[8:9], v[8:9], v1
	v_frexp_exp_i32_f64_e32 v1, v[10:11]
	v_add_f64_e32 v[12:13], 1.0, v[8:9]
	v_add_f64_e32 v[18:19], -1.0, v[8:9]
	s_delay_alu instid0(VALU_DEP_3) | instskip(NEXT) | instid1(VALU_DEP_3)
	v_subrev_co_ci_u32_e64 v1, null, 0, v1, vcc_lo
	v_rcp_f64_e32 v[14:15], v[12:13]
	v_add_f64_e32 v[20:21], -1.0, v[12:13]
	s_delay_alu instid0(VALU_DEP_1) | instskip(NEXT) | instid1(TRANS32_DEP_1)
	v_add_f64_e64 v[8:9], v[8:9], -v[20:21]
	v_fma_f64 v[16:17], -v[12:13], v[14:15], 1.0
	s_delay_alu instid0(VALU_DEP_1) | instskip(NEXT) | instid1(VALU_DEP_1)
	v_fmac_f64_e32 v[14:15], v[16:17], v[14:15]
	v_fma_f64 v[16:17], -v[12:13], v[14:15], 1.0
	s_delay_alu instid0(VALU_DEP_1) | instskip(NEXT) | instid1(VALU_DEP_1)
	v_fmac_f64_e32 v[14:15], v[16:17], v[14:15]
	v_mul_f64_e32 v[16:17], v[18:19], v[14:15]
	s_delay_alu instid0(VALU_DEP_1) | instskip(NEXT) | instid1(VALU_DEP_1)
	v_mul_f64_e32 v[22:23], v[12:13], v[16:17]
	v_fma_f64 v[12:13], v[16:17], v[12:13], -v[22:23]
	s_delay_alu instid0(VALU_DEP_1) | instskip(NEXT) | instid1(VALU_DEP_1)
	v_fmac_f64_e32 v[12:13], v[16:17], v[8:9]
	v_add_f64_e32 v[8:9], v[22:23], v[12:13]
	s_delay_alu instid0(VALU_DEP_1) | instskip(SKIP_1) | instid1(VALU_DEP_2)
	v_add_f64_e64 v[20:21], v[18:19], -v[8:9]
	v_add_f64_e64 v[22:23], v[8:9], -v[22:23]
	;; [unrolled: 1-line block ×3, first 2 shown]
	s_delay_alu instid0(VALU_DEP_2) | instskip(SKIP_1) | instid1(VALU_DEP_3)
	v_add_f64_e64 v[12:13], v[22:23], -v[12:13]
	v_cvt_f64_i32_e32 v[22:23], v1
	v_add_f64_e64 v[8:9], v[18:19], -v[8:9]
	s_delay_alu instid0(VALU_DEP_2) | instskip(NEXT) | instid1(VALU_DEP_2)
	v_mul_f64_e32 v[28:29], 0x3fe62e42fefa39ef, v[22:23]
	v_add_f64_e32 v[8:9], v[12:13], v[8:9]
	s_delay_alu instid0(VALU_DEP_1) | instskip(NEXT) | instid1(VALU_DEP_1)
	v_add_f64_e32 v[8:9], v[20:21], v[8:9]
	v_mul_f64_e32 v[8:9], v[14:15], v[8:9]
	s_delay_alu instid0(VALU_DEP_1) | instskip(NEXT) | instid1(VALU_DEP_1)
	v_add_f64_e32 v[12:13], v[16:17], v[8:9]
	v_mul_f64_e32 v[14:15], v[12:13], v[12:13]
	s_delay_alu instid0(VALU_DEP_1) | instskip(SKIP_2) | instid1(SALU_CYCLE_1)
	v_fmaak_f64 v[18:19], s[8:9], v[14:15], 0x3fc385386b47b09a
	v_mul_f64_e32 v[20:21], v[12:13], v[14:15]
	s_mov_b64 s[8:9], 0x3fe62e42fefa39ef
	v_fma_f64 v[32:33], v[22:23], s[8:9], -v[28:29]
	s_delay_alu instid0(VALU_DEP_3) | instskip(NEXT) | instid1(VALU_DEP_1)
	v_fmaak_f64 v[18:19], v[14:15], v[18:19], 0x3fc7474dd7f4df2e
	v_fmaak_f64 v[18:19], v[14:15], v[18:19], 0x3fcc71c016291751
	s_delay_alu instid0(VALU_DEP_1) | instskip(NEXT) | instid1(VALU_DEP_1)
	v_fmaak_f64 v[18:19], v[14:15], v[18:19], 0x3fd249249b27acf1
	v_fmaak_f64 v[18:19], v[14:15], v[18:19], 0x3fd99999998ef7b6
	s_delay_alu instid0(VALU_DEP_1) | instskip(SKIP_3) | instid1(VALU_DEP_4)
	v_fmaak_f64 v[14:15], v[14:15], v[18:19], 0x3fe5555555555780
	v_ldexp_f64 v[18:19], v[12:13], 1
	v_add_f64_e64 v[12:13], v[12:13], -v[16:17]
	v_fmamk_f64 v[22:23], v[22:23], 0x3c7abc9e3b39803f, v[32:33]
	v_mul_f64_e32 v[14:15], v[20:21], v[14:15]
	v_mul_f64_e32 v[20:21], v[10:11], v[10:11]
	s_delay_alu instid0(VALU_DEP_3) | instskip(SKIP_1) | instid1(VALU_DEP_4)
	v_add_f64_e32 v[32:33], v[28:29], v[22:23]
	v_add_f64_e64 v[8:9], v[8:9], -v[12:13]
	v_add_f64_e32 v[16:17], v[18:19], v[14:15]
	s_delay_alu instid0(VALU_DEP_4)
	v_fmaak_f64 v[24:25], 0, v[20:21], 0x40829269a93f7ac2
	v_fmaak_f64 v[26:27], 0, v[20:21], 0x408366b11b7086e7
	;; [unrolled: 1-line block ×3, first 2 shown]
	v_add_f64_e64 v[28:29], v[32:33], -v[28:29]
	v_ldexp_f64 v[8:9], v[8:9], 1
	v_add_f64_e64 v[12:13], v[16:17], -v[18:19]
	v_fmaak_f64 v[18:19], v[20:21], v[24:25], 0x410cc160be58ef7f
	v_fmaak_f64 v[24:25], v[20:21], v[26:27], 0x410f5eda0dd701b2
	;; [unrolled: 1-line block ×3, first 2 shown]
	v_add_f64_e64 v[22:23], v[22:23], -v[28:29]
	s_delay_alu instid0(VALU_DEP_4) | instskip(NEXT) | instid1(VALU_DEP_4)
	v_fmaak_f64 v[18:19], v[20:21], v[18:19], 0x419184efa9c8acee
	v_fmaak_f64 v[24:25], v[20:21], v[24:25], 0x4193e954dc92a1b1
	s_delay_alu instid0(VALU_DEP_4) | instskip(NEXT) | instid1(VALU_DEP_3)
	v_fmaak_f64 v[26:27], v[20:21], v[26:27], 0xc262d72d58836521
	v_fmaak_f64 v[18:19], v[20:21], v[18:19], 0x421178c3906b7b83
	s_delay_alu instid0(VALU_DEP_3) | instskip(NEXT) | instid1(VALU_DEP_3)
	v_fmaak_f64 v[24:25], v[20:21], v[24:25], 0x4214a13f7befeac1
	v_fmaak_f64 v[26:27], v[20:21], v[26:27], 0x42da0954b0910fef
	s_delay_alu instid0(VALU_DEP_3) | instskip(NEXT) | instid1(VALU_DEP_3)
	;; [unrolled: 3-line block ×4, first 2 shown]
	v_fmaak_f64 v[24:25], v[20:21], v[24:25], 0x43064b0a3eccf45f
	v_fmaak_f64 v[26:27], v[20:21], v[26:27], 0x438679ad0b7366b1
	v_add_f64_e64 v[12:13], v[14:15], -v[12:13]
	v_fmaak_f64 v[14:15], v[20:21], v[30:31], 0x425a52ba0d438c6b
	v_fmaak_f64 v[18:19], v[20:21], v[18:19], 0x436e83e3c547a488
	;; [unrolled: 1-line block ×4, first 2 shown]
	s_delay_alu instid0(VALU_DEP_4) | instskip(NEXT) | instid1(VALU_DEP_4)
	v_fmaak_f64 v[14:15], v[20:21], v[14:15], 0xc2d08a92e6ccf175
	v_fmaak_f64 v[18:19], v[20:21], v[18:19], 0x43cb90f190f6747f
	s_delay_alu instid0(VALU_DEP_2) | instskip(SKIP_1) | instid1(VALU_DEP_3)
	v_fmaak_f64 v[14:15], v[20:21], v[14:15], 0x432a2b42a697c482
	v_fmaak_f64 v[20:21], v[20:21], v[24:25], 0x43d2779576702939
	v_div_scale_f64 v[24:25], null, v[18:19], v[18:19], v[26:27]
	v_div_scale_f64 v[52:53], vcc_lo, v[26:27], v[18:19], v[26:27]
	s_delay_alu instid0(VALU_DEP_3) | instskip(SKIP_1) | instid1(VALU_DEP_4)
	v_div_scale_f64 v[30:31], null, v[20:21], v[20:21], v[14:15]
	v_add_f64_e32 v[8:9], v[8:9], v[12:13]
	v_rcp_f64_e32 v[12:13], v[24:25]
	s_delay_alu instid0(VALU_DEP_2) | instskip(NEXT) | instid1(VALU_DEP_1)
	v_rcp_f64_e32 v[34:35], v[30:31]
	v_add_f64_e32 v[36:37], v[16:17], v[8:9]
	s_delay_alu instid0(TRANS32_DEP_2) | instskip(NEXT) | instid1(TRANS32_DEP_1)
	v_fma_f64 v[38:39], -v[24:25], v[12:13], 1.0
	v_fma_f64 v[40:41], -v[30:31], v[34:35], 1.0
	s_delay_alu instid0(VALU_DEP_3) | instskip(SKIP_1) | instid1(VALU_DEP_4)
	v_add_f64_e32 v[42:43], v[32:33], v[36:37]
	v_add_f64_e64 v[16:17], v[36:37], -v[16:17]
	v_fmac_f64_e32 v[12:13], v[12:13], v[38:39]
	v_div_scale_f64 v[38:39], null, v[10:11], v[10:11], -1.0
	v_fmac_f64_e32 v[34:35], v[34:35], v[40:41]
	v_add_f64_e64 v[40:41], v[42:43], -v[32:33]
	v_add_f64_e64 v[8:9], v[8:9], -v[16:17]
	v_fma_f64 v[44:45], -v[24:25], v[12:13], 1.0
	v_rcp_f64_e32 v[46:47], v[38:39]
	s_delay_alu instid0(VALU_DEP_4) | instskip(NEXT) | instid1(VALU_DEP_4)
	v_fma_f64 v[48:49], -v[30:31], v[34:35], 1.0
	v_add_f64_e64 v[50:51], v[42:43], -v[40:41]
	v_add_f64_e64 v[16:17], v[36:37], -v[40:41]
	s_delay_alu instid0(VALU_DEP_4) | instskip(SKIP_4) | instid1(TRANS32_DEP_1)
	v_fmac_f64_e32 v[12:13], v[12:13], v[44:45]
	v_div_scale_f64 v[44:45], s0, v[14:15], v[20:21], v[14:15]
	v_fmac_f64_e32 v[34:35], v[34:35], v[48:49]
	v_add_f64_e32 v[48:49], v[22:23], v[8:9]
	v_add_f64_e64 v[28:29], v[32:33], -v[50:51]
	v_fma_f64 v[32:33], -v[38:39], v[46:47], 1.0
	v_mul_f64_e32 v[36:37], v[52:53], v[12:13]
	v_mul_f64_e32 v[40:41], v[44:45], v[34:35]
	s_delay_alu instid0(VALU_DEP_4) | instskip(NEXT) | instid1(VALU_DEP_4)
	v_add_f64_e32 v[16:17], v[16:17], v[28:29]
	v_fmac_f64_e32 v[46:47], v[46:47], v[32:33]
	s_delay_alu instid0(VALU_DEP_4) | instskip(NEXT) | instid1(VALU_DEP_4)
	v_fma_f64 v[24:25], -v[24:25], v[36:37], v[52:53]
	v_fma_f64 v[28:29], -v[30:31], v[40:41], v[44:45]
	v_add_f64_e64 v[30:31], v[48:49], -v[22:23]
	v_add_f64_e32 v[16:17], v[48:49], v[16:17]
	v_fma_f64 v[32:33], -v[38:39], v[46:47], 1.0
	v_div_fmas_f64 v[12:13], v[24:25], v[12:13], v[36:37]
	s_mov_b32 vcc_lo, s0
	v_div_fmas_f64 v[24:25], v[28:29], v[34:35], v[40:41]
	v_add_f64_e64 v[28:29], v[48:49], -v[30:31]
	v_div_scale_f64 v[36:37], vcc_lo, -1.0, v[10:11], -1.0
	v_add_f64_e32 v[34:35], v[42:43], v[16:17]
	v_fmac_f64_e32 v[46:47], v[46:47], v[32:33]
	v_add_f64_e64 v[8:9], v[8:9], -v[30:31]
	v_div_fixup_f64 v[12:13], v[12:13], v[18:19], v[26:27]
	v_div_fixup_f64 v[14:15], v[24:25], v[20:21], v[14:15]
	v_add_f64_e64 v[20:21], v[22:23], -v[28:29]
	v_add_f64_e64 v[22:23], v[34:35], -v[42:43]
	v_mul_f64_e32 v[24:25], v[36:37], v[46:47]
	s_delay_alu instid0(VALU_DEP_4) | instskip(NEXT) | instid1(VALU_DEP_4)
	v_mul_f64_e32 v[14:15], v[10:11], v[14:15]
	v_add_f64_e32 v[8:9], v[8:9], v[20:21]
	s_delay_alu instid0(VALU_DEP_4) | instskip(NEXT) | instid1(VALU_DEP_4)
	v_add_f64_e64 v[16:17], v[16:17], -v[22:23]
	v_fma_f64 v[20:21], -v[38:39], v[24:25], v[36:37]
	v_fmaak_f64 v[22:23], v[10:11], v[10:11], 0xc02d5d2b4189822c
	s_delay_alu instid0(VALU_DEP_1) | instskip(NEXT) | instid1(VALU_DEP_4)
	v_mul_f64_e32 v[14:15], v[22:23], v[14:15]
	v_add_f64_e32 v[8:9], v[8:9], v[16:17]
	s_delay_alu instid0(VALU_DEP_4) | instskip(SKIP_1) | instid1(VALU_DEP_1)
	v_div_fmas_f64 v[16:17], v[20:21], v[46:47], v[24:25]
	v_fmaak_f64 v[20:21], v[10:11], v[10:11], 0xc0489bf66072a432
	v_mul_f64_e32 v[14:15], v[20:21], v[14:15]
	s_delay_alu instid0(VALU_DEP_4) | instskip(NEXT) | instid1(VALU_DEP_4)
	v_add_f64_e32 v[8:9], v[34:35], v[8:9]
	v_div_fixup_f64 v[16:17], v[16:17], v[10:11], -1.0
	s_delay_alu instid0(VALU_DEP_1) | instskip(NEXT) | instid1(VALU_DEP_1)
	v_fmac_f64_e32 v[16:17], v[14:15], v[8:9]
	v_mul_f64_e32 v[8:9], 0x3fe45f306dc9c883, v[16:17]
	s_delay_alu instid0(VALU_DEP_1)
	v_fmac_f64_e32 v[8:9], v[10:11], v[12:13]
.LBB7_76:
	s_or_b32 exec_lo, exec_lo, s3
.LBB7_77:
	s_delay_alu instid0(SALU_CYCLE_1)
	s_or_b32 exec_lo, exec_lo, s2
                                        ; implicit-def: $vgpr10_vgpr11
.LBB7_78:
	s_and_not1_saveexec_b32 s3, s1
	s_cbranch_execz .LBB7_88
; %bb.79:
	v_add_f64_e32 v[8:9], 0xc002d97c7f3321d2, v[10:11]
                                        ; implicit-def: $vgpr1
                                        ; implicit-def: $vgpr12_vgpr13
                                        ; implicit-def: $vgpr14_vgpr15
	s_delay_alu instid0(VALU_DEP_1)
	v_cmp_ngt_f64_e64 s0, 0x41d00000, |v[8:9]|
	v_trig_preop_f64 v[24:25], |v[8:9]|, 0
	v_trig_preop_f64 v[22:23], |v[8:9]|, 1
	v_ldexp_f64 v[26:27], |v[8:9]|, 0xffffff80
	v_trig_preop_f64 v[20:21], |v[8:9]|, 2
	v_and_b32_e32 v28, 0x7fffffff, v9
	s_and_saveexec_b32 s1, s0
	s_delay_alu instid0(SALU_CYCLE_1)
	s_xor_b32 s1, exec_lo, s1
	s_cbranch_execz .LBB7_81
; %bb.80:
	v_cmp_le_f64_e64 vcc_lo, 0x7b000000, |v[8:9]|
	s_mov_b64 s[8:9], 0x3ff921fb54442d18
	v_dual_mov_b32 v42, 0 :: v_dual_cndmask_b32 v13, v28, v27
	v_cndmask_b32_e32 v12, v8, v26, vcc_lo
	s_delay_alu instid0(VALU_DEP_1) | instskip(SKIP_1) | instid1(VALU_DEP_2)
	v_mul_f64_e32 v[14:15], v[24:25], v[12:13]
	v_mul_f64_e32 v[16:17], v[22:23], v[12:13]
	v_fma_f64 v[18:19], v[24:25], v[12:13], -v[14:15]
	s_delay_alu instid0(VALU_DEP_1) | instskip(NEXT) | instid1(VALU_DEP_1)
	v_add_f64_e32 v[30:31], v[16:17], v[18:19]
	v_add_f64_e64 v[32:33], v[30:31], -v[16:17]
	v_add_f64_e32 v[36:37], v[14:15], v[30:31]
	s_delay_alu instid0(VALU_DEP_2) | instskip(SKIP_2) | instid1(VALU_DEP_4)
	v_add_f64_e64 v[34:35], v[30:31], -v[32:33]
	v_fma_f64 v[40:41], v[22:23], v[12:13], -v[16:17]
	v_add_f64_e64 v[18:19], v[18:19], -v[32:33]
	v_ldexp_f64 v[32:33], v[36:37], -2
	v_mul_f64_e32 v[38:39], v[20:21], v[12:13]
	v_add_f64_e64 v[16:17], v[16:17], -v[34:35]
	s_delay_alu instid0(VALU_DEP_3) | instskip(NEXT) | instid1(VALU_DEP_3)
	v_cmp_neq_f64_e64 vcc_lo, 0x7ff00000, |v[32:33]|
	v_add_f64_e32 v[34:35], v[38:39], v[40:41]
	v_fma_f64 v[12:13], v[20:21], v[12:13], -v[38:39]
	s_delay_alu instid0(VALU_DEP_4) | instskip(SKIP_1) | instid1(VALU_DEP_1)
	v_add_f64_e32 v[16:17], v[18:19], v[16:17]
	v_fract_f64_e32 v[18:19], v[32:33]
	v_ldexp_f64 v[18:19], v[18:19], 2
	s_delay_alu instid0(VALU_DEP_1) | instskip(SKIP_1) | instid1(VALU_DEP_3)
	v_cndmask_b32_e32 v19, 0, v19, vcc_lo
	v_add_f64_e64 v[14:15], v[36:37], -v[14:15]
	v_cndmask_b32_e32 v18, 0, v18, vcc_lo
	s_delay_alu instid0(VALU_DEP_2) | instskip(SKIP_1) | instid1(VALU_DEP_1)
	v_add_f64_e64 v[14:15], v[30:31], -v[14:15]
	v_add_f64_e32 v[30:31], v[34:35], v[16:17]
	v_add_f64_e32 v[32:33], v[14:15], v[30:31]
	v_add_f64_e64 v[44:45], v[30:31], -v[34:35]
	s_delay_alu instid0(VALU_DEP_2) | instskip(NEXT) | instid1(VALU_DEP_2)
	v_add_f64_e32 v[36:37], v[32:33], v[18:19]
	v_add_f64_e64 v[50:51], v[30:31], -v[44:45]
	v_add_f64_e64 v[16:17], v[16:17], -v[44:45]
	;; [unrolled: 1-line block ×3, first 2 shown]
	s_delay_alu instid0(VALU_DEP_4) | instskip(SKIP_1) | instid1(VALU_DEP_3)
	v_cmp_gt_f64_e32 vcc_lo, 0, v[36:37]
	v_add_f64_e64 v[36:37], v[34:35], -v[38:39]
	v_add_f64_e64 v[14:15], v[30:31], -v[14:15]
	v_cndmask_b32_e64 v43, 0, 0x40100000, vcc_lo
	s_delay_alu instid0(VALU_DEP_3) | instskip(SKIP_2) | instid1(VALU_DEP_4)
	v_add_f64_e64 v[48:49], v[34:35], -v[36:37]
	v_add_f64_e64 v[36:37], v[40:41], -v[36:37]
	;; [unrolled: 1-line block ×3, first 2 shown]
	v_add_f64_e32 v[18:19], v[18:19], v[42:43]
	s_delay_alu instid0(VALU_DEP_4) | instskip(NEXT) | instid1(VALU_DEP_3)
	v_add_f64_e64 v[40:41], v[38:39], -v[48:49]
	v_add_f64_e32 v[16:17], v[16:17], v[34:35]
	s_delay_alu instid0(VALU_DEP_3) | instskip(NEXT) | instid1(VALU_DEP_3)
	v_add_f64_e32 v[46:47], v[32:33], v[18:19]
	v_add_f64_e32 v[36:37], v[36:37], v[40:41]
	s_delay_alu instid0(VALU_DEP_2) | instskip(NEXT) | instid1(VALU_DEP_2)
	v_cvt_i32_f64_e32 v1, v[46:47]
	v_add_f64_e32 v[16:17], v[36:37], v[16:17]
	s_delay_alu instid0(VALU_DEP_2) | instskip(NEXT) | instid1(VALU_DEP_2)
	v_cvt_f64_i32_e32 v[44:45], v1
	v_add_f64_e32 v[12:13], v[12:13], v[16:17]
	s_delay_alu instid0(VALU_DEP_2) | instskip(NEXT) | instid1(VALU_DEP_2)
	v_add_f64_e64 v[18:19], v[18:19], -v[44:45]
	v_add_f64_e32 v[12:13], v[14:15], v[12:13]
	s_delay_alu instid0(VALU_DEP_2) | instskip(NEXT) | instid1(VALU_DEP_1)
	v_add_f64_e32 v[34:35], v[32:33], v[18:19]
	v_add_f64_e64 v[16:17], v[34:35], -v[18:19]
	v_cmp_le_f64_e32 vcc_lo, 0.5, v[34:35]
	s_delay_alu instid0(VALU_DEP_2) | instskip(SKIP_2) | instid1(VALU_DEP_3)
	v_add_f64_e64 v[14:15], v[32:33], -v[16:17]
	v_cndmask_b32_e64 v43, 0, 0x3ff00000, vcc_lo
	v_add_co_ci_u32_e64 v1, null, 0, v1, vcc_lo
	v_add_f64_e32 v[12:13], v[12:13], v[14:15]
	s_delay_alu instid0(VALU_DEP_3) | instskip(NEXT) | instid1(VALU_DEP_1)
	v_add_f64_e64 v[14:15], v[34:35], -v[42:43]
	v_add_f64_e32 v[16:17], v[14:15], v[12:13]
	s_delay_alu instid0(VALU_DEP_1) | instskip(SKIP_1) | instid1(VALU_DEP_2)
	v_mul_f64_e32 v[18:19], 0x3ff921fb54442d18, v[16:17]
	v_add_f64_e64 v[14:15], v[16:17], -v[14:15]
	v_fma_f64 v[30:31], v[16:17], s[8:9], -v[18:19]
	s_delay_alu instid0(VALU_DEP_2) | instskip(NEXT) | instid1(VALU_DEP_2)
	v_add_f64_e64 v[12:13], v[12:13], -v[14:15]
	v_fmamk_f64 v[14:15], v[16:17], 0x3c91a62633145c07, v[30:31]
	s_delay_alu instid0(VALU_DEP_1) | instskip(NEXT) | instid1(VALU_DEP_1)
	v_fmac_f64_e32 v[14:15], 0x3ff921fb54442d18, v[12:13]
	v_add_f64_e32 v[12:13], v[18:19], v[14:15]
	s_delay_alu instid0(VALU_DEP_1) | instskip(NEXT) | instid1(VALU_DEP_1)
	v_add_f64_e64 v[16:17], v[12:13], -v[18:19]
	v_add_f64_e64 v[14:15], v[14:15], -v[16:17]
	s_and_not1_saveexec_b32 s1, s1
	s_cbranch_execz .LBB7_83
	s_branch .LBB7_82
.LBB7_81:
	s_and_not1_saveexec_b32 s1, s1
	s_cbranch_execz .LBB7_83
.LBB7_82:
	s_mov_b64 s[8:9], 0x3fe45f306dc9c883
	s_delay_alu instid0(SALU_CYCLE_1) | instskip(SKIP_1) | instid1(VALU_DEP_1)
	v_mul_f64_e64 v[12:13], |v[8:9]|, s[8:9]
	s_mov_b64 s[8:9], 0xbff921fb54442d18
	v_rndne_f64_e32 v[16:17], v[12:13]
	s_delay_alu instid0(VALU_DEP_1) | instskip(SKIP_2) | instid1(VALU_DEP_3)
	v_fma_f64 v[12:13], v[16:17], s[8:9], |v[8:9]|
	v_mul_f64_e32 v[14:15], 0xbc91a62633145c00, v[16:17]
	v_cvt_i32_f64_e32 v1, v[16:17]
	v_fmamk_f64 v[32:33], v[16:17], 0xbc91a62633145c00, v[12:13]
	s_delay_alu instid0(VALU_DEP_3) | instskip(NEXT) | instid1(VALU_DEP_1)
	v_add_f64_e32 v[18:19], v[12:13], v[14:15]
	v_add_f64_e64 v[30:31], v[12:13], -v[18:19]
	s_delay_alu instid0(VALU_DEP_3) | instskip(NEXT) | instid1(VALU_DEP_2)
	v_add_f64_e64 v[12:13], v[18:19], -v[32:33]
	v_add_f64_e32 v[18:19], v[30:31], v[14:15]
	v_fmamk_f64 v[14:15], v[16:17], 0x3c91a62633145c00, v[14:15]
	s_delay_alu instid0(VALU_DEP_2) | instskip(NEXT) | instid1(VALU_DEP_1)
	v_add_f64_e32 v[12:13], v[12:13], v[18:19]
	v_add_f64_e64 v[12:13], v[12:13], -v[14:15]
	s_delay_alu instid0(VALU_DEP_1) | instskip(NEXT) | instid1(VALU_DEP_1)
	v_fmamk_f64 v[14:15], v[16:17], 0xb97b839a252049c0, v[12:13]
	v_add_f64_e32 v[12:13], v[32:33], v[14:15]
	s_delay_alu instid0(VALU_DEP_1) | instskip(NEXT) | instid1(VALU_DEP_1)
	v_add_f64_e64 v[18:19], v[12:13], -v[32:33]
	v_add_f64_e64 v[14:15], v[14:15], -v[18:19]
.LBB7_83:
	s_or_b32 exec_lo, exec_lo, s1
                                        ; implicit-def: $vgpr30
                                        ; implicit-def: $vgpr16_vgpr17
                                        ; implicit-def: $vgpr18_vgpr19
	s_and_saveexec_b32 s1, s0
	s_delay_alu instid0(SALU_CYCLE_1)
	s_xor_b32 s0, exec_lo, s1
	s_cbranch_execz .LBB7_85
; %bb.84:
	v_cmp_le_f64_e64 vcc_lo, 0x7b000000, |v[8:9]|
	s_mov_b64 s[8:9], 0x3ff921fb54442d18
	v_dual_mov_b32 v38, 0 :: v_dual_cndmask_b32 v17, v28, v27
	v_cndmask_b32_e32 v16, v8, v26, vcc_lo
	s_delay_alu instid0(VALU_DEP_1) | instskip(SKIP_1) | instid1(VALU_DEP_2)
	v_mul_f64_e32 v[18:19], v[24:25], v[16:17]
	v_mul_f64_e32 v[26:27], v[22:23], v[16:17]
	v_fma_f64 v[24:25], v[24:25], v[16:17], -v[18:19]
	s_delay_alu instid0(VALU_DEP_1) | instskip(NEXT) | instid1(VALU_DEP_1)
	v_add_f64_e32 v[28:29], v[26:27], v[24:25]
	v_add_f64_e64 v[30:31], v[28:29], -v[26:27]
	v_add_f64_e32 v[34:35], v[18:19], v[28:29]
	v_fma_f64 v[22:23], v[22:23], v[16:17], -v[26:27]
	v_mul_f64_e32 v[36:37], v[20:21], v[16:17]
	s_delay_alu instid0(VALU_DEP_4) | instskip(SKIP_2) | instid1(VALU_DEP_4)
	v_add_f64_e64 v[32:33], v[28:29], -v[30:31]
	v_add_f64_e64 v[24:25], v[24:25], -v[30:31]
	v_ldexp_f64 v[30:31], v[34:35], -2
	v_fma_f64 v[16:17], v[20:21], v[16:17], -v[36:37]
	s_delay_alu instid0(VALU_DEP_4) | instskip(SKIP_1) | instid1(VALU_DEP_4)
	v_add_f64_e64 v[26:27], v[26:27], -v[32:33]
	v_add_f64_e32 v[32:33], v[36:37], v[22:23]
	v_cmp_neq_f64_e64 vcc_lo, 0x7ff00000, |v[30:31]|
	s_delay_alu instid0(VALU_DEP_3) | instskip(SKIP_1) | instid1(VALU_DEP_1)
	v_add_f64_e32 v[24:25], v[24:25], v[26:27]
	v_fract_f64_e32 v[26:27], v[30:31]
	v_ldexp_f64 v[26:27], v[26:27], 2
	s_delay_alu instid0(VALU_DEP_1) | instskip(SKIP_1) | instid1(VALU_DEP_3)
	v_cndmask_b32_e32 v27, 0, v27, vcc_lo
	v_add_f64_e64 v[18:19], v[34:35], -v[18:19]
	v_cndmask_b32_e32 v26, 0, v26, vcc_lo
	s_delay_alu instid0(VALU_DEP_2) | instskip(SKIP_1) | instid1(VALU_DEP_1)
	v_add_f64_e64 v[18:19], v[28:29], -v[18:19]
	v_add_f64_e32 v[28:29], v[32:33], v[24:25]
	v_add_f64_e32 v[30:31], v[18:19], v[28:29]
	v_add_f64_e64 v[40:41], v[28:29], -v[32:33]
	s_delay_alu instid0(VALU_DEP_2) | instskip(NEXT) | instid1(VALU_DEP_2)
	v_add_f64_e32 v[34:35], v[30:31], v[26:27]
	v_add_f64_e64 v[46:47], v[28:29], -v[40:41]
	v_add_f64_e64 v[24:25], v[24:25], -v[40:41]
	;; [unrolled: 1-line block ×3, first 2 shown]
	s_delay_alu instid0(VALU_DEP_4) | instskip(SKIP_1) | instid1(VALU_DEP_3)
	v_cmp_gt_f64_e32 vcc_lo, 0, v[34:35]
	v_add_f64_e64 v[34:35], v[32:33], -v[36:37]
	v_add_f64_e64 v[18:19], v[28:29], -v[18:19]
	v_cndmask_b32_e64 v39, 0, 0x40100000, vcc_lo
	s_delay_alu instid0(VALU_DEP_3) | instskip(SKIP_2) | instid1(VALU_DEP_4)
	v_add_f64_e64 v[44:45], v[32:33], -v[34:35]
	v_add_f64_e64 v[22:23], v[22:23], -v[34:35]
	;; [unrolled: 1-line block ×3, first 2 shown]
	v_add_f64_e32 v[26:27], v[26:27], v[38:39]
	s_delay_alu instid0(VALU_DEP_4) | instskip(NEXT) | instid1(VALU_DEP_3)
	v_add_f64_e64 v[34:35], v[36:37], -v[44:45]
	v_add_f64_e32 v[24:25], v[24:25], v[32:33]
	s_delay_alu instid0(VALU_DEP_3) | instskip(NEXT) | instid1(VALU_DEP_3)
	v_add_f64_e32 v[42:43], v[30:31], v[26:27]
	v_add_f64_e32 v[22:23], v[22:23], v[34:35]
	s_delay_alu instid0(VALU_DEP_2) | instskip(NEXT) | instid1(VALU_DEP_2)
	v_cvt_i32_f64_e32 v39, v[42:43]
	v_add_f64_e32 v[20:21], v[22:23], v[24:25]
	s_delay_alu instid0(VALU_DEP_2) | instskip(NEXT) | instid1(VALU_DEP_2)
	v_cvt_f64_i32_e32 v[40:41], v39
	v_add_f64_e32 v[16:17], v[16:17], v[20:21]
	s_delay_alu instid0(VALU_DEP_2) | instskip(NEXT) | instid1(VALU_DEP_2)
	v_add_f64_e64 v[26:27], v[26:27], -v[40:41]
	v_add_f64_e32 v[16:17], v[18:19], v[16:17]
	s_delay_alu instid0(VALU_DEP_2) | instskip(NEXT) | instid1(VALU_DEP_1)
	v_add_f64_e32 v[22:23], v[30:31], v[26:27]
	v_add_f64_e64 v[20:21], v[22:23], -v[26:27]
	v_cmp_le_f64_e32 vcc_lo, 0.5, v[22:23]
	s_delay_alu instid0(VALU_DEP_2) | instskip(SKIP_2) | instid1(VALU_DEP_3)
	v_add_f64_e64 v[18:19], v[30:31], -v[20:21]
	v_add_co_ci_u32_e64 v30, null, 0, v39, vcc_lo
	v_cndmask_b32_e64 v39, 0, 0x3ff00000, vcc_lo
	v_add_f64_e32 v[16:17], v[16:17], v[18:19]
	s_delay_alu instid0(VALU_DEP_2) | instskip(NEXT) | instid1(VALU_DEP_1)
	v_add_f64_e64 v[18:19], v[22:23], -v[38:39]
	v_add_f64_e32 v[20:21], v[18:19], v[16:17]
	s_delay_alu instid0(VALU_DEP_1) | instskip(SKIP_1) | instid1(VALU_DEP_2)
	v_mul_f64_e32 v[22:23], 0x3ff921fb54442d18, v[20:21]
	v_add_f64_e64 v[18:19], v[20:21], -v[18:19]
	v_fma_f64 v[24:25], v[20:21], s[8:9], -v[22:23]
	s_delay_alu instid0(VALU_DEP_2) | instskip(NEXT) | instid1(VALU_DEP_2)
	v_add_f64_e64 v[16:17], v[16:17], -v[18:19]
	v_fmamk_f64 v[18:19], v[20:21], 0x3c91a62633145c07, v[24:25]
	s_delay_alu instid0(VALU_DEP_1) | instskip(NEXT) | instid1(VALU_DEP_1)
	v_fmac_f64_e32 v[18:19], 0x3ff921fb54442d18, v[16:17]
	v_add_f64_e32 v[16:17], v[22:23], v[18:19]
	s_delay_alu instid0(VALU_DEP_1) | instskip(NEXT) | instid1(VALU_DEP_1)
	v_add_f64_e64 v[20:21], v[16:17], -v[22:23]
	v_add_f64_e64 v[18:19], v[18:19], -v[20:21]
	s_and_not1_saveexec_b32 s0, s0
	s_cbranch_execnz .LBB7_86
	s_branch .LBB7_87
.LBB7_85:
	s_and_not1_saveexec_b32 s0, s0
	s_cbranch_execz .LBB7_87
.LBB7_86:
	s_mov_b64 s[8:9], 0x3fe45f306dc9c883
	s_delay_alu instid0(SALU_CYCLE_1) | instskip(SKIP_1) | instid1(VALU_DEP_1)
	v_mul_f64_e64 v[16:17], |v[8:9]|, s[8:9]
	s_mov_b64 s[8:9], 0xbff921fb54442d18
	v_rndne_f64_e32 v[20:21], v[16:17]
	s_delay_alu instid0(VALU_DEP_1) | instskip(SKIP_2) | instid1(VALU_DEP_3)
	v_fma_f64 v[16:17], v[20:21], s[8:9], |v[8:9]|
	v_mul_f64_e32 v[18:19], 0xbc91a62633145c00, v[20:21]
	v_cvt_i32_f64_e32 v30, v[20:21]
	v_fmamk_f64 v[26:27], v[20:21], 0xbc91a62633145c00, v[16:17]
	s_delay_alu instid0(VALU_DEP_3) | instskip(NEXT) | instid1(VALU_DEP_1)
	v_add_f64_e32 v[22:23], v[16:17], v[18:19]
	v_add_f64_e64 v[24:25], v[16:17], -v[22:23]
	s_delay_alu instid0(VALU_DEP_3) | instskip(NEXT) | instid1(VALU_DEP_2)
	v_add_f64_e64 v[16:17], v[22:23], -v[26:27]
	v_add_f64_e32 v[22:23], v[24:25], v[18:19]
	v_fmamk_f64 v[18:19], v[20:21], 0x3c91a62633145c00, v[18:19]
	s_delay_alu instid0(VALU_DEP_2) | instskip(NEXT) | instid1(VALU_DEP_1)
	v_add_f64_e32 v[16:17], v[16:17], v[22:23]
	v_add_f64_e64 v[16:17], v[16:17], -v[18:19]
	s_delay_alu instid0(VALU_DEP_1) | instskip(NEXT) | instid1(VALU_DEP_1)
	v_fmamk_f64 v[18:19], v[20:21], 0xb97b839a252049c0, v[16:17]
	v_add_f64_e32 v[16:17], v[26:27], v[18:19]
	s_delay_alu instid0(VALU_DEP_1) | instskip(NEXT) | instid1(VALU_DEP_1)
	v_add_f64_e64 v[22:23], v[16:17], -v[26:27]
	v_add_f64_e64 v[18:19], v[18:19], -v[22:23]
.LBB7_87:
	s_or_b32 exec_lo, exec_lo, s0
	v_div_scale_f64 v[20:21], null, v[10:11], v[10:11], 0x40140000
	v_div_scale_f64 v[26:27], vcc_lo, 0x40140000, v[10:11], 0x40140000
	v_mul_f64_e32 v[40:41], v[12:13], v[12:13]
	v_mov_b64_e32 v[48:49], 0xbe5ae600b42fdfa7
	v_mul_f64_e32 v[66:67], 0.5, v[14:15]
	v_mul_f64_e32 v[42:43], v[16:17], v[16:17]
	v_mov_b64_e32 v[62:63], 0xbf2a01a019e83e5c
	v_mov_b64_e32 v[64:65], 0xbe927e4fa17f65f6
	;; [unrolled: 1-line block ×3, first 2 shown]
	v_mul_f64_e32 v[76:77], 0.5, v[18:19]
	v_cmp_gt_f64_e64 s0, 0x10000000, v[10:11]
	v_mov_b64_e32 v[80:81], 0xbf56c16c16c16967
	v_rcp_f64_e32 v[22:23], v[20:21]
	v_mul_f64_e32 v[52:53], 0.5, v[40:41]
	v_mul_f64_e64 v[68:69], v[12:13], -v[40:41]
	v_fmamk_f64 v[50:51], v[40:41], 0x3de5e0b2f9a43bb8, v[48:49]
	v_fmac_f64_e32 v[48:49], 0x3de5e0b2f9a43bb8, v[42:43]
	v_cndmask_b32_e64 v31, 0, 0x100, s0
	s_delay_alu instid0(VALU_DEP_3) | instskip(NEXT) | instid1(VALU_DEP_1)
	v_fmaak_f64 v[50:51], v[40:41], v[50:51], 0x3ec71de3796cde01
	v_fmaak_f64 v[50:51], v[40:41], v[50:51], 0xbf2a01a019e83e5c
	s_delay_alu instid0(VALU_DEP_1) | instskip(SKIP_1) | instid1(VALU_DEP_2)
	v_fmaak_f64 v[50:51], v[40:41], v[50:51], 0x3f81111111110bb3
	v_add_f64_e64 v[56:57], -v[52:53], 1.0
	v_fmac_f64_e32 v[66:67], v[68:69], v[50:51]
	s_delay_alu instid0(TRANS32_DEP_1) | instskip(NEXT) | instid1(VALU_DEP_3)
	v_fma_f64 v[24:25], -v[20:21], v[22:23], 1.0
	v_add_f64_e64 v[70:71], -v[56:57], 1.0
	s_delay_alu instid0(VALU_DEP_3) | instskip(NEXT) | instid1(VALU_DEP_3)
	v_fma_f64 v[66:67], v[40:41], v[66:67], -v[14:15]
	v_fmac_f64_e32 v[22:23], v[22:23], v[24:25]
	s_delay_alu instid0(VALU_DEP_3) | instskip(NEXT) | instid1(VALU_DEP_3)
	v_add_f64_e64 v[50:51], v[70:71], -v[52:53]
	v_fmac_f64_e32 v[66:67], 0xbfc5555555555555, v[68:69]
	s_delay_alu instid0(VALU_DEP_3) | instskip(NEXT) | instid1(VALU_DEP_3)
	v_fma_f64 v[24:25], -v[20:21], v[22:23], 1.0
	v_fma_f64 v[14:15], v[12:13], -v[14:15], v[50:51]
	s_delay_alu instid0(VALU_DEP_3) | instskip(NEXT) | instid1(VALU_DEP_3)
	v_add_f64_e64 v[12:13], v[12:13], -v[66:67]
	v_fmac_f64_e32 v[22:23], v[22:23], v[24:25]
	v_mov_b64_e32 v[50:51], 0x3fa5555555555555
	s_delay_alu instid0(VALU_DEP_2) | instskip(NEXT) | instid1(VALU_DEP_1)
	v_mul_f64_e32 v[24:25], v[26:27], v[22:23]
	v_fma_f64 v[20:21], -v[20:21], v[24:25], v[26:27]
	s_delay_alu instid0(VALU_DEP_1) | instskip(NEXT) | instid1(VALU_DEP_1)
	v_div_fmas_f64 v[20:21], v[20:21], v[22:23], v[24:25]
	v_div_fixup_f64 v[20:21], v[20:21], v[10:11], 0x40140000
	v_ldexp_f64 v[10:11], v[10:11], v31
	s_delay_alu instid0(VALU_DEP_2) | instskip(NEXT) | instid1(VALU_DEP_1)
	v_mul_f64_e32 v[28:29], v[20:21], v[20:21]
	v_fmaak_f64 v[22:23], 0, v[28:29], 0x3f42b89b13443d69
	v_fmaak_f64 v[24:25], 0, v[28:29], 0x3f48f92c4c6c651b
	;; [unrolled: 1-line block ×4, first 2 shown]
	s_delay_alu instid0(VALU_DEP_4) | instskip(NEXT) | instid1(VALU_DEP_4)
	v_fmaak_f64 v[22:23], v[28:29], v[22:23], 0x3fb19fdd5948aa83
	v_fmaak_f64 v[24:25], v[28:29], v[24:25], 0x3fb2b948a3fec4b6
	s_delay_alu instid0(VALU_DEP_4) | instskip(NEXT) | instid1(VALU_DEP_4)
	v_fmaak_f64 v[26:27], v[28:29], v[26:27], 0x4013edb5c66d8fd6
	v_fmaak_f64 v[32:33], v[28:29], v[32:33], 0x409081cba20e5f6f
	;; [unrolled: 3-line block ×10, first 2 shown]
	s_delay_alu instid0(VALU_DEP_4) | instskip(NEXT) | instid1(VALU_DEP_4)
	v_fma_f64 v[22:23], v[28:29], v[22:23], 1.0
	v_fma_f64 v[24:25], v[28:29], v[24:25], 1.0
	s_delay_alu instid0(VALU_DEP_4) | instskip(NEXT) | instid1(VALU_DEP_4)
	v_fmaak_f64 v[34:35], v[28:29], v[26:27], 0x406a760a4c54bb0b
	v_fmaak_f64 v[26:27], v[28:29], v[32:33], 0x4075017f6ae75997
	s_delay_alu instid0(VALU_DEP_2) | instskip(NEXT) | instid1(VALU_DEP_1)
	v_fmaak_f64 v[28:29], v[28:29], v[34:35], 0x403934ff4d159eb5
	v_div_scale_f64 v[34:35], null, v[26:27], v[26:27], v[28:29]
	v_div_scale_f64 v[32:33], null, v[22:23], v[22:23], v[24:25]
	v_div_scale_f64 v[72:73], vcc_lo, v[24:25], v[22:23], v[24:25]
	s_delay_alu instid0(VALU_DEP_3) | instskip(NEXT) | instid1(VALU_DEP_2)
	v_rcp_f64_e32 v[38:39], v[34:35]
	v_rcp_f64_e32 v[36:37], v[32:33]
	s_delay_alu instid0(TRANS32_DEP_2) | instskip(NEXT) | instid1(TRANS32_DEP_1)
	v_fma_f64 v[46:47], -v[34:35], v[38:39], 1.0
	v_fma_f64 v[44:45], -v[32:33], v[36:37], 1.0
	s_delay_alu instid0(VALU_DEP_2) | instskip(SKIP_1) | instid1(VALU_DEP_3)
	v_fmac_f64_e32 v[38:39], v[38:39], v[46:47]
	v_mov_b64_e32 v[46:47], 0x3e21eeb69037ab78
	v_fmac_f64_e32 v[36:37], v[36:37], v[44:45]
	v_mov_b64_e32 v[44:45], 0x3ec71de3796cde01
	s_delay_alu instid0(VALU_DEP_1) | instskip(NEXT) | instid1(VALU_DEP_4)
	v_fmac_f64_e32 v[44:45], v[42:43], v[48:49]
	v_fmamk_f64 v[48:49], v[40:41], 0xbda907db46cc5e42, v[46:47]
	v_fmac_f64_e32 v[46:47], 0xbda907db46cc5e42, v[42:43]
	v_fma_f64 v[60:61], -v[34:35], v[38:39], 1.0
	v_fma_f64 v[58:59], -v[32:33], v[36:37], 1.0
	v_fmac_f64_e32 v[62:63], v[42:43], v[44:45]
	s_delay_alu instid0(VALU_DEP_4) | instskip(SKIP_1) | instid1(VALU_DEP_4)
	v_fmac_f64_e32 v[64:65], v[42:43], v[46:47]
	v_rsq_f64_e32 v[46:47], v[10:11]
	v_fmac_f64_e32 v[38:39], v[38:39], v[60:61]
	v_mov_b64_e32 v[60:61], 0x3f81111111110bb3
	v_fmac_f64_e32 v[36:37], v[36:37], v[58:59]
	v_div_scale_f64 v[58:59], s1, v[28:29], v[26:27], v[28:29]
	s_delay_alu instid0(VALU_DEP_3) | instskip(SKIP_1) | instid1(VALU_DEP_4)
	v_fmac_f64_e32 v[60:61], v[42:43], v[62:63]
	v_fmac_f64_e32 v[74:75], v[42:43], v[64:65]
	v_mul_f64_e32 v[52:53], v[72:73], v[36:37]
	s_delay_alu instid0(VALU_DEP_4) | instskip(NEXT) | instid1(VALU_DEP_3)
	v_mul_f64_e32 v[70:71], v[58:59], v[38:39]
	v_fmac_f64_e32 v[80:81], v[42:43], v[74:75]
	s_delay_alu instid0(VALU_DEP_3) | instskip(NEXT) | instid1(VALU_DEP_3)
	v_fma_f64 v[32:33], -v[32:33], v[52:53], v[72:73]
	v_fma_f64 v[34:35], -v[34:35], v[70:71], v[58:59]
	v_mul_f64_e32 v[72:73], v[42:43], v[42:43]
	s_delay_alu instid0(VALU_DEP_4) | instskip(NEXT) | instid1(VALU_DEP_4)
	v_fmac_f64_e32 v[50:51], v[42:43], v[80:81]
	v_div_fmas_f64 v[32:33], v[32:33], v[36:37], v[52:53]
	s_mov_b32 vcc_lo, s1
	v_cmp_class_f64_e64 s1, v[8:9], 0x1f8
	v_div_fmas_f64 v[34:35], v[34:35], v[38:39], v[70:71]
	v_and_b32_e32 v8, 1, v30
	s_delay_alu instid0(VALU_DEP_1) | instskip(SKIP_1) | instid1(VALU_DEP_4)
	v_cmp_eq_u32_e64 s2, 0, v8
	v_div_fixup_f64 v[22:23], v[32:33], v[22:23], v[24:25]
	v_div_fixup_f64 v[26:27], v[34:35], v[26:27], v[28:29]
	v_dual_lshlrev_b32 v1, 30, v1 :: v_dual_bitop2_b32 v28, 1, v1 bitop3:0x40
	s_delay_alu instid0(TRANS32_DEP_1) | instskip(SKIP_1) | instid1(VALU_DEP_3)
	v_mul_f64_e32 v[64:65], v[10:11], v[46:47]
	v_mul_f64_e32 v[46:47], 0.5, v[46:47]
	v_cmp_eq_u32_e32 vcc_lo, 0, v28
	v_mul_f64_e32 v[54:55], 0.5, v[42:43]
	v_mul_f64_e64 v[78:79], v[16:17], -v[42:43]
	v_xor_b32_e32 v1, v1, v9
	v_mul_f64_e32 v[20:21], v[20:21], v[26:27]
	s_delay_alu instid0(VALU_DEP_4) | instskip(NEXT) | instid1(VALU_DEP_4)
	v_add_f64_e64 v[44:45], -v[54:55], 1.0
	v_fmac_f64_e32 v[76:77], v[78:79], v[60:61]
	s_delay_alu instid0(VALU_DEP_2) | instskip(NEXT) | instid1(VALU_DEP_2)
	v_add_f64_e64 v[62:63], -v[44:45], 1.0
	v_fma_f64 v[58:59], v[42:43], v[76:77], -v[18:19]
	s_delay_alu instid0(VALU_DEP_2) | instskip(NEXT) | instid1(VALU_DEP_2)
	v_add_f64_e64 v[54:55], v[62:63], -v[54:55]
	v_fmac_f64_e32 v[58:59], 0xbfc5555555555555, v[78:79]
	v_fma_f64 v[62:63], -v[46:47], v[64:65], 0.5
	s_delay_alu instid0(VALU_DEP_3) | instskip(NEXT) | instid1(VALU_DEP_3)
	v_fma_f64 v[18:19], v[16:17], -v[18:19], v[54:55]
	v_add_f64_e64 v[16:17], v[16:17], -v[58:59]
	s_delay_alu instid0(VALU_DEP_3) | instskip(SKIP_1) | instid1(VALU_DEP_4)
	v_fmac_f64_e32 v[64:65], v[64:65], v[62:63]
	v_fmac_f64_e32 v[46:47], v[46:47], v[62:63]
	v_fmac_f64_e32 v[18:19], v[72:73], v[50:51]
	s_delay_alu instid0(VALU_DEP_4) | instskip(NEXT) | instid1(VALU_DEP_4)
	v_xor_b32_e32 v8, 0x80000000, v17
	v_fma_f64 v[36:37], -v[64:65], v[64:65], v[10:11]
	s_delay_alu instid0(VALU_DEP_3) | instskip(NEXT) | instid1(VALU_DEP_2)
	v_add_f64_e32 v[18:19], v[44:45], v[18:19]
	v_fmac_f64_e32 v[64:65], v[36:37], v[46:47]
	s_delay_alu instid0(VALU_DEP_2) | instskip(NEXT) | instid1(VALU_DEP_3)
	v_cndmask_b32_e64 v18, v16, v18, s2
	v_cndmask_b32_e64 v8, v8, v19, s2
	s_delay_alu instid0(VALU_DEP_2) | instskip(SKIP_2) | instid1(VALU_DEP_1)
	v_dual_fma_f64 v[16:17], -v[64:65], v[64:65], v[10:11] :: v_dual_cndmask_b32 v18, 0, v18, s1
	v_mul_f64_e32 v[60:61], v[40:41], v[40:41]
	v_fmaak_f64 v[48:49], v[40:41], v[48:49], 0xbe927e4fa17f65f6
	v_fmaak_f64 v[48:49], v[40:41], v[48:49], 0x3efa01a019f4ec90
	s_delay_alu instid0(VALU_DEP_1) | instskip(NEXT) | instid1(VALU_DEP_1)
	v_fmaak_f64 v[48:49], v[40:41], v[48:49], 0xbf56c16c16c16967
	v_fmaak_f64 v[40:41], v[40:41], v[48:49], 0x3fa5555555555555
	v_fmac_f64_e32 v[64:65], v[16:17], v[46:47]
	s_delay_alu instid0(VALU_DEP_2) | instskip(NEXT) | instid1(VALU_DEP_1)
	v_fmac_f64_e32 v[14:15], v[60:61], v[40:41]
	v_add_f64_e32 v[14:15], v[56:57], v[14:15]
	s_delay_alu instid0(VALU_DEP_1) | instskip(NEXT) | instid1(VALU_DEP_2)
	v_dual_cndmask_b32 v12, v14, v12, vcc_lo :: v_dual_lshlrev_b32 v14, 30, v30
	v_cndmask_b32_e32 v9, v15, v13, vcc_lo
	v_cmp_class_f64_e64 vcc_lo, v[10:11], 0x260
	s_delay_alu instid0(VALU_DEP_3) | instskip(NEXT) | instid1(VALU_DEP_3)
	v_bitop3_b32 v14, v8, v14, 0x80000000 bitop3:0x78
	v_bitop3_b32 v1, v9, v1, 0x80000000 bitop3:0x78
	v_cndmask_b32_e64 v8, 0, v12, s1
	s_delay_alu instid0(VALU_DEP_3) | instskip(NEXT) | instid1(VALU_DEP_3)
	v_cndmask_b32_e64 v19, 0x7ff80000, v14, s1
	v_cndmask_b32_e64 v9, 0x7ff80000, v1, s1
	;; [unrolled: 1-line block ×3, first 2 shown]
	s_delay_alu instid0(VALU_DEP_3) | instskip(NEXT) | instid1(VALU_DEP_1)
	v_mul_f64_e32 v[18:19], v[20:21], v[18:19]
	v_fmac_f64_e32 v[18:19], v[22:23], v[8:9]
	s_delay_alu instid0(VALU_DEP_3) | instskip(NEXT) | instid1(VALU_DEP_2)
	v_ldexp_f64 v[8:9], v[64:65], v1
	v_mul_f64_e32 v[12:13], 0x3fe9884533d43651, v[18:19]
	s_delay_alu instid0(VALU_DEP_2) | instskip(NEXT) | instid1(VALU_DEP_1)
	v_dual_cndmask_b32 v9, v9, v11 :: v_dual_cndmask_b32 v8, v8, v10
	v_div_scale_f64 v[10:11], null, v[8:9], v[8:9], v[12:13]
	s_delay_alu instid0(VALU_DEP_1) | instskip(SKIP_1) | instid1(TRANS32_DEP_1)
	v_rcp_f64_e32 v[14:15], v[10:11]
	v_nop
	v_fma_f64 v[16:17], -v[10:11], v[14:15], 1.0
	s_delay_alu instid0(VALU_DEP_1) | instskip(NEXT) | instid1(VALU_DEP_1)
	v_fmac_f64_e32 v[14:15], v[14:15], v[16:17]
	v_fma_f64 v[16:17], -v[10:11], v[14:15], 1.0
	s_delay_alu instid0(VALU_DEP_1) | instskip(SKIP_1) | instid1(VALU_DEP_1)
	v_fmac_f64_e32 v[14:15], v[14:15], v[16:17]
	v_div_scale_f64 v[16:17], vcc_lo, v[12:13], v[8:9], v[12:13]
	v_mul_f64_e32 v[18:19], v[16:17], v[14:15]
	s_delay_alu instid0(VALU_DEP_1) | instskip(NEXT) | instid1(VALU_DEP_1)
	v_fma_f64 v[10:11], -v[10:11], v[18:19], v[16:17]
	v_div_fmas_f64 v[10:11], v[10:11], v[14:15], v[18:19]
	s_delay_alu instid0(VALU_DEP_1)
	v_div_fixup_f64 v[8:9], v[10:11], v[8:9], v[12:13]
.LBB7_88:
	s_or_b32 exec_lo, exec_lo, s3
	global_load_b64 v[12:13], v3, s[6:7]
                                        ; implicit-def: $vgpr10_vgpr11
	s_mov_b32 s0, exec_lo
	s_wait_loadcnt 0x0
	v_cmpx_ge_f64_e32 0x40140000, v[12:13]
	s_xor_b32 s1, exec_lo, s0
	s_cbranch_execz .LBB7_94
; %bb.89:
	v_mov_b64_e32 v[10:11], 0xfff0000000000000
	s_mov_b32 s2, exec_lo
	v_cmpx_neq_f64_e32 0, v[12:13]
	s_cbranch_execz .LBB7_93
; %bb.90:
	v_mov_b64_e32 v[10:11], 0x7ff8000000000000
	s_mov_b32 s3, exec_lo
	v_cmpx_nge_f64_e32 0, v[12:13]
	s_cbranch_execz .LBB7_92
; %bb.91:
	v_frexp_mant_f64_e32 v[10:11], v[12:13]
	s_mov_b64 s[8:9], 0x3fe5555555555555
	s_delay_alu instid0(VALU_DEP_1) | instid1(SALU_CYCLE_1)
	v_cmp_gt_f64_e32 vcc_lo, s[8:9], v[10:11]
	s_mov_b64 s[8:9], 0x3fc3ab76bf559e2b
	v_cndmask_b32_e64 v1, 0, 1, vcc_lo
	s_delay_alu instid0(VALU_DEP_1) | instskip(SKIP_1) | instid1(VALU_DEP_2)
	v_ldexp_f64 v[10:11], v[10:11], v1
	v_frexp_exp_i32_f64_e32 v1, v[12:13]
	v_add_f64_e32 v[14:15], 1.0, v[10:11]
	v_add_f64_e32 v[20:21], -1.0, v[10:11]
	s_delay_alu instid0(VALU_DEP_3) | instskip(NEXT) | instid1(VALU_DEP_3)
	v_subrev_co_ci_u32_e64 v1, null, 0, v1, vcc_lo
	v_rcp_f64_e32 v[16:17], v[14:15]
	v_add_f64_e32 v[22:23], -1.0, v[14:15]
	s_delay_alu instid0(VALU_DEP_1) | instskip(NEXT) | instid1(TRANS32_DEP_1)
	v_add_f64_e64 v[10:11], v[10:11], -v[22:23]
	v_fma_f64 v[18:19], -v[14:15], v[16:17], 1.0
	s_delay_alu instid0(VALU_DEP_1) | instskip(NEXT) | instid1(VALU_DEP_1)
	v_fmac_f64_e32 v[16:17], v[18:19], v[16:17]
	v_fma_f64 v[18:19], -v[14:15], v[16:17], 1.0
	s_delay_alu instid0(VALU_DEP_1) | instskip(NEXT) | instid1(VALU_DEP_1)
	v_fmac_f64_e32 v[16:17], v[18:19], v[16:17]
	v_mul_f64_e32 v[18:19], v[20:21], v[16:17]
	s_delay_alu instid0(VALU_DEP_1) | instskip(NEXT) | instid1(VALU_DEP_1)
	v_mul_f64_e32 v[24:25], v[14:15], v[18:19]
	v_fma_f64 v[14:15], v[18:19], v[14:15], -v[24:25]
	s_delay_alu instid0(VALU_DEP_1) | instskip(NEXT) | instid1(VALU_DEP_1)
	v_fmac_f64_e32 v[14:15], v[18:19], v[10:11]
	v_add_f64_e32 v[10:11], v[24:25], v[14:15]
	s_delay_alu instid0(VALU_DEP_1) | instskip(SKIP_1) | instid1(VALU_DEP_2)
	v_add_f64_e64 v[22:23], v[20:21], -v[10:11]
	v_add_f64_e64 v[24:25], v[10:11], -v[24:25]
	v_add_f64_e64 v[20:21], v[20:21], -v[22:23]
	s_delay_alu instid0(VALU_DEP_2) | instskip(SKIP_1) | instid1(VALU_DEP_3)
	v_add_f64_e64 v[14:15], v[24:25], -v[14:15]
	v_cvt_f64_i32_e32 v[24:25], v1
	v_add_f64_e64 v[10:11], v[20:21], -v[10:11]
	s_delay_alu instid0(VALU_DEP_2) | instskip(NEXT) | instid1(VALU_DEP_2)
	v_mul_f64_e32 v[30:31], 0x3fe62e42fefa39ef, v[24:25]
	v_add_f64_e32 v[10:11], v[14:15], v[10:11]
	s_delay_alu instid0(VALU_DEP_1) | instskip(NEXT) | instid1(VALU_DEP_1)
	v_add_f64_e32 v[10:11], v[22:23], v[10:11]
	v_mul_f64_e32 v[10:11], v[16:17], v[10:11]
	s_delay_alu instid0(VALU_DEP_1) | instskip(NEXT) | instid1(VALU_DEP_1)
	v_add_f64_e32 v[14:15], v[18:19], v[10:11]
	v_mul_f64_e32 v[16:17], v[14:15], v[14:15]
	s_delay_alu instid0(VALU_DEP_1) | instskip(SKIP_2) | instid1(SALU_CYCLE_1)
	v_fmaak_f64 v[20:21], s[8:9], v[16:17], 0x3fc385386b47b09a
	v_mul_f64_e32 v[22:23], v[14:15], v[16:17]
	s_mov_b64 s[8:9], 0x3fe62e42fefa39ef
	v_fma_f64 v[34:35], v[24:25], s[8:9], -v[30:31]
	s_delay_alu instid0(VALU_DEP_3) | instskip(NEXT) | instid1(VALU_DEP_1)
	v_fmaak_f64 v[20:21], v[16:17], v[20:21], 0x3fc7474dd7f4df2e
	v_fmaak_f64 v[20:21], v[16:17], v[20:21], 0x3fcc71c016291751
	s_delay_alu instid0(VALU_DEP_1) | instskip(NEXT) | instid1(VALU_DEP_1)
	v_fmaak_f64 v[20:21], v[16:17], v[20:21], 0x3fd249249b27acf1
	v_fmaak_f64 v[20:21], v[16:17], v[20:21], 0x3fd99999998ef7b6
	s_delay_alu instid0(VALU_DEP_1) | instskip(SKIP_3) | instid1(VALU_DEP_4)
	v_fmaak_f64 v[16:17], v[16:17], v[20:21], 0x3fe5555555555780
	v_ldexp_f64 v[20:21], v[14:15], 1
	v_add_f64_e64 v[14:15], v[14:15], -v[18:19]
	v_fmamk_f64 v[24:25], v[24:25], 0x3c7abc9e3b39803f, v[34:35]
	v_mul_f64_e32 v[16:17], v[22:23], v[16:17]
	v_mul_f64_e32 v[22:23], v[12:13], v[12:13]
	s_delay_alu instid0(VALU_DEP_3) | instskip(SKIP_1) | instid1(VALU_DEP_4)
	v_add_f64_e32 v[34:35], v[30:31], v[24:25]
	v_add_f64_e64 v[10:11], v[10:11], -v[14:15]
	v_add_f64_e32 v[18:19], v[20:21], v[16:17]
	s_delay_alu instid0(VALU_DEP_4)
	v_fmaak_f64 v[26:27], 0, v[22:23], 0x40829269a93f7ac2
	v_fmaak_f64 v[28:29], 0, v[22:23], 0x408366b11b7086e7
	;; [unrolled: 1-line block ×3, first 2 shown]
	v_add_f64_e64 v[30:31], v[34:35], -v[30:31]
	v_ldexp_f64 v[10:11], v[10:11], 1
	v_add_f64_e64 v[14:15], v[18:19], -v[20:21]
	v_fmaak_f64 v[20:21], v[22:23], v[26:27], 0x410cc160be58ef7f
	v_fmaak_f64 v[26:27], v[22:23], v[28:29], 0x410f5eda0dd701b2
	;; [unrolled: 1-line block ×3, first 2 shown]
	v_add_f64_e64 v[24:25], v[24:25], -v[30:31]
	s_delay_alu instid0(VALU_DEP_4) | instskip(NEXT) | instid1(VALU_DEP_4)
	v_fmaak_f64 v[20:21], v[22:23], v[20:21], 0x419184efa9c8acee
	v_fmaak_f64 v[26:27], v[22:23], v[26:27], 0x4193e954dc92a1b1
	s_delay_alu instid0(VALU_DEP_4) | instskip(NEXT) | instid1(VALU_DEP_3)
	v_fmaak_f64 v[28:29], v[22:23], v[28:29], 0xc262d72d58836521
	v_fmaak_f64 v[20:21], v[22:23], v[20:21], 0x421178c3906b7b83
	s_delay_alu instid0(VALU_DEP_3) | instskip(NEXT) | instid1(VALU_DEP_3)
	v_fmaak_f64 v[26:27], v[22:23], v[26:27], 0x4214a13f7befeac1
	v_fmaak_f64 v[28:29], v[22:23], v[28:29], 0x42da0954b0910fef
	s_delay_alu instid0(VALU_DEP_3) | instskip(NEXT) | instid1(VALU_DEP_3)
	;; [unrolled: 3-line block ×4, first 2 shown]
	v_fmaak_f64 v[26:27], v[22:23], v[26:27], 0x43064b0a3eccf45f
	v_fmaak_f64 v[28:29], v[22:23], v[28:29], 0x438679ad0b7366b1
	v_add_f64_e64 v[14:15], v[16:17], -v[14:15]
	v_fmaak_f64 v[16:17], v[22:23], v[32:33], 0x425a52ba0d438c6b
	v_fmaak_f64 v[20:21], v[22:23], v[20:21], 0x436e83e3c547a488
	;; [unrolled: 1-line block ×4, first 2 shown]
	s_delay_alu instid0(VALU_DEP_4) | instskip(NEXT) | instid1(VALU_DEP_4)
	v_fmaak_f64 v[16:17], v[22:23], v[16:17], 0xc2d08a92e6ccf175
	v_fmaak_f64 v[20:21], v[22:23], v[20:21], 0x43cb90f190f6747f
	s_delay_alu instid0(VALU_DEP_2) | instskip(SKIP_1) | instid1(VALU_DEP_3)
	v_fmaak_f64 v[16:17], v[22:23], v[16:17], 0x432a2b42a697c482
	v_fmaak_f64 v[22:23], v[22:23], v[26:27], 0x43d2779576702939
	v_div_scale_f64 v[26:27], null, v[20:21], v[20:21], v[28:29]
	v_div_scale_f64 v[54:55], vcc_lo, v[28:29], v[20:21], v[28:29]
	s_delay_alu instid0(VALU_DEP_3) | instskip(SKIP_1) | instid1(VALU_DEP_4)
	v_div_scale_f64 v[32:33], null, v[22:23], v[22:23], v[16:17]
	v_add_f64_e32 v[10:11], v[10:11], v[14:15]
	v_rcp_f64_e32 v[14:15], v[26:27]
	s_delay_alu instid0(VALU_DEP_2) | instskip(NEXT) | instid1(VALU_DEP_1)
	v_rcp_f64_e32 v[36:37], v[32:33]
	v_add_f64_e32 v[38:39], v[18:19], v[10:11]
	s_delay_alu instid0(TRANS32_DEP_2) | instskip(NEXT) | instid1(TRANS32_DEP_1)
	v_fma_f64 v[40:41], -v[26:27], v[14:15], 1.0
	v_fma_f64 v[42:43], -v[32:33], v[36:37], 1.0
	s_delay_alu instid0(VALU_DEP_3) | instskip(SKIP_1) | instid1(VALU_DEP_4)
	v_add_f64_e32 v[44:45], v[34:35], v[38:39]
	v_add_f64_e64 v[18:19], v[38:39], -v[18:19]
	v_fmac_f64_e32 v[14:15], v[14:15], v[40:41]
	v_div_scale_f64 v[40:41], null, v[12:13], v[12:13], -1.0
	v_fmac_f64_e32 v[36:37], v[36:37], v[42:43]
	v_add_f64_e64 v[42:43], v[44:45], -v[34:35]
	v_add_f64_e64 v[10:11], v[10:11], -v[18:19]
	v_fma_f64 v[46:47], -v[26:27], v[14:15], 1.0
	v_rcp_f64_e32 v[48:49], v[40:41]
	s_delay_alu instid0(VALU_DEP_4) | instskip(NEXT) | instid1(VALU_DEP_4)
	v_fma_f64 v[50:51], -v[32:33], v[36:37], 1.0
	v_add_f64_e64 v[52:53], v[44:45], -v[42:43]
	v_add_f64_e64 v[18:19], v[38:39], -v[42:43]
	s_delay_alu instid0(VALU_DEP_4) | instskip(SKIP_4) | instid1(TRANS32_DEP_1)
	v_fmac_f64_e32 v[14:15], v[14:15], v[46:47]
	v_div_scale_f64 v[46:47], s0, v[16:17], v[22:23], v[16:17]
	v_fmac_f64_e32 v[36:37], v[36:37], v[50:51]
	v_add_f64_e32 v[50:51], v[24:25], v[10:11]
	v_add_f64_e64 v[30:31], v[34:35], -v[52:53]
	v_fma_f64 v[34:35], -v[40:41], v[48:49], 1.0
	v_mul_f64_e32 v[38:39], v[54:55], v[14:15]
	v_mul_f64_e32 v[42:43], v[46:47], v[36:37]
	s_delay_alu instid0(VALU_DEP_4) | instskip(NEXT) | instid1(VALU_DEP_4)
	v_add_f64_e32 v[18:19], v[18:19], v[30:31]
	v_fmac_f64_e32 v[48:49], v[48:49], v[34:35]
	s_delay_alu instid0(VALU_DEP_4) | instskip(NEXT) | instid1(VALU_DEP_4)
	v_fma_f64 v[26:27], -v[26:27], v[38:39], v[54:55]
	v_fma_f64 v[30:31], -v[32:33], v[42:43], v[46:47]
	v_add_f64_e64 v[32:33], v[50:51], -v[24:25]
	v_add_f64_e32 v[18:19], v[50:51], v[18:19]
	v_fma_f64 v[34:35], -v[40:41], v[48:49], 1.0
	v_div_fmas_f64 v[14:15], v[26:27], v[14:15], v[38:39]
	s_mov_b32 vcc_lo, s0
	v_div_fmas_f64 v[26:27], v[30:31], v[36:37], v[42:43]
	v_add_f64_e64 v[30:31], v[50:51], -v[32:33]
	v_div_scale_f64 v[38:39], vcc_lo, -1.0, v[12:13], -1.0
	v_add_f64_e32 v[36:37], v[44:45], v[18:19]
	v_fmac_f64_e32 v[48:49], v[48:49], v[34:35]
	v_add_f64_e64 v[10:11], v[10:11], -v[32:33]
	v_div_fixup_f64 v[14:15], v[14:15], v[20:21], v[28:29]
	v_div_fixup_f64 v[16:17], v[26:27], v[22:23], v[16:17]
	v_add_f64_e64 v[22:23], v[24:25], -v[30:31]
	v_add_f64_e64 v[24:25], v[36:37], -v[44:45]
	v_mul_f64_e32 v[26:27], v[38:39], v[48:49]
	s_delay_alu instid0(VALU_DEP_4) | instskip(NEXT) | instid1(VALU_DEP_4)
	v_mul_f64_e32 v[16:17], v[12:13], v[16:17]
	v_add_f64_e32 v[10:11], v[10:11], v[22:23]
	s_delay_alu instid0(VALU_DEP_4) | instskip(NEXT) | instid1(VALU_DEP_4)
	v_add_f64_e64 v[18:19], v[18:19], -v[24:25]
	v_fma_f64 v[22:23], -v[40:41], v[26:27], v[38:39]
	v_fmaak_f64 v[24:25], v[12:13], v[12:13], 0xc02d5d2b4189822c
	s_delay_alu instid0(VALU_DEP_1) | instskip(NEXT) | instid1(VALU_DEP_4)
	v_mul_f64_e32 v[16:17], v[24:25], v[16:17]
	v_add_f64_e32 v[10:11], v[10:11], v[18:19]
	s_delay_alu instid0(VALU_DEP_4) | instskip(SKIP_1) | instid1(VALU_DEP_1)
	v_div_fmas_f64 v[18:19], v[22:23], v[48:49], v[26:27]
	v_fmaak_f64 v[22:23], v[12:13], v[12:13], 0xc0489bf66072a432
	v_mul_f64_e32 v[16:17], v[22:23], v[16:17]
	s_delay_alu instid0(VALU_DEP_4) | instskip(NEXT) | instid1(VALU_DEP_4)
	v_add_f64_e32 v[10:11], v[36:37], v[10:11]
	v_div_fixup_f64 v[18:19], v[18:19], v[12:13], -1.0
	s_delay_alu instid0(VALU_DEP_1) | instskip(NEXT) | instid1(VALU_DEP_1)
	v_fmac_f64_e32 v[18:19], v[16:17], v[10:11]
	v_mul_f64_e32 v[10:11], 0x3fe45f306dc9c883, v[18:19]
	s_delay_alu instid0(VALU_DEP_1)
	v_fmac_f64_e32 v[10:11], v[12:13], v[14:15]
.LBB7_92:
	s_or_b32 exec_lo, exec_lo, s3
.LBB7_93:
	s_delay_alu instid0(SALU_CYCLE_1)
	s_or_b32 exec_lo, exec_lo, s2
                                        ; implicit-def: $vgpr12_vgpr13
.LBB7_94:
	s_and_not1_saveexec_b32 s2, s1
	s_cbranch_execz .LBB7_104
; %bb.95:
	v_add_f64_e32 v[10:11], 0xc002d97c7f3321d2, v[12:13]
                                        ; implicit-def: $vgpr1
                                        ; implicit-def: $vgpr14_vgpr15
                                        ; implicit-def: $vgpr16_vgpr17
	s_delay_alu instid0(VALU_DEP_1)
	v_cmp_ngt_f64_e64 s0, 0x41d00000, |v[10:11]|
	v_trig_preop_f64 v[26:27], |v[10:11]|, 0
	v_trig_preop_f64 v[24:25], |v[10:11]|, 1
	v_ldexp_f64 v[28:29], |v[10:11]|, 0xffffff80
	v_trig_preop_f64 v[20:21], |v[10:11]|, 2
	v_and_b32_e32 v30, 0x7fffffff, v11
	s_and_saveexec_b32 s1, s0
	s_delay_alu instid0(SALU_CYCLE_1)
	s_xor_b32 s1, exec_lo, s1
	s_cbranch_execz .LBB7_97
; %bb.96:
	v_cmp_le_f64_e64 vcc_lo, 0x7b000000, |v[10:11]|
	s_mov_b64 s[8:9], 0x3ff921fb54442d18
	v_dual_mov_b32 v44, 0 :: v_dual_cndmask_b32 v15, v30, v29
	v_cndmask_b32_e32 v14, v10, v28, vcc_lo
	s_delay_alu instid0(VALU_DEP_1) | instskip(SKIP_1) | instid1(VALU_DEP_2)
	v_mul_f64_e32 v[16:17], v[26:27], v[14:15]
	v_mul_f64_e32 v[18:19], v[24:25], v[14:15]
	v_fma_f64 v[22:23], v[26:27], v[14:15], -v[16:17]
	s_delay_alu instid0(VALU_DEP_1) | instskip(NEXT) | instid1(VALU_DEP_1)
	v_add_f64_e32 v[32:33], v[18:19], v[22:23]
	v_add_f64_e64 v[34:35], v[32:33], -v[18:19]
	v_add_f64_e32 v[38:39], v[16:17], v[32:33]
	s_delay_alu instid0(VALU_DEP_2) | instskip(SKIP_1) | instid1(VALU_DEP_3)
	v_add_f64_e64 v[36:37], v[32:33], -v[34:35]
	v_add_f64_e64 v[22:23], v[22:23], -v[34:35]
	v_ldexp_f64 v[34:35], v[38:39], -2
	v_fma_f64 v[42:43], v[24:25], v[14:15], -v[18:19]
	v_mul_f64_e32 v[40:41], v[20:21], v[14:15]
	s_delay_alu instid0(VALU_DEP_3) | instskip(SKIP_1) | instid1(VALU_DEP_3)
	v_cmp_neq_f64_e64 vcc_lo, 0x7ff00000, |v[34:35]|
	v_add_f64_e64 v[18:19], v[18:19], -v[36:37]
	v_add_f64_e32 v[36:37], v[40:41], v[42:43]
	v_fma_f64 v[14:15], v[20:21], v[14:15], -v[40:41]
	s_delay_alu instid0(VALU_DEP_3) | instskip(SKIP_1) | instid1(VALU_DEP_1)
	v_add_f64_e32 v[18:19], v[22:23], v[18:19]
	v_fract_f64_e32 v[22:23], v[34:35]
	v_ldexp_f64 v[22:23], v[22:23], 2
	s_delay_alu instid0(VALU_DEP_1) | instskip(NEXT) | instid1(VALU_DEP_1)
	v_dual_add_f64 v[16:17], v[38:39], -v[16:17] :: v_dual_cndmask_b32 v23, 0, v23, vcc_lo
	v_dual_add_f64 v[16:17], v[32:33], -v[16:17] :: v_dual_cndmask_b32 v22, 0, v22, vcc_lo
	v_add_f64_e32 v[32:33], v[36:37], v[18:19]
	s_delay_alu instid0(VALU_DEP_1) | instskip(SKIP_1) | instid1(VALU_DEP_2)
	v_add_f64_e32 v[34:35], v[16:17], v[32:33]
	v_add_f64_e64 v[46:47], v[32:33], -v[36:37]
	v_add_f64_e32 v[38:39], v[34:35], v[22:23]
	s_delay_alu instid0(VALU_DEP_2) | instskip(SKIP_2) | instid1(VALU_DEP_4)
	v_add_f64_e64 v[52:53], v[32:33], -v[46:47]
	v_add_f64_e64 v[18:19], v[18:19], -v[46:47]
	;; [unrolled: 1-line block ×3, first 2 shown]
	v_cmp_gt_f64_e32 vcc_lo, 0, v[38:39]
	v_add_f64_e64 v[38:39], v[36:37], -v[40:41]
	s_delay_alu instid0(VALU_DEP_3) | instskip(SKIP_1) | instid1(VALU_DEP_3)
	v_add_f64_e64 v[16:17], v[32:33], -v[16:17]
	v_cndmask_b32_e64 v45, 0, 0x40100000, vcc_lo
	v_add_f64_e64 v[50:51], v[36:37], -v[38:39]
	v_add_f64_e64 v[38:39], v[42:43], -v[38:39]
	v_add_f64_e64 v[36:37], v[36:37], -v[52:53]
	s_delay_alu instid0(VALU_DEP_4) | instskip(NEXT) | instid1(VALU_DEP_4)
	v_add_f64_e32 v[22:23], v[22:23], v[44:45]
	v_add_f64_e64 v[42:43], v[40:41], -v[50:51]
	s_delay_alu instid0(VALU_DEP_3) | instskip(NEXT) | instid1(VALU_DEP_3)
	v_add_f64_e32 v[18:19], v[18:19], v[36:37]
	v_add_f64_e32 v[48:49], v[34:35], v[22:23]
	s_delay_alu instid0(VALU_DEP_3) | instskip(NEXT) | instid1(VALU_DEP_2)
	v_add_f64_e32 v[38:39], v[38:39], v[42:43]
	v_cvt_i32_f64_e32 v1, v[48:49]
	s_delay_alu instid0(VALU_DEP_2) | instskip(NEXT) | instid1(VALU_DEP_2)
	v_add_f64_e32 v[18:19], v[38:39], v[18:19]
	v_cvt_f64_i32_e32 v[46:47], v1
	s_delay_alu instid0(VALU_DEP_2) | instskip(NEXT) | instid1(VALU_DEP_2)
	v_add_f64_e32 v[14:15], v[14:15], v[18:19]
	v_add_f64_e64 v[22:23], v[22:23], -v[46:47]
	s_delay_alu instid0(VALU_DEP_2) | instskip(NEXT) | instid1(VALU_DEP_2)
	v_add_f64_e32 v[14:15], v[16:17], v[14:15]
	v_add_f64_e32 v[36:37], v[34:35], v[22:23]
	s_delay_alu instid0(VALU_DEP_1) | instskip(SKIP_1) | instid1(VALU_DEP_2)
	v_add_f64_e64 v[18:19], v[36:37], -v[22:23]
	v_cmp_le_f64_e32 vcc_lo, 0.5, v[36:37]
	v_add_f64_e64 v[16:17], v[34:35], -v[18:19]
	v_cndmask_b32_e64 v45, 0, 0x3ff00000, vcc_lo
	v_add_co_ci_u32_e64 v1, null, 0, v1, vcc_lo
	s_delay_alu instid0(VALU_DEP_3) | instskip(NEXT) | instid1(VALU_DEP_3)
	v_add_f64_e32 v[14:15], v[14:15], v[16:17]
	v_add_f64_e64 v[16:17], v[36:37], -v[44:45]
	s_delay_alu instid0(VALU_DEP_1) | instskip(NEXT) | instid1(VALU_DEP_1)
	v_add_f64_e32 v[18:19], v[16:17], v[14:15]
	v_mul_f64_e32 v[22:23], 0x3ff921fb54442d18, v[18:19]
	v_add_f64_e64 v[16:17], v[18:19], -v[16:17]
	s_delay_alu instid0(VALU_DEP_2) | instskip(NEXT) | instid1(VALU_DEP_2)
	v_fma_f64 v[32:33], v[18:19], s[8:9], -v[22:23]
	v_add_f64_e64 v[14:15], v[14:15], -v[16:17]
	s_delay_alu instid0(VALU_DEP_2) | instskip(NEXT) | instid1(VALU_DEP_1)
	v_fmamk_f64 v[16:17], v[18:19], 0x3c91a62633145c07, v[32:33]
	v_fmac_f64_e32 v[16:17], 0x3ff921fb54442d18, v[14:15]
	s_delay_alu instid0(VALU_DEP_1) | instskip(NEXT) | instid1(VALU_DEP_1)
	v_add_f64_e32 v[14:15], v[22:23], v[16:17]
	v_add_f64_e64 v[18:19], v[14:15], -v[22:23]
	s_delay_alu instid0(VALU_DEP_1)
	v_add_f64_e64 v[16:17], v[16:17], -v[18:19]
	s_and_not1_saveexec_b32 s1, s1
	s_cbranch_execz .LBB7_99
	s_branch .LBB7_98
.LBB7_97:
	s_and_not1_saveexec_b32 s1, s1
	s_cbranch_execz .LBB7_99
.LBB7_98:
	s_mov_b64 s[8:9], 0x3fe45f306dc9c883
	s_delay_alu instid0(SALU_CYCLE_1) | instskip(SKIP_1) | instid1(VALU_DEP_1)
	v_mul_f64_e64 v[14:15], |v[10:11]|, s[8:9]
	s_mov_b64 s[8:9], 0xbff921fb54442d18
	v_rndne_f64_e32 v[18:19], v[14:15]
	s_delay_alu instid0(VALU_DEP_1) | instskip(SKIP_2) | instid1(VALU_DEP_3)
	v_fma_f64 v[14:15], v[18:19], s[8:9], |v[10:11]|
	v_mul_f64_e32 v[16:17], 0xbc91a62633145c00, v[18:19]
	v_cvt_i32_f64_e32 v1, v[18:19]
	v_fmamk_f64 v[34:35], v[18:19], 0xbc91a62633145c00, v[14:15]
	s_delay_alu instid0(VALU_DEP_3) | instskip(NEXT) | instid1(VALU_DEP_1)
	v_add_f64_e32 v[22:23], v[14:15], v[16:17]
	v_add_f64_e64 v[32:33], v[14:15], -v[22:23]
	s_delay_alu instid0(VALU_DEP_3) | instskip(NEXT) | instid1(VALU_DEP_2)
	v_add_f64_e64 v[14:15], v[22:23], -v[34:35]
	v_add_f64_e32 v[22:23], v[32:33], v[16:17]
	v_fmamk_f64 v[16:17], v[18:19], 0x3c91a62633145c00, v[16:17]
	s_delay_alu instid0(VALU_DEP_2) | instskip(NEXT) | instid1(VALU_DEP_1)
	v_add_f64_e32 v[14:15], v[14:15], v[22:23]
	v_add_f64_e64 v[14:15], v[14:15], -v[16:17]
	s_delay_alu instid0(VALU_DEP_1) | instskip(NEXT) | instid1(VALU_DEP_1)
	v_fmamk_f64 v[16:17], v[18:19], 0xb97b839a252049c0, v[14:15]
	v_add_f64_e32 v[14:15], v[34:35], v[16:17]
	s_delay_alu instid0(VALU_DEP_1) | instskip(NEXT) | instid1(VALU_DEP_1)
	v_add_f64_e64 v[22:23], v[14:15], -v[34:35]
	v_add_f64_e64 v[16:17], v[16:17], -v[22:23]
.LBB7_99:
	s_or_b32 exec_lo, exec_lo, s1
                                        ; implicit-def: $vgpr3
                                        ; implicit-def: $vgpr18_vgpr19
                                        ; implicit-def: $vgpr22_vgpr23
	s_and_saveexec_b32 s1, s0
	s_delay_alu instid0(SALU_CYCLE_1)
	s_xor_b32 s0, exec_lo, s1
	s_cbranch_execz .LBB7_101
; %bb.100:
	v_cmp_le_f64_e64 vcc_lo, 0x7b000000, |v[10:11]|
	s_mov_b64 s[8:9], 0x3ff921fb54442d18
	v_dual_mov_b32 v40, 0 :: v_dual_cndmask_b32 v19, v30, v29
	v_cndmask_b32_e32 v18, v10, v28, vcc_lo
	s_delay_alu instid0(VALU_DEP_1) | instskip(SKIP_1) | instid1(VALU_DEP_2)
	v_mul_f64_e32 v[22:23], v[26:27], v[18:19]
	v_mul_f64_e32 v[28:29], v[24:25], v[18:19]
	v_fma_f64 v[26:27], v[26:27], v[18:19], -v[22:23]
	s_delay_alu instid0(VALU_DEP_1) | instskip(SKIP_1) | instid1(VALU_DEP_2)
	v_add_f64_e32 v[30:31], v[28:29], v[26:27]
	v_fma_f64 v[24:25], v[24:25], v[18:19], -v[28:29]
	v_add_f64_e64 v[32:33], v[30:31], -v[28:29]
	v_add_f64_e32 v[36:37], v[22:23], v[30:31]
	s_delay_alu instid0(VALU_DEP_2) | instskip(SKIP_1) | instid1(VALU_DEP_3)
	v_add_f64_e64 v[34:35], v[30:31], -v[32:33]
	v_add_f64_e64 v[26:27], v[26:27], -v[32:33]
	v_ldexp_f64 v[32:33], v[36:37], -2
	s_delay_alu instid0(VALU_DEP_3) | instskip(SKIP_1) | instid1(VALU_DEP_3)
	v_add_f64_e64 v[28:29], v[28:29], -v[34:35]
	v_mul_f64_e32 v[38:39], v[20:21], v[18:19]
	v_cmp_neq_f64_e64 vcc_lo, 0x7ff00000, |v[32:33]|
	s_delay_alu instid0(VALU_DEP_3) | instskip(SKIP_1) | instid1(VALU_DEP_4)
	v_add_f64_e32 v[26:27], v[26:27], v[28:29]
	v_fract_f64_e32 v[28:29], v[32:33]
	v_add_f64_e32 v[34:35], v[38:39], v[24:25]
	v_fma_f64 v[18:19], v[20:21], v[18:19], -v[38:39]
	s_delay_alu instid0(VALU_DEP_3) | instskip(NEXT) | instid1(VALU_DEP_1)
	v_ldexp_f64 v[28:29], v[28:29], 2
	v_dual_add_f64 v[22:23], v[36:37], -v[22:23] :: v_dual_cndmask_b32 v29, 0, v29, vcc_lo
	s_delay_alu instid0(VALU_DEP_1) | instskip(SKIP_1) | instid1(VALU_DEP_1)
	v_dual_add_f64 v[22:23], v[30:31], -v[22:23] :: v_dual_cndmask_b32 v28, 0, v28, vcc_lo
	v_add_f64_e32 v[30:31], v[34:35], v[26:27]
	v_add_f64_e32 v[32:33], v[22:23], v[30:31]
	v_add_f64_e64 v[42:43], v[30:31], -v[34:35]
	s_delay_alu instid0(VALU_DEP_2) | instskip(NEXT) | instid1(VALU_DEP_2)
	v_add_f64_e32 v[36:37], v[32:33], v[28:29]
	v_add_f64_e64 v[48:49], v[30:31], -v[42:43]
	v_add_f64_e64 v[26:27], v[26:27], -v[42:43]
	;; [unrolled: 1-line block ×3, first 2 shown]
	s_delay_alu instid0(VALU_DEP_4) | instskip(SKIP_1) | instid1(VALU_DEP_3)
	v_cmp_gt_f64_e32 vcc_lo, 0, v[36:37]
	v_add_f64_e64 v[36:37], v[34:35], -v[38:39]
	v_add_f64_e64 v[20:21], v[30:31], -v[20:21]
	v_cndmask_b32_e64 v41, 0, 0x40100000, vcc_lo
	s_delay_alu instid0(VALU_DEP_3) | instskip(SKIP_2) | instid1(VALU_DEP_4)
	v_add_f64_e64 v[46:47], v[34:35], -v[36:37]
	v_add_f64_e64 v[24:25], v[24:25], -v[36:37]
	;; [unrolled: 1-line block ×3, first 2 shown]
	v_add_f64_e32 v[28:29], v[28:29], v[40:41]
	s_delay_alu instid0(VALU_DEP_4) | instskip(NEXT) | instid1(VALU_DEP_3)
	v_add_f64_e64 v[36:37], v[38:39], -v[46:47]
	v_add_f64_e32 v[26:27], v[26:27], v[34:35]
	s_delay_alu instid0(VALU_DEP_3) | instskip(NEXT) | instid1(VALU_DEP_3)
	v_add_f64_e32 v[44:45], v[32:33], v[28:29]
	v_add_f64_e32 v[24:25], v[24:25], v[36:37]
	s_delay_alu instid0(VALU_DEP_2) | instskip(NEXT) | instid1(VALU_DEP_2)
	v_cvt_i32_f64_e32 v3, v[44:45]
	v_add_f64_e32 v[22:23], v[24:25], v[26:27]
	s_delay_alu instid0(VALU_DEP_2) | instskip(NEXT) | instid1(VALU_DEP_2)
	v_cvt_f64_i32_e32 v[42:43], v3
	v_add_f64_e32 v[18:19], v[18:19], v[22:23]
	s_delay_alu instid0(VALU_DEP_2) | instskip(NEXT) | instid1(VALU_DEP_2)
	v_add_f64_e64 v[28:29], v[28:29], -v[42:43]
	v_add_f64_e32 v[18:19], v[20:21], v[18:19]
	s_delay_alu instid0(VALU_DEP_2) | instskip(NEXT) | instid1(VALU_DEP_1)
	v_add_f64_e32 v[24:25], v[32:33], v[28:29]
	v_add_f64_e64 v[22:23], v[24:25], -v[28:29]
	v_cmp_le_f64_e32 vcc_lo, 0.5, v[24:25]
	s_delay_alu instid0(VALU_DEP_2) | instskip(SKIP_2) | instid1(VALU_DEP_3)
	v_add_f64_e64 v[20:21], v[32:33], -v[22:23]
	v_cndmask_b32_e64 v41, 0, 0x3ff00000, vcc_lo
	v_add_co_ci_u32_e64 v3, null, 0, v3, vcc_lo
	v_add_f64_e32 v[18:19], v[18:19], v[20:21]
	s_delay_alu instid0(VALU_DEP_3) | instskip(NEXT) | instid1(VALU_DEP_1)
	v_add_f64_e64 v[20:21], v[24:25], -v[40:41]
	v_add_f64_e32 v[22:23], v[20:21], v[18:19]
	s_delay_alu instid0(VALU_DEP_1) | instskip(SKIP_1) | instid1(VALU_DEP_2)
	v_mul_f64_e32 v[24:25], 0x3ff921fb54442d18, v[22:23]
	v_add_f64_e64 v[20:21], v[22:23], -v[20:21]
	v_fma_f64 v[26:27], v[22:23], s[8:9], -v[24:25]
	s_delay_alu instid0(VALU_DEP_2) | instskip(NEXT) | instid1(VALU_DEP_2)
	v_add_f64_e64 v[18:19], v[18:19], -v[20:21]
	v_fmamk_f64 v[20:21], v[22:23], 0x3c91a62633145c07, v[26:27]
	s_delay_alu instid0(VALU_DEP_1) | instskip(NEXT) | instid1(VALU_DEP_1)
	v_fmac_f64_e32 v[20:21], 0x3ff921fb54442d18, v[18:19]
	v_add_f64_e32 v[18:19], v[24:25], v[20:21]
	s_delay_alu instid0(VALU_DEP_1) | instskip(NEXT) | instid1(VALU_DEP_1)
	v_add_f64_e64 v[22:23], v[18:19], -v[24:25]
	v_add_f64_e64 v[22:23], v[20:21], -v[22:23]
	s_and_not1_saveexec_b32 s0, s0
	s_cbranch_execnz .LBB7_102
	s_branch .LBB7_103
.LBB7_101:
	s_and_not1_saveexec_b32 s0, s0
	s_cbranch_execz .LBB7_103
.LBB7_102:
	s_mov_b64 s[8:9], 0x3fe45f306dc9c883
	s_delay_alu instid0(SALU_CYCLE_1) | instskip(SKIP_1) | instid1(VALU_DEP_1)
	v_mul_f64_e64 v[18:19], |v[10:11]|, s[8:9]
	s_mov_b64 s[8:9], 0xbff921fb54442d18
	v_rndne_f64_e32 v[20:21], v[18:19]
	s_delay_alu instid0(VALU_DEP_1) | instskip(SKIP_2) | instid1(VALU_DEP_3)
	v_fma_f64 v[18:19], v[20:21], s[8:9], |v[10:11]|
	v_mul_f64_e32 v[22:23], 0xbc91a62633145c00, v[20:21]
	v_cvt_i32_f64_e32 v3, v[20:21]
	v_fmamk_f64 v[28:29], v[20:21], 0xbc91a62633145c00, v[18:19]
	s_delay_alu instid0(VALU_DEP_3) | instskip(NEXT) | instid1(VALU_DEP_1)
	v_add_f64_e32 v[24:25], v[18:19], v[22:23]
	v_add_f64_e64 v[26:27], v[18:19], -v[24:25]
	s_delay_alu instid0(VALU_DEP_3) | instskip(NEXT) | instid1(VALU_DEP_2)
	v_add_f64_e64 v[18:19], v[24:25], -v[28:29]
	v_add_f64_e32 v[24:25], v[26:27], v[22:23]
	v_fmamk_f64 v[22:23], v[20:21], 0x3c91a62633145c00, v[22:23]
	s_delay_alu instid0(VALU_DEP_2) | instskip(NEXT) | instid1(VALU_DEP_1)
	v_add_f64_e32 v[18:19], v[18:19], v[24:25]
	v_add_f64_e64 v[18:19], v[18:19], -v[22:23]
	s_delay_alu instid0(VALU_DEP_1) | instskip(NEXT) | instid1(VALU_DEP_1)
	v_fmamk_f64 v[22:23], v[20:21], 0xb97b839a252049c0, v[18:19]
	v_add_f64_e32 v[18:19], v[28:29], v[22:23]
	s_delay_alu instid0(VALU_DEP_1) | instskip(NEXT) | instid1(VALU_DEP_1)
	v_add_f64_e64 v[24:25], v[18:19], -v[28:29]
	v_add_f64_e64 v[22:23], v[22:23], -v[24:25]
.LBB7_103:
	s_or_b32 exec_lo, exec_lo, s0
	v_div_scale_f64 v[20:21], null, v[12:13], v[12:13], 0x40140000
	v_div_scale_f64 v[28:29], vcc_lo, 0x40140000, v[12:13], 0x40140000
	v_mul_f64_e32 v[38:39], v[18:19], v[18:19]
	v_mov_b64_e32 v[44:45], 0xbe5ae600b42fdfa7
	v_cmp_gt_f64_e64 s0, 0x10000000, v[12:13]
	v_mov_b64_e32 v[52:53], 0x3ec71de3796cde01
	v_mov_b64_e32 v[54:55], 0x3e21eeb69037ab78
	;; [unrolled: 1-line block ×5, first 2 shown]
	v_mul_f64_e32 v[74:75], 0.5, v[16:17]
	v_rcp_f64_e32 v[24:25], v[20:21]
	v_mul_f64_e64 v[70:71], v[18:19], -v[38:39]
	v_mul_f64_e32 v[82:83], v[38:39], v[38:39]
	s_delay_alu instid0(TRANS32_DEP_1) | instskip(NEXT) | instid1(VALU_DEP_1)
	v_fma_f64 v[26:27], -v[20:21], v[24:25], 1.0
	v_fmac_f64_e32 v[24:25], v[24:25], v[26:27]
	s_delay_alu instid0(VALU_DEP_1) | instskip(NEXT) | instid1(VALU_DEP_1)
	v_fma_f64 v[26:27], -v[20:21], v[24:25], 1.0
	v_fmac_f64_e32 v[24:25], v[24:25], v[26:27]
	s_delay_alu instid0(VALU_DEP_1) | instskip(NEXT) | instid1(VALU_DEP_1)
	v_mul_f64_e32 v[26:27], v[28:29], v[24:25]
	v_fma_f64 v[20:21], -v[20:21], v[26:27], v[28:29]
	s_delay_alu instid0(VALU_DEP_1) | instskip(NEXT) | instid1(VALU_DEP_1)
	v_div_fmas_f64 v[20:21], v[20:21], v[24:25], v[26:27]
	v_div_fixup_f64 v[20:21], v[20:21], v[12:13], 0x40140000
	s_delay_alu instid0(VALU_DEP_1) | instskip(NEXT) | instid1(VALU_DEP_1)
	v_mul_f64_e32 v[30:31], v[20:21], v[20:21]
	v_fmaak_f64 v[28:29], 0, v[30:31], 0x3faa27fa6b70ba40
	v_fmaak_f64 v[24:25], 0, v[30:31], 0x3f42b89b13443d69
	;; [unrolled: 1-line block ×4, first 2 shown]
	s_delay_alu instid0(VALU_DEP_4) | instskip(NEXT) | instid1(VALU_DEP_4)
	v_fmaak_f64 v[28:29], v[30:31], v[28:29], 0x4013edb5c66d8fd6
	v_fmaak_f64 v[24:25], v[30:31], v[24:25], 0x3fb19fdd5948aa83
	s_delay_alu instid0(VALU_DEP_4) | instskip(NEXT) | instid1(VALU_DEP_4)
	v_fmaak_f64 v[26:27], v[30:31], v[26:27], 0x3fb2b948a3fec4b6
	v_fmaak_f64 v[32:33], v[30:31], v[32:33], 0x409081cba20e5f6f
	;; [unrolled: 3-line block ×10, first 2 shown]
	s_delay_alu instid0(VALU_DEP_4) | instskip(NEXT) | instid1(VALU_DEP_4)
	v_fmaak_f64 v[34:35], v[30:31], v[28:29], 0x406a760a4c54bb0b
	v_fma_f64 v[24:25], v[30:31], v[24:25], 1.0
	s_delay_alu instid0(VALU_DEP_4) | instskip(NEXT) | instid1(VALU_DEP_4)
	v_fma_f64 v[26:27], v[30:31], v[26:27], 1.0
	v_fmaak_f64 v[28:29], v[30:31], v[32:33], 0x4075017f6ae75997
	v_mul_f64_e32 v[32:33], v[14:15], v[14:15]
	v_fmaak_f64 v[30:31], v[30:31], v[34:35], 0x403934ff4d159eb5
	s_delay_alu instid0(VALU_DEP_1) | instskip(SKIP_1) | instid1(VALU_DEP_4)
	v_div_scale_f64 v[36:37], null, v[28:29], v[28:29], v[30:31]
	v_div_scale_f64 v[34:35], null, v[24:25], v[24:25], v[26:27]
	v_fmamk_f64 v[46:47], v[32:33], 0x3de5e0b2f9a43bb8, v[44:45]
	v_fmac_f64_e32 v[44:45], 0x3de5e0b2f9a43bb8, v[38:39]
	v_mul_f64_e64 v[78:79], v[14:15], -v[32:33]
	v_rcp_f64_e32 v[42:43], v[36:37]
	s_delay_alu instid0(VALU_DEP_4) | instskip(NEXT) | instid1(VALU_DEP_2)
	v_rcp_f64_e32 v[40:41], v[34:35]
	v_fmac_f64_e32 v[52:53], v[38:39], v[44:45]
	v_fmamk_f64 v[44:45], v[32:33], 0xbda907db46cc5e42, v[54:55]
	v_fmac_f64_e32 v[54:55], 0xbda907db46cc5e42, v[38:39]
	s_delay_alu instid0(TRANS32_DEP_2) | instskip(NEXT) | instid1(TRANS32_DEP_1)
	v_fma_f64 v[50:51], -v[36:37], v[42:43], 1.0
	v_fma_f64 v[48:49], -v[34:35], v[40:41], 1.0
	s_delay_alu instid0(VALU_DEP_2) | instskip(SKIP_1) | instid1(VALU_DEP_1)
	v_fmac_f64_e32 v[42:43], v[42:43], v[50:51]
	v_cndmask_b32_e64 v50, 0, 0x100, s0
	v_ldexp_f64 v[12:13], v[12:13], v50
	v_mul_f64_e32 v[56:57], 0.5, v[38:39]
	v_mov_b64_e32 v[50:51], 0xbe927e4fa17f65f6
	v_mul_f64_e32 v[68:69], 0.5, v[22:23]
	s_delay_alu instid0(VALU_DEP_2) | instskip(SKIP_2) | instid1(VALU_DEP_1)
	v_fmac_f64_e32 v[50:51], v[38:39], v[54:55]
	v_fmac_f64_e32 v[40:41], v[40:41], v[48:49]
	v_mov_b64_e32 v[48:49], 0xbf2a01a019e83e5c
	v_fmac_f64_e32 v[48:49], v[38:39], v[52:53]
	v_fma_f64 v[58:59], -v[36:37], v[42:43], 1.0
	v_rsq_f64_e32 v[64:65], v[12:13]
	v_add_f64_e64 v[52:53], -v[56:57], 1.0
	v_fmac_f64_e32 v[62:63], v[38:39], v[50:51]
	v_div_scale_f64 v[50:51], vcc_lo, v[26:27], v[24:25], v[26:27]
	v_fma_f64 v[54:55], -v[34:35], v[40:41], 1.0
	v_fmac_f64_e32 v[60:61], v[38:39], v[48:49]
	v_fmac_f64_e32 v[42:43], v[42:43], v[58:59]
	v_mov_b64_e32 v[58:59], 0xbf56c16c16c16967
	v_add_f64_e64 v[48:49], -v[52:53], 1.0
	s_delay_alu instid0(VALU_DEP_2) | instskip(SKIP_3) | instid1(TRANS32_DEP_1)
	v_fmac_f64_e32 v[58:59], v[38:39], v[62:63]
	v_fmac_f64_e32 v[40:41], v[40:41], v[54:55]
	v_div_scale_f64 v[54:55], s1, v[30:31], v[28:29], v[30:31]
	v_fmac_f64_e32 v[68:69], v[70:71], v[60:61]
	v_mul_f64_e32 v[60:61], v[12:13], v[64:65]
	v_add_f64_e64 v[48:49], v[48:49], -v[56:57]
	v_fmac_f64_e32 v[76:77], v[38:39], v[58:59]
	v_mul_f64_e32 v[56:57], v[50:51], v[40:41]
	v_mul_f64_e32 v[62:63], v[54:55], v[42:43]
	v_fma_f64 v[68:69], v[38:39], v[68:69], -v[22:23]
	v_fmaak_f64 v[38:39], v[32:33], v[46:47], 0x3ec71de3796cde01
	s_delay_alu instid0(VALU_DEP_1) | instskip(SKIP_1) | instid1(VALU_DEP_2)
	v_fmaak_f64 v[38:39], v[32:33], v[38:39], 0xbf2a01a019e83e5c
	v_fma_f64 v[22:23], v[18:19], -v[22:23], v[48:49]
	v_fmaak_f64 v[38:39], v[32:33], v[38:39], 0x3f81111111110bb3
	s_delay_alu instid0(VALU_DEP_1) | instskip(SKIP_4) | instid1(VALU_DEP_4)
	v_fmac_f64_e32 v[74:75], v[78:79], v[38:39]
	v_fma_f64 v[34:35], -v[34:35], v[56:57], v[50:51]
	v_fma_f64 v[36:37], -v[36:37], v[62:63], v[54:55]
	v_fmac_f64_e32 v[68:69], 0xbfc5555555555555, v[70:71]
	v_fmac_f64_e32 v[22:23], v[82:83], v[76:77]
	v_div_fmas_f64 v[34:35], v[34:35], v[40:41], v[56:57]
	s_mov_b32 vcc_lo, s1
	v_mul_f64_e32 v[40:41], v[32:33], v[32:33]
	v_div_fmas_f64 v[36:37], v[36:37], v[42:43], v[62:63]
	v_fma_f64 v[42:43], v[32:33], v[74:75], -v[16:17]
	v_add_f64_e64 v[18:19], v[18:19], -v[68:69]
	v_add_f64_e32 v[22:23], v[52:53], v[22:23]
	v_mul_f64_e32 v[66:67], 0.5, v[32:33]
	v_div_fixup_f64 v[24:25], v[34:35], v[24:25], v[26:27]
	v_div_fixup_f64 v[28:29], v[36:37], v[28:29], v[30:31]
	v_fmac_f64_e32 v[42:43], 0xbfc5555555555555, v[78:79]
	v_xor_b32_e32 v19, 0x80000000, v19
	v_add_f64_e64 v[72:73], -v[66:67], 1.0
	s_delay_alu instid0(VALU_DEP_1) | instskip(NEXT) | instid1(VALU_DEP_1)
	v_add_f64_e64 v[80:81], -v[72:73], 1.0
	v_add_f64_e64 v[38:39], v[80:81], -v[66:67]
	s_delay_alu instid0(VALU_DEP_1) | instskip(SKIP_2) | instid1(VALU_DEP_2)
	v_fma_f64 v[16:17], v[14:15], -v[16:17], v[38:39]
	v_fmaak_f64 v[38:39], v[32:33], v[44:45], 0xbe927e4fa17f65f6
	v_add_f64_e64 v[14:15], v[14:15], -v[42:43]
	v_fmaak_f64 v[38:39], v[32:33], v[38:39], 0x3efa01a019f4ec90
	s_delay_alu instid0(VALU_DEP_1) | instskip(NEXT) | instid1(VALU_DEP_1)
	v_fmaak_f64 v[30:31], v[32:33], v[38:39], 0xbf56c16c16c16967
	v_fmaak_f64 v[30:31], v[32:33], v[30:31], 0x3fa5555555555555
	v_dual_lshlrev_b32 v3, 30, v3 :: v_dual_bitop2_b32 v32, 1, v3 bitop3:0x40
	s_delay_alu instid0(VALU_DEP_1) | instskip(NEXT) | instid1(VALU_DEP_3)
	v_cmp_eq_u32_e32 vcc_lo, 0, v32
	v_fmac_f64_e32 v[16:17], v[40:41], v[30:31]
	v_dual_cndmask_b32 v23, v19, v23 :: v_dual_cndmask_b32 v22, v18, v22
	v_cmp_class_f64_e64 vcc_lo, v[10:11], 0x1f8
	v_mul_f64_e32 v[64:65], 0.5, v[64:65]
	v_mul_f64_e32 v[18:19], v[20:21], v[28:29]
	s_delay_alu instid0(VALU_DEP_4) | instskip(NEXT) | instid1(VALU_DEP_4)
	v_bitop3_b32 v3, v23, v3, 0x80000000 bitop3:0x78
	v_dual_add_f64 v[16:17], v[72:73], v[16:17] :: v_dual_cndmask_b32 v22, 0, v22, vcc_lo
	s_delay_alu instid0(VALU_DEP_4) | instskip(NEXT) | instid1(VALU_DEP_3)
	v_fma_f64 v[84:85], -v[64:65], v[60:61], 0.5
	v_cndmask_b32_e32 v23, 0x7ff80000, v3, vcc_lo
	v_dual_lshlrev_b32 v3, 30, v1 :: v_dual_bitop2_b32 v1, 1, v1 bitop3:0x40
	s_delay_alu instid0(VALU_DEP_2) | instskip(NEXT) | instid1(VALU_DEP_2)
	v_mul_f64_e32 v[18:19], v[18:19], v[22:23]
	v_xor_b32_e32 v3, v3, v11
	s_delay_alu instid0(VALU_DEP_3) | instskip(NEXT) | instid1(VALU_DEP_1)
	v_cmp_eq_u32_e64 s1, 0, v1
	v_dual_cndmask_b32 v1, v17, v15, s1 :: v_dual_cndmask_b32 v10, v16, v14, s1
	v_fmac_f64_e32 v[60:61], v[60:61], v[84:85]
	v_fmac_f64_e32 v[64:65], v[64:65], v[84:85]
	s_delay_alu instid0(VALU_DEP_3) | instskip(NEXT) | instid1(VALU_DEP_4)
	v_bitop3_b32 v1, v1, v3, 0x80000000 bitop3:0x78
	v_cndmask_b32_e32 v10, 0, v10, vcc_lo
	s_delay_alu instid0(VALU_DEP_2) | instskip(SKIP_2) | instid1(VALU_DEP_3)
	v_cndmask_b32_e32 v11, 0x7ff80000, v1, vcc_lo
	v_cndmask_b32_e64 v1, 0, 0xffffff80, s0
	v_cmp_class_f64_e64 vcc_lo, v[12:13], 0x260
	v_fmac_f64_e32 v[18:19], v[24:25], v[10:11]
	v_fma_f64 v[44:45], -v[60:61], v[60:61], v[12:13]
	s_delay_alu instid0(VALU_DEP_2) | instskip(NEXT) | instid1(VALU_DEP_2)
	v_mul_f64_e32 v[14:15], 0x3fe9884533d43651, v[18:19]
	v_fmac_f64_e32 v[60:61], v[44:45], v[64:65]
	s_delay_alu instid0(VALU_DEP_1) | instskip(NEXT) | instid1(VALU_DEP_1)
	v_fma_f64 v[20:21], -v[60:61], v[60:61], v[12:13]
	v_fmac_f64_e32 v[60:61], v[20:21], v[64:65]
	s_delay_alu instid0(VALU_DEP_1) | instskip(NEXT) | instid1(VALU_DEP_1)
	v_ldexp_f64 v[10:11], v[60:61], v1
	v_dual_cndmask_b32 v11, v11, v13 :: v_dual_cndmask_b32 v10, v10, v12
	s_delay_alu instid0(VALU_DEP_1) | instskip(NEXT) | instid1(VALU_DEP_1)
	v_div_scale_f64 v[12:13], null, v[10:11], v[10:11], v[14:15]
	v_rcp_f64_e32 v[16:17], v[12:13]
	v_nop
	s_delay_alu instid0(TRANS32_DEP_1) | instskip(NEXT) | instid1(VALU_DEP_1)
	v_fma_f64 v[18:19], -v[12:13], v[16:17], 1.0
	v_fmac_f64_e32 v[16:17], v[16:17], v[18:19]
	s_delay_alu instid0(VALU_DEP_1) | instskip(NEXT) | instid1(VALU_DEP_1)
	v_fma_f64 v[18:19], -v[12:13], v[16:17], 1.0
	v_fmac_f64_e32 v[16:17], v[16:17], v[18:19]
	v_div_scale_f64 v[18:19], vcc_lo, v[14:15], v[10:11], v[14:15]
	s_delay_alu instid0(VALU_DEP_1) | instskip(NEXT) | instid1(VALU_DEP_1)
	v_mul_f64_e32 v[20:21], v[18:19], v[16:17]
	v_fma_f64 v[12:13], -v[12:13], v[20:21], v[18:19]
	s_delay_alu instid0(VALU_DEP_1) | instskip(NEXT) | instid1(VALU_DEP_1)
	v_div_fmas_f64 v[12:13], v[12:13], v[16:17], v[20:21]
	v_div_fixup_f64 v[10:11], v[12:13], v[10:11], v[14:15]
.LBB7_104:
	s_or_b32 exec_lo, exec_lo, s2
	global_load_b64 v[14:15], v5, s[6:7]
                                        ; implicit-def: $vgpr12_vgpr13
	s_mov_b32 s0, exec_lo
	s_wait_loadcnt 0x0
	v_cmpx_ge_f64_e32 0x40140000, v[14:15]
	s_xor_b32 s1, exec_lo, s0
	s_cbranch_execz .LBB7_110
; %bb.105:
	v_mov_b64_e32 v[12:13], 0xfff0000000000000
	s_mov_b32 s2, exec_lo
	v_cmpx_neq_f64_e32 0, v[14:15]
	s_cbranch_execz .LBB7_109
; %bb.106:
	v_mov_b64_e32 v[12:13], 0x7ff8000000000000
	s_mov_b32 s3, exec_lo
	v_cmpx_nge_f64_e32 0, v[14:15]
	s_cbranch_execz .LBB7_108
; %bb.107:
	v_frexp_mant_f64_e32 v[12:13], v[14:15]
	s_mov_b64 s[8:9], 0x3fe5555555555555
	s_delay_alu instid0(VALU_DEP_1) | instid1(SALU_CYCLE_1)
	v_cmp_gt_f64_e32 vcc_lo, s[8:9], v[12:13]
	s_mov_b64 s[8:9], 0x3fc3ab76bf559e2b
	v_cndmask_b32_e64 v1, 0, 1, vcc_lo
	s_delay_alu instid0(VALU_DEP_1) | instskip(SKIP_1) | instid1(VALU_DEP_2)
	v_ldexp_f64 v[12:13], v[12:13], v1
	v_frexp_exp_i32_f64_e32 v1, v[14:15]
	v_add_f64_e32 v[16:17], 1.0, v[12:13]
	v_add_f64_e32 v[22:23], -1.0, v[12:13]
	s_delay_alu instid0(VALU_DEP_3) | instskip(NEXT) | instid1(VALU_DEP_3)
	v_subrev_co_ci_u32_e64 v1, null, 0, v1, vcc_lo
	v_rcp_f64_e32 v[18:19], v[16:17]
	v_add_f64_e32 v[24:25], -1.0, v[16:17]
	s_delay_alu instid0(VALU_DEP_1) | instskip(NEXT) | instid1(TRANS32_DEP_1)
	v_add_f64_e64 v[12:13], v[12:13], -v[24:25]
	v_fma_f64 v[20:21], -v[16:17], v[18:19], 1.0
	s_delay_alu instid0(VALU_DEP_1) | instskip(NEXT) | instid1(VALU_DEP_1)
	v_fmac_f64_e32 v[18:19], v[20:21], v[18:19]
	v_fma_f64 v[20:21], -v[16:17], v[18:19], 1.0
	s_delay_alu instid0(VALU_DEP_1) | instskip(NEXT) | instid1(VALU_DEP_1)
	v_fmac_f64_e32 v[18:19], v[20:21], v[18:19]
	v_mul_f64_e32 v[20:21], v[22:23], v[18:19]
	s_delay_alu instid0(VALU_DEP_1) | instskip(NEXT) | instid1(VALU_DEP_1)
	v_mul_f64_e32 v[26:27], v[16:17], v[20:21]
	v_fma_f64 v[16:17], v[20:21], v[16:17], -v[26:27]
	s_delay_alu instid0(VALU_DEP_1) | instskip(NEXT) | instid1(VALU_DEP_1)
	v_fmac_f64_e32 v[16:17], v[20:21], v[12:13]
	v_add_f64_e32 v[12:13], v[26:27], v[16:17]
	s_delay_alu instid0(VALU_DEP_1) | instskip(SKIP_1) | instid1(VALU_DEP_2)
	v_add_f64_e64 v[24:25], v[22:23], -v[12:13]
	v_add_f64_e64 v[26:27], v[12:13], -v[26:27]
	;; [unrolled: 1-line block ×3, first 2 shown]
	s_delay_alu instid0(VALU_DEP_2) | instskip(SKIP_1) | instid1(VALU_DEP_3)
	v_add_f64_e64 v[16:17], v[26:27], -v[16:17]
	v_cvt_f64_i32_e32 v[26:27], v1
	v_add_f64_e64 v[12:13], v[22:23], -v[12:13]
	s_delay_alu instid0(VALU_DEP_2) | instskip(NEXT) | instid1(VALU_DEP_2)
	v_mul_f64_e32 v[32:33], 0x3fe62e42fefa39ef, v[26:27]
	v_add_f64_e32 v[12:13], v[16:17], v[12:13]
	s_delay_alu instid0(VALU_DEP_1) | instskip(NEXT) | instid1(VALU_DEP_1)
	v_add_f64_e32 v[12:13], v[24:25], v[12:13]
	v_mul_f64_e32 v[12:13], v[18:19], v[12:13]
	s_delay_alu instid0(VALU_DEP_1) | instskip(NEXT) | instid1(VALU_DEP_1)
	v_add_f64_e32 v[16:17], v[20:21], v[12:13]
	v_mul_f64_e32 v[18:19], v[16:17], v[16:17]
	s_delay_alu instid0(VALU_DEP_1) | instskip(SKIP_2) | instid1(SALU_CYCLE_1)
	v_fmaak_f64 v[22:23], s[8:9], v[18:19], 0x3fc385386b47b09a
	v_mul_f64_e32 v[24:25], v[16:17], v[18:19]
	s_mov_b64 s[8:9], 0x3fe62e42fefa39ef
	v_fma_f64 v[36:37], v[26:27], s[8:9], -v[32:33]
	s_delay_alu instid0(VALU_DEP_3) | instskip(NEXT) | instid1(VALU_DEP_1)
	v_fmaak_f64 v[22:23], v[18:19], v[22:23], 0x3fc7474dd7f4df2e
	v_fmaak_f64 v[22:23], v[18:19], v[22:23], 0x3fcc71c016291751
	s_delay_alu instid0(VALU_DEP_1) | instskip(NEXT) | instid1(VALU_DEP_1)
	v_fmaak_f64 v[22:23], v[18:19], v[22:23], 0x3fd249249b27acf1
	v_fmaak_f64 v[22:23], v[18:19], v[22:23], 0x3fd99999998ef7b6
	s_delay_alu instid0(VALU_DEP_1) | instskip(SKIP_3) | instid1(VALU_DEP_4)
	v_fmaak_f64 v[18:19], v[18:19], v[22:23], 0x3fe5555555555780
	v_ldexp_f64 v[22:23], v[16:17], 1
	v_add_f64_e64 v[16:17], v[16:17], -v[20:21]
	v_fmamk_f64 v[26:27], v[26:27], 0x3c7abc9e3b39803f, v[36:37]
	v_mul_f64_e32 v[18:19], v[24:25], v[18:19]
	v_mul_f64_e32 v[24:25], v[14:15], v[14:15]
	s_delay_alu instid0(VALU_DEP_3) | instskip(SKIP_1) | instid1(VALU_DEP_4)
	v_add_f64_e32 v[36:37], v[32:33], v[26:27]
	v_add_f64_e64 v[12:13], v[12:13], -v[16:17]
	v_add_f64_e32 v[20:21], v[22:23], v[18:19]
	s_delay_alu instid0(VALU_DEP_4)
	v_fmaak_f64 v[28:29], 0, v[24:25], 0x40829269a93f7ac2
	v_fmaak_f64 v[30:31], 0, v[24:25], 0x408366b11b7086e7
	;; [unrolled: 1-line block ×3, first 2 shown]
	v_add_f64_e64 v[32:33], v[36:37], -v[32:33]
	v_ldexp_f64 v[12:13], v[12:13], 1
	v_add_f64_e64 v[16:17], v[20:21], -v[22:23]
	v_fmaak_f64 v[22:23], v[24:25], v[28:29], 0x410cc160be58ef7f
	v_fmaak_f64 v[28:29], v[24:25], v[30:31], 0x410f5eda0dd701b2
	v_fmaak_f64 v[30:31], 0, v[24:25], 0x41d2d2be62f9b6c5
	v_add_f64_e64 v[26:27], v[26:27], -v[32:33]
	s_delay_alu instid0(VALU_DEP_4) | instskip(NEXT) | instid1(VALU_DEP_4)
	v_fmaak_f64 v[22:23], v[24:25], v[22:23], 0x419184efa9c8acee
	v_fmaak_f64 v[28:29], v[24:25], v[28:29], 0x4193e954dc92a1b1
	s_delay_alu instid0(VALU_DEP_4) | instskip(NEXT) | instid1(VALU_DEP_3)
	v_fmaak_f64 v[30:31], v[24:25], v[30:31], 0xc262d72d58836521
	v_fmaak_f64 v[22:23], v[24:25], v[22:23], 0x421178c3906b7b83
	s_delay_alu instid0(VALU_DEP_3) | instskip(NEXT) | instid1(VALU_DEP_3)
	v_fmaak_f64 v[28:29], v[24:25], v[28:29], 0x4214a13f7befeac1
	v_fmaak_f64 v[30:31], v[24:25], v[30:31], 0x42da0954b0910fef
	s_delay_alu instid0(VALU_DEP_3) | instskip(NEXT) | instid1(VALU_DEP_3)
	;; [unrolled: 3-line block ×4, first 2 shown]
	v_fmaak_f64 v[28:29], v[24:25], v[28:29], 0x43064b0a3eccf45f
	v_fmaak_f64 v[30:31], v[24:25], v[30:31], 0x438679ad0b7366b1
	v_add_f64_e64 v[16:17], v[18:19], -v[16:17]
	v_fmaak_f64 v[18:19], v[24:25], v[34:35], 0x425a52ba0d438c6b
	v_fmaak_f64 v[22:23], v[24:25], v[22:23], 0x436e83e3c547a488
	;; [unrolled: 1-line block ×4, first 2 shown]
	s_delay_alu instid0(VALU_DEP_4) | instskip(NEXT) | instid1(VALU_DEP_4)
	v_fmaak_f64 v[18:19], v[24:25], v[18:19], 0xc2d08a92e6ccf175
	v_fmaak_f64 v[22:23], v[24:25], v[22:23], 0x43cb90f190f6747f
	s_delay_alu instid0(VALU_DEP_2) | instskip(SKIP_1) | instid1(VALU_DEP_3)
	v_fmaak_f64 v[18:19], v[24:25], v[18:19], 0x432a2b42a697c482
	v_fmaak_f64 v[24:25], v[24:25], v[28:29], 0x43d2779576702939
	v_div_scale_f64 v[28:29], null, v[22:23], v[22:23], v[30:31]
	v_div_scale_f64 v[56:57], vcc_lo, v[30:31], v[22:23], v[30:31]
	s_delay_alu instid0(VALU_DEP_3) | instskip(SKIP_1) | instid1(VALU_DEP_4)
	v_div_scale_f64 v[34:35], null, v[24:25], v[24:25], v[18:19]
	v_add_f64_e32 v[12:13], v[12:13], v[16:17]
	v_rcp_f64_e32 v[16:17], v[28:29]
	s_delay_alu instid0(VALU_DEP_2) | instskip(NEXT) | instid1(VALU_DEP_1)
	v_rcp_f64_e32 v[38:39], v[34:35]
	v_add_f64_e32 v[40:41], v[20:21], v[12:13]
	s_delay_alu instid0(TRANS32_DEP_2) | instskip(NEXT) | instid1(TRANS32_DEP_1)
	v_fma_f64 v[42:43], -v[28:29], v[16:17], 1.0
	v_fma_f64 v[44:45], -v[34:35], v[38:39], 1.0
	s_delay_alu instid0(VALU_DEP_3) | instskip(SKIP_1) | instid1(VALU_DEP_4)
	v_add_f64_e32 v[46:47], v[36:37], v[40:41]
	v_add_f64_e64 v[20:21], v[40:41], -v[20:21]
	v_fmac_f64_e32 v[16:17], v[16:17], v[42:43]
	v_div_scale_f64 v[42:43], null, v[14:15], v[14:15], -1.0
	v_fmac_f64_e32 v[38:39], v[38:39], v[44:45]
	v_add_f64_e64 v[44:45], v[46:47], -v[36:37]
	v_add_f64_e64 v[12:13], v[12:13], -v[20:21]
	v_fma_f64 v[48:49], -v[28:29], v[16:17], 1.0
	v_rcp_f64_e32 v[50:51], v[42:43]
	s_delay_alu instid0(VALU_DEP_4) | instskip(NEXT) | instid1(VALU_DEP_4)
	v_fma_f64 v[52:53], -v[34:35], v[38:39], 1.0
	v_add_f64_e64 v[54:55], v[46:47], -v[44:45]
	v_add_f64_e64 v[20:21], v[40:41], -v[44:45]
	s_delay_alu instid0(VALU_DEP_4) | instskip(SKIP_4) | instid1(TRANS32_DEP_1)
	v_fmac_f64_e32 v[16:17], v[16:17], v[48:49]
	v_div_scale_f64 v[48:49], s0, v[18:19], v[24:25], v[18:19]
	v_fmac_f64_e32 v[38:39], v[38:39], v[52:53]
	v_add_f64_e32 v[52:53], v[26:27], v[12:13]
	v_add_f64_e64 v[32:33], v[36:37], -v[54:55]
	v_fma_f64 v[36:37], -v[42:43], v[50:51], 1.0
	v_mul_f64_e32 v[40:41], v[56:57], v[16:17]
	v_mul_f64_e32 v[44:45], v[48:49], v[38:39]
	s_delay_alu instid0(VALU_DEP_4) | instskip(NEXT) | instid1(VALU_DEP_4)
	v_add_f64_e32 v[20:21], v[20:21], v[32:33]
	v_fmac_f64_e32 v[50:51], v[50:51], v[36:37]
	s_delay_alu instid0(VALU_DEP_4) | instskip(NEXT) | instid1(VALU_DEP_4)
	v_fma_f64 v[28:29], -v[28:29], v[40:41], v[56:57]
	v_fma_f64 v[32:33], -v[34:35], v[44:45], v[48:49]
	v_add_f64_e64 v[34:35], v[52:53], -v[26:27]
	v_add_f64_e32 v[20:21], v[52:53], v[20:21]
	v_fma_f64 v[36:37], -v[42:43], v[50:51], 1.0
	v_div_fmas_f64 v[16:17], v[28:29], v[16:17], v[40:41]
	s_mov_b32 vcc_lo, s0
	v_div_fmas_f64 v[28:29], v[32:33], v[38:39], v[44:45]
	v_add_f64_e64 v[32:33], v[52:53], -v[34:35]
	v_div_scale_f64 v[40:41], vcc_lo, -1.0, v[14:15], -1.0
	v_add_f64_e32 v[38:39], v[46:47], v[20:21]
	v_fmac_f64_e32 v[50:51], v[50:51], v[36:37]
	v_add_f64_e64 v[12:13], v[12:13], -v[34:35]
	v_div_fixup_f64 v[16:17], v[16:17], v[22:23], v[30:31]
	v_div_fixup_f64 v[18:19], v[28:29], v[24:25], v[18:19]
	v_add_f64_e64 v[24:25], v[26:27], -v[32:33]
	v_add_f64_e64 v[26:27], v[38:39], -v[46:47]
	v_mul_f64_e32 v[28:29], v[40:41], v[50:51]
	s_delay_alu instid0(VALU_DEP_4) | instskip(NEXT) | instid1(VALU_DEP_4)
	v_mul_f64_e32 v[18:19], v[14:15], v[18:19]
	v_add_f64_e32 v[12:13], v[12:13], v[24:25]
	s_delay_alu instid0(VALU_DEP_4) | instskip(NEXT) | instid1(VALU_DEP_4)
	v_add_f64_e64 v[20:21], v[20:21], -v[26:27]
	v_fma_f64 v[24:25], -v[42:43], v[28:29], v[40:41]
	v_fmaak_f64 v[26:27], v[14:15], v[14:15], 0xc02d5d2b4189822c
	s_delay_alu instid0(VALU_DEP_1) | instskip(NEXT) | instid1(VALU_DEP_4)
	v_mul_f64_e32 v[18:19], v[26:27], v[18:19]
	v_add_f64_e32 v[12:13], v[12:13], v[20:21]
	s_delay_alu instid0(VALU_DEP_4) | instskip(SKIP_1) | instid1(VALU_DEP_1)
	v_div_fmas_f64 v[20:21], v[24:25], v[50:51], v[28:29]
	v_fmaak_f64 v[24:25], v[14:15], v[14:15], 0xc0489bf66072a432
	v_mul_f64_e32 v[18:19], v[24:25], v[18:19]
	s_delay_alu instid0(VALU_DEP_4) | instskip(NEXT) | instid1(VALU_DEP_4)
	v_add_f64_e32 v[12:13], v[38:39], v[12:13]
	v_div_fixup_f64 v[20:21], v[20:21], v[14:15], -1.0
	s_delay_alu instid0(VALU_DEP_1) | instskip(NEXT) | instid1(VALU_DEP_1)
	v_fmac_f64_e32 v[20:21], v[18:19], v[12:13]
	v_mul_f64_e32 v[12:13], 0x3fe45f306dc9c883, v[20:21]
	s_delay_alu instid0(VALU_DEP_1)
	v_fmac_f64_e32 v[12:13], v[14:15], v[16:17]
.LBB7_108:
	s_or_b32 exec_lo, exec_lo, s3
.LBB7_109:
	s_delay_alu instid0(SALU_CYCLE_1)
	s_or_b32 exec_lo, exec_lo, s2
                                        ; implicit-def: $vgpr14_vgpr15
.LBB7_110:
	s_and_not1_saveexec_b32 s2, s1
	s_cbranch_execz .LBB7_120
; %bb.111:
	v_add_f64_e32 v[12:13], 0xc002d97c7f3321d2, v[14:15]
                                        ; implicit-def: $vgpr1
                                        ; implicit-def: $vgpr16_vgpr17
                                        ; implicit-def: $vgpr18_vgpr19
	s_delay_alu instid0(VALU_DEP_1)
	v_cmp_ngt_f64_e64 s0, 0x41d00000, |v[12:13]|
	v_trig_preop_f64 v[28:29], |v[12:13]|, 0
	v_trig_preop_f64 v[26:27], |v[12:13]|, 1
	v_ldexp_f64 v[30:31], |v[12:13]|, 0xffffff80
	v_trig_preop_f64 v[22:23], |v[12:13]|, 2
	v_and_b32_e32 v5, 0x7fffffff, v13
	s_and_saveexec_b32 s1, s0
	s_delay_alu instid0(SALU_CYCLE_1)
	s_xor_b32 s1, exec_lo, s1
	s_cbranch_execz .LBB7_113
; %bb.112:
	v_cmp_le_f64_e64 vcc_lo, 0x7b000000, |v[12:13]|
	s_mov_b64 s[8:9], 0x3ff921fb54442d18
	v_dual_mov_b32 v44, 0 :: v_dual_cndmask_b32 v17, v5, v31
	v_cndmask_b32_e32 v16, v12, v30, vcc_lo
	s_delay_alu instid0(VALU_DEP_1) | instskip(SKIP_2) | instid1(VALU_DEP_3)
	v_mul_f64_e32 v[18:19], v[28:29], v[16:17]
	v_mul_f64_e32 v[20:21], v[26:27], v[16:17]
	;; [unrolled: 1-line block ×3, first 2 shown]
	v_fma_f64 v[24:25], v[28:29], v[16:17], -v[18:19]
	s_delay_alu instid0(VALU_DEP_3) | instskip(NEXT) | instid1(VALU_DEP_3)
	v_fma_f64 v[42:43], v[26:27], v[16:17], -v[20:21]
	v_fma_f64 v[16:17], v[22:23], v[16:17], -v[40:41]
	s_delay_alu instid0(VALU_DEP_3) | instskip(NEXT) | instid1(VALU_DEP_1)
	v_add_f64_e32 v[32:33], v[20:21], v[24:25]
	v_add_f64_e64 v[34:35], v[32:33], -v[20:21]
	v_add_f64_e32 v[38:39], v[18:19], v[32:33]
	s_delay_alu instid0(VALU_DEP_2) | instskip(SKIP_1) | instid1(VALU_DEP_3)
	v_add_f64_e64 v[36:37], v[32:33], -v[34:35]
	v_add_f64_e64 v[24:25], v[24:25], -v[34:35]
	v_ldexp_f64 v[34:35], v[38:39], -2
	v_add_f64_e64 v[18:19], v[38:39], -v[18:19]
	s_delay_alu instid0(VALU_DEP_4) | instskip(NEXT) | instid1(VALU_DEP_3)
	v_add_f64_e64 v[20:21], v[20:21], -v[36:37]
	v_cmp_neq_f64_e64 vcc_lo, 0x7ff00000, |v[34:35]|
	s_delay_alu instid0(VALU_DEP_3) | instskip(NEXT) | instid1(VALU_DEP_3)
	v_add_f64_e64 v[18:19], v[32:33], -v[18:19]
	v_add_f64_e32 v[20:21], v[24:25], v[20:21]
	v_fract_f64_e32 v[24:25], v[34:35]
	s_delay_alu instid0(VALU_DEP_1) | instskip(NEXT) | instid1(VALU_DEP_1)
	v_ldexp_f64 v[24:25], v[24:25], 2
	v_dual_add_f64 v[36:37], v[40:41], v[42:43] :: v_dual_cndmask_b32 v24, 0, v24, vcc_lo
	s_delay_alu instid0(VALU_DEP_1) | instskip(NEXT) | instid1(VALU_DEP_3)
	v_add_f64_e32 v[32:33], v[36:37], v[20:21]
	v_cndmask_b32_e32 v25, 0, v25, vcc_lo
	s_delay_alu instid0(VALU_DEP_2) | instskip(SKIP_1) | instid1(VALU_DEP_2)
	v_add_f64_e32 v[34:35], v[18:19], v[32:33]
	v_add_f64_e64 v[46:47], v[32:33], -v[36:37]
	v_add_f64_e32 v[38:39], v[34:35], v[24:25]
	s_delay_alu instid0(VALU_DEP_2) | instskip(SKIP_2) | instid1(VALU_DEP_4)
	v_add_f64_e64 v[52:53], v[32:33], -v[46:47]
	v_add_f64_e64 v[20:21], v[20:21], -v[46:47]
	;; [unrolled: 1-line block ×3, first 2 shown]
	v_cmp_gt_f64_e32 vcc_lo, 0, v[38:39]
	v_add_f64_e64 v[38:39], v[36:37], -v[40:41]
	s_delay_alu instid0(VALU_DEP_3) | instskip(SKIP_1) | instid1(VALU_DEP_3)
	v_add_f64_e64 v[18:19], v[32:33], -v[18:19]
	v_cndmask_b32_e64 v45, 0, 0x40100000, vcc_lo
	v_add_f64_e64 v[50:51], v[36:37], -v[38:39]
	v_add_f64_e64 v[38:39], v[42:43], -v[38:39]
	;; [unrolled: 1-line block ×3, first 2 shown]
	s_delay_alu instid0(VALU_DEP_4) | instskip(NEXT) | instid1(VALU_DEP_4)
	v_add_f64_e32 v[24:25], v[24:25], v[44:45]
	v_add_f64_e64 v[42:43], v[40:41], -v[50:51]
	s_delay_alu instid0(VALU_DEP_3) | instskip(NEXT) | instid1(VALU_DEP_3)
	v_add_f64_e32 v[20:21], v[20:21], v[36:37]
	v_add_f64_e32 v[48:49], v[34:35], v[24:25]
	s_delay_alu instid0(VALU_DEP_3) | instskip(NEXT) | instid1(VALU_DEP_2)
	v_add_f64_e32 v[38:39], v[38:39], v[42:43]
	v_cvt_i32_f64_e32 v1, v[48:49]
	s_delay_alu instid0(VALU_DEP_2) | instskip(NEXT) | instid1(VALU_DEP_2)
	v_add_f64_e32 v[20:21], v[38:39], v[20:21]
	v_cvt_f64_i32_e32 v[46:47], v1
	s_delay_alu instid0(VALU_DEP_2) | instskip(NEXT) | instid1(VALU_DEP_2)
	v_add_f64_e32 v[16:17], v[16:17], v[20:21]
	v_add_f64_e64 v[24:25], v[24:25], -v[46:47]
	s_delay_alu instid0(VALU_DEP_2) | instskip(NEXT) | instid1(VALU_DEP_2)
	v_add_f64_e32 v[16:17], v[18:19], v[16:17]
	v_add_f64_e32 v[36:37], v[34:35], v[24:25]
	s_delay_alu instid0(VALU_DEP_1) | instskip(SKIP_1) | instid1(VALU_DEP_2)
	v_add_f64_e64 v[20:21], v[36:37], -v[24:25]
	v_cmp_le_f64_e32 vcc_lo, 0.5, v[36:37]
	v_add_f64_e64 v[18:19], v[34:35], -v[20:21]
	v_cndmask_b32_e64 v45, 0, 0x3ff00000, vcc_lo
	v_add_co_ci_u32_e64 v1, null, 0, v1, vcc_lo
	s_delay_alu instid0(VALU_DEP_3) | instskip(NEXT) | instid1(VALU_DEP_3)
	v_add_f64_e32 v[16:17], v[16:17], v[18:19]
	v_add_f64_e64 v[18:19], v[36:37], -v[44:45]
	s_delay_alu instid0(VALU_DEP_1) | instskip(NEXT) | instid1(VALU_DEP_1)
	v_add_f64_e32 v[20:21], v[18:19], v[16:17]
	v_mul_f64_e32 v[24:25], 0x3ff921fb54442d18, v[20:21]
	v_add_f64_e64 v[18:19], v[20:21], -v[18:19]
	s_delay_alu instid0(VALU_DEP_2) | instskip(NEXT) | instid1(VALU_DEP_2)
	v_fma_f64 v[32:33], v[20:21], s[8:9], -v[24:25]
	v_add_f64_e64 v[16:17], v[16:17], -v[18:19]
	s_delay_alu instid0(VALU_DEP_2) | instskip(NEXT) | instid1(VALU_DEP_1)
	v_fmamk_f64 v[18:19], v[20:21], 0x3c91a62633145c07, v[32:33]
	v_fmac_f64_e32 v[18:19], 0x3ff921fb54442d18, v[16:17]
	s_delay_alu instid0(VALU_DEP_1) | instskip(NEXT) | instid1(VALU_DEP_1)
	v_add_f64_e32 v[16:17], v[24:25], v[18:19]
	v_add_f64_e64 v[20:21], v[16:17], -v[24:25]
	s_delay_alu instid0(VALU_DEP_1)
	v_add_f64_e64 v[18:19], v[18:19], -v[20:21]
	s_and_not1_saveexec_b32 s1, s1
	s_cbranch_execz .LBB7_115
	s_branch .LBB7_114
.LBB7_113:
	s_and_not1_saveexec_b32 s1, s1
	s_cbranch_execz .LBB7_115
.LBB7_114:
	s_mov_b64 s[8:9], 0x3fe45f306dc9c883
	s_delay_alu instid0(SALU_CYCLE_1) | instskip(SKIP_1) | instid1(VALU_DEP_1)
	v_mul_f64_e64 v[16:17], |v[12:13]|, s[8:9]
	s_mov_b64 s[8:9], 0xbff921fb54442d18
	v_rndne_f64_e32 v[20:21], v[16:17]
	s_delay_alu instid0(VALU_DEP_1) | instskip(SKIP_2) | instid1(VALU_DEP_3)
	v_fma_f64 v[16:17], v[20:21], s[8:9], |v[12:13]|
	v_mul_f64_e32 v[18:19], 0xbc91a62633145c00, v[20:21]
	v_cvt_i32_f64_e32 v1, v[20:21]
	v_fmamk_f64 v[34:35], v[20:21], 0xbc91a62633145c00, v[16:17]
	s_delay_alu instid0(VALU_DEP_3) | instskip(NEXT) | instid1(VALU_DEP_1)
	v_add_f64_e32 v[24:25], v[16:17], v[18:19]
	v_add_f64_e64 v[32:33], v[16:17], -v[24:25]
	s_delay_alu instid0(VALU_DEP_3) | instskip(NEXT) | instid1(VALU_DEP_2)
	v_add_f64_e64 v[16:17], v[24:25], -v[34:35]
	v_add_f64_e32 v[24:25], v[32:33], v[18:19]
	v_fmamk_f64 v[18:19], v[20:21], 0x3c91a62633145c00, v[18:19]
	s_delay_alu instid0(VALU_DEP_2) | instskip(NEXT) | instid1(VALU_DEP_1)
	v_add_f64_e32 v[16:17], v[16:17], v[24:25]
	v_add_f64_e64 v[16:17], v[16:17], -v[18:19]
	s_delay_alu instid0(VALU_DEP_1) | instskip(NEXT) | instid1(VALU_DEP_1)
	v_fmamk_f64 v[18:19], v[20:21], 0xb97b839a252049c0, v[16:17]
	v_add_f64_e32 v[16:17], v[34:35], v[18:19]
	s_delay_alu instid0(VALU_DEP_1) | instskip(NEXT) | instid1(VALU_DEP_1)
	v_add_f64_e64 v[24:25], v[16:17], -v[34:35]
	v_add_f64_e64 v[18:19], v[18:19], -v[24:25]
.LBB7_115:
	s_or_b32 exec_lo, exec_lo, s1
                                        ; implicit-def: $vgpr3
                                        ; implicit-def: $vgpr20_vgpr21
                                        ; implicit-def: $vgpr24_vgpr25
	s_and_saveexec_b32 s1, s0
	s_delay_alu instid0(SALU_CYCLE_1)
	s_xor_b32 s0, exec_lo, s1
	s_cbranch_execz .LBB7_117
; %bb.116:
	v_cmp_le_f64_e64 vcc_lo, 0x7b000000, |v[12:13]|
	s_mov_b64 s[8:9], 0x3ff921fb54442d18
	v_dual_mov_b32 v42, 0 :: v_dual_cndmask_b32 v21, v5, v31
	v_cndmask_b32_e32 v20, v12, v30, vcc_lo
	s_delay_alu instid0(VALU_DEP_1) | instskip(SKIP_2) | instid1(VALU_DEP_3)
	v_mul_f64_e32 v[24:25], v[28:29], v[20:21]
	v_mul_f64_e32 v[30:31], v[26:27], v[20:21]
	;; [unrolled: 1-line block ×3, first 2 shown]
	v_fma_f64 v[28:29], v[28:29], v[20:21], -v[24:25]
	s_delay_alu instid0(VALU_DEP_3) | instskip(NEXT) | instid1(VALU_DEP_3)
	v_fma_f64 v[26:27], v[26:27], v[20:21], -v[30:31]
	v_fma_f64 v[20:21], v[22:23], v[20:21], -v[40:41]
	s_delay_alu instid0(VALU_DEP_3) | instskip(NEXT) | instid1(VALU_DEP_1)
	v_add_f64_e32 v[32:33], v[30:31], v[28:29]
	v_add_f64_e64 v[34:35], v[32:33], -v[30:31]
	v_add_f64_e32 v[38:39], v[24:25], v[32:33]
	s_delay_alu instid0(VALU_DEP_2) | instskip(SKIP_1) | instid1(VALU_DEP_3)
	v_add_f64_e64 v[36:37], v[32:33], -v[34:35]
	v_add_f64_e64 v[28:29], v[28:29], -v[34:35]
	v_ldexp_f64 v[34:35], v[38:39], -2
	s_delay_alu instid0(VALU_DEP_3) | instskip(SKIP_1) | instid1(VALU_DEP_3)
	v_add_f64_e64 v[30:31], v[30:31], -v[36:37]
	v_add_f64_e32 v[36:37], v[40:41], v[26:27]
	v_cmp_neq_f64_e64 vcc_lo, 0x7ff00000, |v[34:35]|
	s_delay_alu instid0(VALU_DEP_3) | instskip(SKIP_1) | instid1(VALU_DEP_1)
	v_add_f64_e32 v[28:29], v[28:29], v[30:31]
	v_fract_f64_e32 v[30:31], v[34:35]
	v_ldexp_f64 v[30:31], v[30:31], 2
	s_delay_alu instid0(VALU_DEP_1) | instskip(NEXT) | instid1(VALU_DEP_1)
	v_dual_add_f64 v[24:25], v[38:39], -v[24:25] :: v_dual_cndmask_b32 v31, 0, v31, vcc_lo
	v_dual_add_f64 v[24:25], v[32:33], -v[24:25] :: v_dual_cndmask_b32 v30, 0, v30, vcc_lo
	v_add_f64_e32 v[32:33], v[36:37], v[28:29]
	s_delay_alu instid0(VALU_DEP_1) | instskip(SKIP_1) | instid1(VALU_DEP_2)
	v_add_f64_e32 v[34:35], v[24:25], v[32:33]
	v_add_f64_e64 v[44:45], v[32:33], -v[36:37]
	v_add_f64_e32 v[38:39], v[34:35], v[30:31]
	s_delay_alu instid0(VALU_DEP_2) | instskip(SKIP_2) | instid1(VALU_DEP_4)
	v_add_f64_e64 v[50:51], v[32:33], -v[44:45]
	v_add_f64_e64 v[28:29], v[28:29], -v[44:45]
	;; [unrolled: 1-line block ×3, first 2 shown]
	v_cmp_gt_f64_e32 vcc_lo, 0, v[38:39]
	v_add_f64_e64 v[38:39], v[36:37], -v[40:41]
	s_delay_alu instid0(VALU_DEP_3) | instskip(SKIP_1) | instid1(VALU_DEP_3)
	v_add_f64_e64 v[22:23], v[32:33], -v[22:23]
	v_cndmask_b32_e64 v43, 0, 0x40100000, vcc_lo
	v_add_f64_e64 v[48:49], v[36:37], -v[38:39]
	v_add_f64_e64 v[26:27], v[26:27], -v[38:39]
	;; [unrolled: 1-line block ×3, first 2 shown]
	s_delay_alu instid0(VALU_DEP_4) | instskip(NEXT) | instid1(VALU_DEP_4)
	v_add_f64_e32 v[30:31], v[30:31], v[42:43]
	v_add_f64_e64 v[38:39], v[40:41], -v[48:49]
	s_delay_alu instid0(VALU_DEP_3) | instskip(NEXT) | instid1(VALU_DEP_3)
	v_add_f64_e32 v[28:29], v[28:29], v[36:37]
	v_add_f64_e32 v[46:47], v[34:35], v[30:31]
	s_delay_alu instid0(VALU_DEP_3) | instskip(NEXT) | instid1(VALU_DEP_2)
	v_add_f64_e32 v[26:27], v[26:27], v[38:39]
	v_cvt_i32_f64_e32 v3, v[46:47]
	s_delay_alu instid0(VALU_DEP_2) | instskip(NEXT) | instid1(VALU_DEP_2)
	v_add_f64_e32 v[24:25], v[26:27], v[28:29]
	v_cvt_f64_i32_e32 v[44:45], v3
	s_delay_alu instid0(VALU_DEP_2) | instskip(NEXT) | instid1(VALU_DEP_2)
	v_add_f64_e32 v[20:21], v[20:21], v[24:25]
	v_add_f64_e64 v[30:31], v[30:31], -v[44:45]
	s_delay_alu instid0(VALU_DEP_2) | instskip(NEXT) | instid1(VALU_DEP_2)
	v_add_f64_e32 v[20:21], v[22:23], v[20:21]
	v_add_f64_e32 v[26:27], v[34:35], v[30:31]
	s_delay_alu instid0(VALU_DEP_1) | instskip(SKIP_1) | instid1(VALU_DEP_2)
	v_add_f64_e64 v[24:25], v[26:27], -v[30:31]
	v_cmp_le_f64_e32 vcc_lo, 0.5, v[26:27]
	v_add_f64_e64 v[22:23], v[34:35], -v[24:25]
	v_cndmask_b32_e64 v43, 0, 0x3ff00000, vcc_lo
	v_add_co_ci_u32_e64 v3, null, 0, v3, vcc_lo
	s_delay_alu instid0(VALU_DEP_3) | instskip(NEXT) | instid1(VALU_DEP_3)
	v_add_f64_e32 v[20:21], v[20:21], v[22:23]
	v_add_f64_e64 v[22:23], v[26:27], -v[42:43]
	s_delay_alu instid0(VALU_DEP_1) | instskip(NEXT) | instid1(VALU_DEP_1)
	v_add_f64_e32 v[24:25], v[22:23], v[20:21]
	v_mul_f64_e32 v[26:27], 0x3ff921fb54442d18, v[24:25]
	v_add_f64_e64 v[22:23], v[24:25], -v[22:23]
	s_delay_alu instid0(VALU_DEP_2) | instskip(NEXT) | instid1(VALU_DEP_2)
	v_fma_f64 v[28:29], v[24:25], s[8:9], -v[26:27]
	v_add_f64_e64 v[20:21], v[20:21], -v[22:23]
	s_delay_alu instid0(VALU_DEP_2) | instskip(NEXT) | instid1(VALU_DEP_1)
	v_fmamk_f64 v[22:23], v[24:25], 0x3c91a62633145c07, v[28:29]
	v_fmac_f64_e32 v[22:23], 0x3ff921fb54442d18, v[20:21]
	s_delay_alu instid0(VALU_DEP_1) | instskip(NEXT) | instid1(VALU_DEP_1)
	v_add_f64_e32 v[20:21], v[26:27], v[22:23]
	v_add_f64_e64 v[24:25], v[20:21], -v[26:27]
	s_delay_alu instid0(VALU_DEP_1)
	v_add_f64_e64 v[24:25], v[22:23], -v[24:25]
	s_and_not1_saveexec_b32 s0, s0
	s_cbranch_execnz .LBB7_118
	s_branch .LBB7_119
.LBB7_117:
	s_and_not1_saveexec_b32 s0, s0
	s_cbranch_execz .LBB7_119
.LBB7_118:
	s_mov_b64 s[8:9], 0x3fe45f306dc9c883
	s_delay_alu instid0(SALU_CYCLE_1) | instskip(SKIP_1) | instid1(VALU_DEP_1)
	v_mul_f64_e64 v[20:21], |v[12:13]|, s[8:9]
	s_mov_b64 s[8:9], 0xbff921fb54442d18
	v_rndne_f64_e32 v[22:23], v[20:21]
	s_delay_alu instid0(VALU_DEP_1) | instskip(SKIP_2) | instid1(VALU_DEP_3)
	v_fma_f64 v[20:21], v[22:23], s[8:9], |v[12:13]|
	v_mul_f64_e32 v[24:25], 0xbc91a62633145c00, v[22:23]
	v_cvt_i32_f64_e32 v3, v[22:23]
	v_fmamk_f64 v[30:31], v[22:23], 0xbc91a62633145c00, v[20:21]
	s_delay_alu instid0(VALU_DEP_3) | instskip(NEXT) | instid1(VALU_DEP_1)
	v_add_f64_e32 v[26:27], v[20:21], v[24:25]
	v_add_f64_e64 v[28:29], v[20:21], -v[26:27]
	s_delay_alu instid0(VALU_DEP_3) | instskip(NEXT) | instid1(VALU_DEP_2)
	v_add_f64_e64 v[20:21], v[26:27], -v[30:31]
	v_add_f64_e32 v[26:27], v[28:29], v[24:25]
	v_fmamk_f64 v[24:25], v[22:23], 0x3c91a62633145c00, v[24:25]
	s_delay_alu instid0(VALU_DEP_2) | instskip(NEXT) | instid1(VALU_DEP_1)
	v_add_f64_e32 v[20:21], v[20:21], v[26:27]
	v_add_f64_e64 v[20:21], v[20:21], -v[24:25]
	s_delay_alu instid0(VALU_DEP_1) | instskip(NEXT) | instid1(VALU_DEP_1)
	v_fmamk_f64 v[24:25], v[22:23], 0xb97b839a252049c0, v[20:21]
	v_add_f64_e32 v[20:21], v[30:31], v[24:25]
	s_delay_alu instid0(VALU_DEP_1) | instskip(NEXT) | instid1(VALU_DEP_1)
	v_add_f64_e64 v[26:27], v[20:21], -v[30:31]
	v_add_f64_e64 v[24:25], v[24:25], -v[26:27]
.LBB7_119:
	s_or_b32 exec_lo, exec_lo, s0
	v_div_scale_f64 v[22:23], null, v[14:15], v[14:15], 0x40140000
	v_div_scale_f64 v[30:31], vcc_lo, 0x40140000, v[14:15], 0x40140000
	v_cmp_gt_f64_e64 s0, 0x10000000, v[14:15]
	v_mul_f64_e32 v[40:41], v[20:21], v[20:21]
	v_mov_b64_e32 v[46:47], 0xbe5ae600b42fdfa7
	v_mov_b64_e32 v[54:55], 0x3ec71de3796cde01
	;; [unrolled: 1-line block ×6, first 2 shown]
	v_rcp_f64_e32 v[26:27], v[22:23]
	v_cndmask_b32_e64 v5, 0, 0x100, s0
	v_mul_f64_e64 v[72:73], v[20:21], -v[40:41]
	v_mul_f64_e32 v[84:85], v[40:41], v[40:41]
	s_delay_alu instid0(TRANS32_DEP_1) | instskip(NEXT) | instid1(VALU_DEP_1)
	v_fma_f64 v[28:29], -v[22:23], v[26:27], 1.0
	v_fmac_f64_e32 v[26:27], v[26:27], v[28:29]
	s_delay_alu instid0(VALU_DEP_1) | instskip(NEXT) | instid1(VALU_DEP_1)
	v_fma_f64 v[28:29], -v[22:23], v[26:27], 1.0
	v_fmac_f64_e32 v[26:27], v[26:27], v[28:29]
	s_delay_alu instid0(VALU_DEP_1) | instskip(NEXT) | instid1(VALU_DEP_1)
	v_mul_f64_e32 v[28:29], v[30:31], v[26:27]
	v_fma_f64 v[22:23], -v[22:23], v[28:29], v[30:31]
	s_delay_alu instid0(VALU_DEP_1) | instskip(NEXT) | instid1(VALU_DEP_1)
	v_div_fmas_f64 v[22:23], v[22:23], v[26:27], v[28:29]
	v_div_fixup_f64 v[22:23], v[22:23], v[14:15], 0x40140000
	v_ldexp_f64 v[14:15], v[14:15], v5
	v_dual_mul_f64 v[58:59], 0.5, v[40:41] :: v_dual_bitop2_b32 v5, 1, v3 bitop3:0x40
	v_dual_mul_f64 v[70:71], 0.5, v[24:25] :: v_dual_lshlrev_b32 v3, 30, v3
	s_delay_alu instid0(VALU_DEP_4) | instskip(NEXT) | instid1(VALU_DEP_4)
	v_mul_f64_e32 v[32:33], v[22:23], v[22:23]
	v_rsq_f64_e32 v[66:67], v[14:15]
	s_delay_alu instid0(VALU_DEP_1) | instskip(SKIP_3) | instid1(VALU_DEP_4)
	v_fmaak_f64 v[26:27], 0, v[32:33], 0x3f42b89b13443d69
	v_fmaak_f64 v[28:29], 0, v[32:33], 0x3f48f92c4c6c651b
	v_fmaak_f64 v[30:31], 0, v[32:33], 0x3faa27fa6b70ba40
	v_fmaak_f64 v[34:35], 0, v[32:33], 0x40528f3060895077
	v_fmaak_f64 v[26:27], v[32:33], v[26:27], 0x3fb19fdd5948aa83
	s_delay_alu instid0(VALU_DEP_4) | instskip(NEXT) | instid1(VALU_DEP_4)
	v_fmaak_f64 v[28:29], v[32:33], v[28:29], 0x3fb2b948a3fec4b6
	v_fmaak_f64 v[30:31], v[32:33], v[30:31], 0x4013edb5c66d8fd6
	s_delay_alu instid0(VALU_DEP_4) | instskip(NEXT) | instid1(VALU_DEP_4)
	v_fmaak_f64 v[34:35], v[32:33], v[34:35], 0x409081cba20e5f6f
	v_fmaak_f64 v[26:27], v[32:33], v[26:27], 0x3ff1aea9b850eed6
	;; [unrolled: 3-line block ×9, first 2 shown]
	s_delay_alu instid0(VALU_DEP_4) | instskip(NEXT) | instid1(VALU_DEP_4)
	v_fmaak_f64 v[34:35], v[32:33], v[34:35], 0x40a61462b4bd1781
	v_fma_f64 v[26:27], v[32:33], v[26:27], 1.0
	s_delay_alu instid0(VALU_DEP_4) | instskip(NEXT) | instid1(VALU_DEP_4)
	v_fma_f64 v[28:29], v[32:33], v[28:29], 1.0
	v_fmaak_f64 v[36:37], v[32:33], v[30:31], 0x406a760a4c54bb0b
	s_delay_alu instid0(VALU_DEP_4) | instskip(SKIP_1) | instid1(VALU_DEP_3)
	v_fmaak_f64 v[30:31], v[32:33], v[34:35], 0x4075017f6ae75997
	v_mul_f64_e32 v[34:35], v[16:17], v[16:17]
	v_fmaak_f64 v[32:33], v[32:33], v[36:37], 0x403934ff4d159eb5
	s_delay_alu instid0(VALU_DEP_1) | instskip(SKIP_1) | instid1(VALU_DEP_4)
	v_div_scale_f64 v[38:39], null, v[30:31], v[30:31], v[32:33]
	v_div_scale_f64 v[36:37], null, v[26:27], v[26:27], v[28:29]
	v_fmamk_f64 v[48:49], v[34:35], 0x3de5e0b2f9a43bb8, v[46:47]
	v_fmac_f64_e32 v[46:47], 0x3de5e0b2f9a43bb8, v[40:41]
	s_delay_alu instid0(VALU_DEP_4) | instskip(NEXT) | instid1(VALU_DEP_3)
	v_rcp_f64_e32 v[44:45], v[38:39]
	v_rcp_f64_e32 v[42:43], v[36:37]
	s_delay_alu instid0(VALU_DEP_1) | instskip(SKIP_2) | instid1(TRANS32_DEP_2)
	v_fmac_f64_e32 v[54:55], v[40:41], v[46:47]
	v_fmamk_f64 v[46:47], v[34:35], 0xbda907db46cc5e42, v[56:57]
	v_fmac_f64_e32 v[56:57], 0xbda907db46cc5e42, v[40:41]
	v_fma_f64 v[52:53], -v[38:39], v[44:45], 1.0
	s_delay_alu instid0(TRANS32_DEP_1) | instskip(NEXT) | instid1(VALU_DEP_2)
	v_fma_f64 v[50:51], -v[36:37], v[42:43], 1.0
	v_fmac_f64_e32 v[44:45], v[44:45], v[52:53]
	v_mov_b64_e32 v[52:53], 0xbe927e4fa17f65f6
	s_delay_alu instid0(VALU_DEP_1) | instskip(NEXT) | instid1(VALU_DEP_4)
	v_fmac_f64_e32 v[52:53], v[40:41], v[56:57]
	v_fmac_f64_e32 v[42:43], v[42:43], v[50:51]
	v_mov_b64_e32 v[50:51], 0xbf2a01a019e83e5c
	s_delay_alu instid0(VALU_DEP_1)
	v_fmac_f64_e32 v[50:51], v[40:41], v[54:55]
	v_add_f64_e64 v[54:55], -v[58:59], 1.0
	v_fma_f64 v[60:61], -v[38:39], v[44:45], 1.0
	v_fmac_f64_e32 v[64:65], v[40:41], v[52:53]
	v_div_scale_f64 v[52:53], vcc_lo, v[28:29], v[26:27], v[28:29]
	v_fma_f64 v[56:57], -v[36:37], v[42:43], 1.0
	v_fmac_f64_e32 v[62:63], v[40:41], v[50:51]
	v_add_f64_e64 v[50:51], -v[54:55], 1.0
	v_fmac_f64_e32 v[44:45], v[44:45], v[60:61]
	v_mov_b64_e32 v[60:61], 0xbf56c16c16c16967
	s_delay_alu instid0(VALU_DEP_1)
	v_fmac_f64_e32 v[60:61], v[40:41], v[64:65]
	v_fmac_f64_e32 v[42:43], v[42:43], v[56:57]
	v_div_scale_f64 v[56:57], s1, v[32:33], v[30:31], v[32:33]
	v_fmac_f64_e32 v[70:71], v[72:73], v[62:63]
	v_add_f64_e64 v[50:51], v[50:51], -v[58:59]
	v_mul_f64_e32 v[62:63], v[14:15], v[66:67]
	v_mul_f64_e32 v[66:67], 0.5, v[66:67]
	v_fmac_f64_e32 v[78:79], v[40:41], v[60:61]
	v_mul_f64_e32 v[58:59], v[52:53], v[42:43]
	v_mul_f64_e32 v[64:65], v[56:57], v[44:45]
	v_fma_f64 v[70:71], v[40:41], v[70:71], -v[24:25]
	v_fma_f64 v[24:25], v[20:21], -v[24:25], v[50:51]
	v_fmaak_f64 v[40:41], v[34:35], v[48:49], 0x3ec71de3796cde01
	s_delay_alu instid0(VALU_DEP_1) | instskip(NEXT) | instid1(VALU_DEP_1)
	v_fmaak_f64 v[40:41], v[34:35], v[40:41], 0xbf2a01a019e83e5c
	v_fmaak_f64 v[40:41], v[34:35], v[40:41], 0x3f81111111110bb3
	v_fma_f64 v[36:37], -v[36:37], v[58:59], v[52:53]
	v_fma_f64 v[38:39], -v[38:39], v[64:65], v[56:57]
	v_fmac_f64_e32 v[70:71], 0xbfc5555555555555, v[72:73]
	v_fmac_f64_e32 v[24:25], v[84:85], v[78:79]
	s_delay_alu instid0(VALU_DEP_4)
	v_div_fmas_f64 v[36:37], v[36:37], v[42:43], v[58:59]
	s_mov_b32 vcc_lo, s1
	v_mul_f64_e32 v[42:43], v[34:35], v[34:35]
	v_div_fmas_f64 v[38:39], v[38:39], v[44:45], v[64:65]
	v_cmp_eq_u32_e32 vcc_lo, 0, v5
	v_add_f64_e64 v[20:21], v[20:21], -v[70:71]
	v_add_f64_e32 v[24:25], v[54:55], v[24:25]
	v_div_fixup_f64 v[26:27], v[36:37], v[26:27], v[28:29]
	v_div_fixup_f64 v[30:31], v[38:39], v[30:31], v[32:33]
	s_delay_alu instid0(VALU_DEP_4) | instskip(NEXT) | instid1(VALU_DEP_1)
	v_xor_b32_e32 v21, 0x80000000, v21
	v_dual_cndmask_b32 v24, v20, v24 :: v_dual_cndmask_b32 v5, v21, v25
	v_cmp_class_f64_e64 vcc_lo, v[12:13], 0x1f8
	v_mul_f64_e32 v[68:69], 0.5, v[34:35]
	s_delay_alu instid0(VALU_DEP_3) | instskip(NEXT) | instid1(VALU_DEP_3)
	v_bitop3_b32 v3, v5, v3, 0x80000000 bitop3:0x78
	v_dual_mul_f64 v[20:21], v[22:23], v[30:31] :: v_dual_cndmask_b32 v24, 0, v24, vcc_lo
	s_delay_alu instid0(VALU_DEP_3) | instskip(NEXT) | instid1(VALU_DEP_3)
	v_add_f64_e64 v[74:75], -v[68:69], 1.0
	v_cndmask_b32_e32 v25, 0x7ff80000, v3, vcc_lo
	v_dual_lshlrev_b32 v3, 30, v1 :: v_dual_bitop2_b32 v1, 1, v1 bitop3:0x40
	v_fma_f64 v[86:87], -v[66:67], v[62:63], 0.5
	s_delay_alu instid0(VALU_DEP_2) | instskip(NEXT) | instid1(VALU_DEP_3)
	v_xor_b32_e32 v3, v3, v13
	v_cmp_eq_u32_e64 s1, 0, v1
	v_mul_f64_e32 v[76:77], 0.5, v[18:19]
	v_mul_f64_e64 v[80:81], v[16:17], -v[34:35]
	v_mul_f64_e32 v[20:21], v[20:21], v[24:25]
	v_add_f64_e64 v[82:83], -v[74:75], 1.0
	v_fmac_f64_e32 v[62:63], v[62:63], v[86:87]
	v_fmac_f64_e32 v[66:67], v[66:67], v[86:87]
	v_fmac_f64_e32 v[76:77], v[80:81], v[40:41]
	s_delay_alu instid0(VALU_DEP_4) | instskip(NEXT) | instid1(VALU_DEP_2)
	v_add_f64_e64 v[40:41], v[82:83], -v[68:69]
	v_fma_f64 v[44:45], v[34:35], v[76:77], -v[18:19]
	s_delay_alu instid0(VALU_DEP_2) | instskip(SKIP_2) | instid1(VALU_DEP_2)
	v_fma_f64 v[18:19], v[16:17], -v[18:19], v[40:41]
	v_fmaak_f64 v[40:41], v[34:35], v[46:47], 0xbe927e4fa17f65f6
	v_fma_f64 v[46:47], -v[62:63], v[62:63], v[14:15]
	v_fmaak_f64 v[40:41], v[34:35], v[40:41], 0x3efa01a019f4ec90
	v_fmac_f64_e32 v[44:45], 0xbfc5555555555555, v[80:81]
	s_delay_alu instid0(VALU_DEP_2) | instskip(NEXT) | instid1(VALU_DEP_1)
	v_fmaak_f64 v[32:33], v[34:35], v[40:41], 0xbf56c16c16c16967
	v_fmaak_f64 v[32:33], v[34:35], v[32:33], 0x3fa5555555555555
	s_delay_alu instid0(VALU_DEP_1) | instskip(SKIP_2) | instid1(VALU_DEP_3)
	v_fmac_f64_e32 v[18:19], v[42:43], v[32:33]
	v_fmac_f64_e32 v[62:63], v[46:47], v[66:67]
	v_add_f64_e64 v[16:17], v[16:17], -v[44:45]
	v_add_f64_e32 v[18:19], v[74:75], v[18:19]
	s_delay_alu instid0(VALU_DEP_3) | instskip(NEXT) | instid1(VALU_DEP_2)
	v_fma_f64 v[22:23], -v[62:63], v[62:63], v[14:15]
	v_dual_cndmask_b32 v1, v19, v17, s1 :: v_dual_cndmask_b32 v5, v18, v16, s1
	s_delay_alu instid0(VALU_DEP_2) | instskip(NEXT) | instid1(VALU_DEP_2)
	v_fmac_f64_e32 v[62:63], v[22:23], v[66:67]
	v_bitop3_b32 v1, v1, v3, 0x80000000 bitop3:0x78
	s_delay_alu instid0(VALU_DEP_3) | instskip(NEXT) | instid1(VALU_DEP_2)
	v_cndmask_b32_e32 v12, 0, v5, vcc_lo
	v_cndmask_b32_e32 v13, 0x7ff80000, v1, vcc_lo
	v_cndmask_b32_e64 v1, 0, 0xffffff80, s0
	v_cmp_class_f64_e64 vcc_lo, v[14:15], 0x260
	s_delay_alu instid0(VALU_DEP_3) | instskip(NEXT) | instid1(VALU_DEP_3)
	v_fmac_f64_e32 v[20:21], v[26:27], v[12:13]
	v_ldexp_f64 v[12:13], v[62:63], v1
	s_delay_alu instid0(VALU_DEP_2) | instskip(NEXT) | instid1(VALU_DEP_2)
	v_mul_f64_e32 v[16:17], 0x3fe9884533d43651, v[20:21]
	v_dual_cndmask_b32 v13, v13, v15 :: v_dual_cndmask_b32 v12, v12, v14
	s_delay_alu instid0(VALU_DEP_1) | instskip(NEXT) | instid1(VALU_DEP_1)
	v_div_scale_f64 v[14:15], null, v[12:13], v[12:13], v[16:17]
	v_rcp_f64_e32 v[18:19], v[14:15]
	v_nop
	s_delay_alu instid0(TRANS32_DEP_1) | instskip(NEXT) | instid1(VALU_DEP_1)
	v_fma_f64 v[20:21], -v[14:15], v[18:19], 1.0
	v_fmac_f64_e32 v[18:19], v[18:19], v[20:21]
	s_delay_alu instid0(VALU_DEP_1) | instskip(NEXT) | instid1(VALU_DEP_1)
	v_fma_f64 v[20:21], -v[14:15], v[18:19], 1.0
	v_fmac_f64_e32 v[18:19], v[18:19], v[20:21]
	v_div_scale_f64 v[20:21], vcc_lo, v[16:17], v[12:13], v[16:17]
	s_delay_alu instid0(VALU_DEP_1) | instskip(NEXT) | instid1(VALU_DEP_1)
	v_mul_f64_e32 v[22:23], v[20:21], v[18:19]
	v_fma_f64 v[14:15], -v[14:15], v[22:23], v[20:21]
	s_delay_alu instid0(VALU_DEP_1) | instskip(NEXT) | instid1(VALU_DEP_1)
	v_div_fmas_f64 v[14:15], v[14:15], v[18:19], v[22:23]
	v_div_fixup_f64 v[12:13], v[14:15], v[12:13], v[16:17]
.LBB7_120:
	s_or_b32 exec_lo, exec_lo, s2
	global_load_b64 v[14:15], v7, s[6:7]
                                        ; implicit-def: $vgpr16_vgpr17
	s_mov_b32 s0, exec_lo
	s_wait_loadcnt 0x0
	v_cmpx_ge_f64_e32 0x40140000, v[14:15]
	s_xor_b32 s1, exec_lo, s0
	s_cbranch_execz .LBB7_126
; %bb.121:
	v_mov_b64_e32 v[16:17], 0xfff0000000000000
	s_mov_b32 s2, exec_lo
	v_cmpx_neq_f64_e32 0, v[14:15]
	s_cbranch_execz .LBB7_125
; %bb.122:
	v_mov_b64_e32 v[16:17], 0x7ff8000000000000
	s_mov_b32 s3, exec_lo
	v_cmpx_nge_f64_e32 0, v[14:15]
	s_cbranch_execz .LBB7_124
; %bb.123:
	v_frexp_mant_f64_e32 v[16:17], v[14:15]
	s_mov_b64 s[6:7], 0x3fe5555555555555
	s_delay_alu instid0(VALU_DEP_1) | instid1(SALU_CYCLE_1)
	v_cmp_gt_f64_e32 vcc_lo, s[6:7], v[16:17]
	s_mov_b64 s[6:7], 0x3fc3ab76bf559e2b
	v_cndmask_b32_e64 v1, 0, 1, vcc_lo
	s_delay_alu instid0(VALU_DEP_1) | instskip(SKIP_1) | instid1(VALU_DEP_2)
	v_ldexp_f64 v[16:17], v[16:17], v1
	v_frexp_exp_i32_f64_e32 v1, v[14:15]
	v_add_f64_e32 v[18:19], 1.0, v[16:17]
	v_add_f64_e32 v[24:25], -1.0, v[16:17]
	s_delay_alu instid0(VALU_DEP_3) | instskip(NEXT) | instid1(VALU_DEP_3)
	v_subrev_co_ci_u32_e64 v1, null, 0, v1, vcc_lo
	v_rcp_f64_e32 v[20:21], v[18:19]
	v_add_f64_e32 v[26:27], -1.0, v[18:19]
	s_delay_alu instid0(VALU_DEP_1) | instskip(NEXT) | instid1(TRANS32_DEP_1)
	v_add_f64_e64 v[16:17], v[16:17], -v[26:27]
	v_fma_f64 v[22:23], -v[18:19], v[20:21], 1.0
	s_delay_alu instid0(VALU_DEP_1) | instskip(NEXT) | instid1(VALU_DEP_1)
	v_fmac_f64_e32 v[20:21], v[22:23], v[20:21]
	v_fma_f64 v[22:23], -v[18:19], v[20:21], 1.0
	s_delay_alu instid0(VALU_DEP_1) | instskip(NEXT) | instid1(VALU_DEP_1)
	v_fmac_f64_e32 v[20:21], v[22:23], v[20:21]
	v_mul_f64_e32 v[22:23], v[24:25], v[20:21]
	s_delay_alu instid0(VALU_DEP_1) | instskip(NEXT) | instid1(VALU_DEP_1)
	v_mul_f64_e32 v[28:29], v[18:19], v[22:23]
	v_fma_f64 v[18:19], v[22:23], v[18:19], -v[28:29]
	s_delay_alu instid0(VALU_DEP_1) | instskip(NEXT) | instid1(VALU_DEP_1)
	v_fmac_f64_e32 v[18:19], v[22:23], v[16:17]
	v_add_f64_e32 v[16:17], v[28:29], v[18:19]
	s_delay_alu instid0(VALU_DEP_1) | instskip(SKIP_1) | instid1(VALU_DEP_2)
	v_add_f64_e64 v[26:27], v[24:25], -v[16:17]
	v_add_f64_e64 v[28:29], v[16:17], -v[28:29]
	;; [unrolled: 1-line block ×3, first 2 shown]
	s_delay_alu instid0(VALU_DEP_2) | instskip(SKIP_1) | instid1(VALU_DEP_3)
	v_add_f64_e64 v[18:19], v[28:29], -v[18:19]
	v_cvt_f64_i32_e32 v[28:29], v1
	v_add_f64_e64 v[16:17], v[24:25], -v[16:17]
	s_delay_alu instid0(VALU_DEP_2) | instskip(NEXT) | instid1(VALU_DEP_2)
	v_mul_f64_e32 v[34:35], 0x3fe62e42fefa39ef, v[28:29]
	v_add_f64_e32 v[16:17], v[18:19], v[16:17]
	s_delay_alu instid0(VALU_DEP_1) | instskip(NEXT) | instid1(VALU_DEP_1)
	v_add_f64_e32 v[16:17], v[26:27], v[16:17]
	v_mul_f64_e32 v[16:17], v[20:21], v[16:17]
	s_delay_alu instid0(VALU_DEP_1) | instskip(NEXT) | instid1(VALU_DEP_1)
	v_add_f64_e32 v[18:19], v[22:23], v[16:17]
	v_mul_f64_e32 v[20:21], v[18:19], v[18:19]
	s_delay_alu instid0(VALU_DEP_1) | instskip(SKIP_2) | instid1(SALU_CYCLE_1)
	v_fmaak_f64 v[24:25], s[6:7], v[20:21], 0x3fc385386b47b09a
	v_mul_f64_e32 v[26:27], v[18:19], v[20:21]
	s_mov_b64 s[6:7], 0x3fe62e42fefa39ef
	v_fma_f64 v[38:39], v[28:29], s[6:7], -v[34:35]
	s_delay_alu instid0(VALU_DEP_3) | instskip(NEXT) | instid1(VALU_DEP_1)
	v_fmaak_f64 v[24:25], v[20:21], v[24:25], 0x3fc7474dd7f4df2e
	v_fmaak_f64 v[24:25], v[20:21], v[24:25], 0x3fcc71c016291751
	s_delay_alu instid0(VALU_DEP_1) | instskip(NEXT) | instid1(VALU_DEP_1)
	v_fmaak_f64 v[24:25], v[20:21], v[24:25], 0x3fd249249b27acf1
	v_fmaak_f64 v[24:25], v[20:21], v[24:25], 0x3fd99999998ef7b6
	s_delay_alu instid0(VALU_DEP_1) | instskip(SKIP_3) | instid1(VALU_DEP_4)
	v_fmaak_f64 v[20:21], v[20:21], v[24:25], 0x3fe5555555555780
	v_ldexp_f64 v[24:25], v[18:19], 1
	v_add_f64_e64 v[18:19], v[18:19], -v[22:23]
	v_fmamk_f64 v[28:29], v[28:29], 0x3c7abc9e3b39803f, v[38:39]
	v_mul_f64_e32 v[20:21], v[26:27], v[20:21]
	v_mul_f64_e32 v[26:27], v[14:15], v[14:15]
	s_delay_alu instid0(VALU_DEP_3) | instskip(SKIP_1) | instid1(VALU_DEP_4)
	v_add_f64_e32 v[38:39], v[34:35], v[28:29]
	v_add_f64_e64 v[16:17], v[16:17], -v[18:19]
	v_add_f64_e32 v[22:23], v[24:25], v[20:21]
	s_delay_alu instid0(VALU_DEP_4)
	v_fmaak_f64 v[30:31], 0, v[26:27], 0x40829269a93f7ac2
	v_fmaak_f64 v[32:33], 0, v[26:27], 0x408366b11b7086e7
	v_fmaak_f64 v[36:37], 0, v[26:27], 0xc1cad23c4cda4fc5
	v_add_f64_e64 v[34:35], v[38:39], -v[34:35]
	v_ldexp_f64 v[16:17], v[16:17], 1
	v_add_f64_e64 v[18:19], v[22:23], -v[24:25]
	v_fmaak_f64 v[24:25], v[26:27], v[30:31], 0x410cc160be58ef7f
	v_fmaak_f64 v[30:31], v[26:27], v[32:33], 0x410f5eda0dd701b2
	;; [unrolled: 1-line block ×3, first 2 shown]
	v_add_f64_e64 v[28:29], v[28:29], -v[34:35]
	s_delay_alu instid0(VALU_DEP_4) | instskip(NEXT) | instid1(VALU_DEP_4)
	v_fmaak_f64 v[24:25], v[26:27], v[24:25], 0x419184efa9c8acee
	v_fmaak_f64 v[30:31], v[26:27], v[30:31], 0x4193e954dc92a1b1
	s_delay_alu instid0(VALU_DEP_4) | instskip(NEXT) | instid1(VALU_DEP_3)
	v_fmaak_f64 v[32:33], v[26:27], v[32:33], 0xc262d72d58836521
	v_fmaak_f64 v[24:25], v[26:27], v[24:25], 0x421178c3906b7b83
	s_delay_alu instid0(VALU_DEP_3) | instskip(NEXT) | instid1(VALU_DEP_3)
	v_fmaak_f64 v[30:31], v[26:27], v[30:31], 0x4214a13f7befeac1
	v_fmaak_f64 v[32:33], v[26:27], v[32:33], 0x42da0954b0910fef
	s_delay_alu instid0(VALU_DEP_3) | instskip(NEXT) | instid1(VALU_DEP_3)
	;; [unrolled: 3-line block ×4, first 2 shown]
	v_fmaak_f64 v[30:31], v[26:27], v[30:31], 0x43064b0a3eccf45f
	v_fmaak_f64 v[32:33], v[26:27], v[32:33], 0x438679ad0b7366b1
	v_add_f64_e64 v[18:19], v[20:21], -v[18:19]
	v_fmaak_f64 v[20:21], v[26:27], v[36:37], 0x425a52ba0d438c6b
	v_fmaak_f64 v[24:25], v[26:27], v[24:25], 0x436e83e3c547a488
	v_fmaak_f64 v[30:31], v[26:27], v[30:31], 0x4373e0bff4653f81
	v_fmaak_f64 v[32:33], v[26:27], v[32:33], 0xc3a59e415dde2b17
	s_delay_alu instid0(VALU_DEP_4) | instskip(NEXT) | instid1(VALU_DEP_4)
	v_fmaak_f64 v[20:21], v[26:27], v[20:21], 0xc2d08a92e6ccf175
	v_fmaak_f64 v[24:25], v[26:27], v[24:25], 0x43cb90f190f6747f
	s_delay_alu instid0(VALU_DEP_2) | instskip(SKIP_1) | instid1(VALU_DEP_3)
	v_fmaak_f64 v[20:21], v[26:27], v[20:21], 0x432a2b42a697c482
	v_fmaak_f64 v[26:27], v[26:27], v[30:31], 0x43d2779576702939
	v_div_scale_f64 v[30:31], null, v[24:25], v[24:25], v[32:33]
	v_div_scale_f64 v[58:59], vcc_lo, v[32:33], v[24:25], v[32:33]
	s_delay_alu instid0(VALU_DEP_3) | instskip(SKIP_1) | instid1(VALU_DEP_4)
	v_div_scale_f64 v[36:37], null, v[26:27], v[26:27], v[20:21]
	v_add_f64_e32 v[16:17], v[16:17], v[18:19]
	v_rcp_f64_e32 v[18:19], v[30:31]
	s_delay_alu instid0(VALU_DEP_2) | instskip(NEXT) | instid1(VALU_DEP_1)
	v_rcp_f64_e32 v[40:41], v[36:37]
	v_add_f64_e32 v[42:43], v[22:23], v[16:17]
	s_delay_alu instid0(TRANS32_DEP_2) | instskip(NEXT) | instid1(TRANS32_DEP_1)
	v_fma_f64 v[44:45], -v[30:31], v[18:19], 1.0
	v_fma_f64 v[46:47], -v[36:37], v[40:41], 1.0
	s_delay_alu instid0(VALU_DEP_3) | instskip(SKIP_1) | instid1(VALU_DEP_4)
	v_add_f64_e32 v[48:49], v[38:39], v[42:43]
	v_add_f64_e64 v[22:23], v[42:43], -v[22:23]
	v_fmac_f64_e32 v[18:19], v[18:19], v[44:45]
	v_div_scale_f64 v[44:45], null, v[14:15], v[14:15], -1.0
	v_fmac_f64_e32 v[40:41], v[40:41], v[46:47]
	v_add_f64_e64 v[46:47], v[48:49], -v[38:39]
	v_add_f64_e64 v[16:17], v[16:17], -v[22:23]
	v_fma_f64 v[50:51], -v[30:31], v[18:19], 1.0
	v_rcp_f64_e32 v[52:53], v[44:45]
	s_delay_alu instid0(VALU_DEP_4) | instskip(NEXT) | instid1(VALU_DEP_4)
	v_fma_f64 v[54:55], -v[36:37], v[40:41], 1.0
	v_add_f64_e64 v[56:57], v[48:49], -v[46:47]
	v_add_f64_e64 v[22:23], v[42:43], -v[46:47]
	s_delay_alu instid0(VALU_DEP_4) | instskip(SKIP_4) | instid1(TRANS32_DEP_1)
	v_fmac_f64_e32 v[18:19], v[18:19], v[50:51]
	v_div_scale_f64 v[50:51], s0, v[20:21], v[26:27], v[20:21]
	v_fmac_f64_e32 v[40:41], v[40:41], v[54:55]
	v_add_f64_e32 v[54:55], v[28:29], v[16:17]
	v_add_f64_e64 v[34:35], v[38:39], -v[56:57]
	v_fma_f64 v[38:39], -v[44:45], v[52:53], 1.0
	v_mul_f64_e32 v[42:43], v[58:59], v[18:19]
	v_mul_f64_e32 v[46:47], v[50:51], v[40:41]
	s_delay_alu instid0(VALU_DEP_4) | instskip(NEXT) | instid1(VALU_DEP_4)
	v_add_f64_e32 v[22:23], v[22:23], v[34:35]
	v_fmac_f64_e32 v[52:53], v[52:53], v[38:39]
	s_delay_alu instid0(VALU_DEP_4) | instskip(NEXT) | instid1(VALU_DEP_4)
	v_fma_f64 v[30:31], -v[30:31], v[42:43], v[58:59]
	v_fma_f64 v[34:35], -v[36:37], v[46:47], v[50:51]
	v_add_f64_e64 v[36:37], v[54:55], -v[28:29]
	v_add_f64_e32 v[22:23], v[54:55], v[22:23]
	v_fma_f64 v[38:39], -v[44:45], v[52:53], 1.0
	v_div_fmas_f64 v[18:19], v[30:31], v[18:19], v[42:43]
	s_mov_b32 vcc_lo, s0
	v_div_fmas_f64 v[30:31], v[34:35], v[40:41], v[46:47]
	v_add_f64_e64 v[34:35], v[54:55], -v[36:37]
	v_div_scale_f64 v[42:43], vcc_lo, -1.0, v[14:15], -1.0
	v_add_f64_e32 v[40:41], v[48:49], v[22:23]
	v_fmac_f64_e32 v[52:53], v[52:53], v[38:39]
	v_add_f64_e64 v[16:17], v[16:17], -v[36:37]
	v_div_fixup_f64 v[18:19], v[18:19], v[24:25], v[32:33]
	v_div_fixup_f64 v[20:21], v[30:31], v[26:27], v[20:21]
	v_add_f64_e64 v[26:27], v[28:29], -v[34:35]
	v_add_f64_e64 v[28:29], v[40:41], -v[48:49]
	v_mul_f64_e32 v[30:31], v[42:43], v[52:53]
	s_delay_alu instid0(VALU_DEP_4) | instskip(NEXT) | instid1(VALU_DEP_4)
	v_mul_f64_e32 v[20:21], v[14:15], v[20:21]
	v_add_f64_e32 v[16:17], v[16:17], v[26:27]
	s_delay_alu instid0(VALU_DEP_4) | instskip(NEXT) | instid1(VALU_DEP_4)
	v_add_f64_e64 v[22:23], v[22:23], -v[28:29]
	v_fma_f64 v[26:27], -v[44:45], v[30:31], v[42:43]
	v_fmaak_f64 v[28:29], v[14:15], v[14:15], 0xc02d5d2b4189822c
	s_delay_alu instid0(VALU_DEP_1) | instskip(NEXT) | instid1(VALU_DEP_4)
	v_mul_f64_e32 v[20:21], v[28:29], v[20:21]
	v_add_f64_e32 v[16:17], v[16:17], v[22:23]
	s_delay_alu instid0(VALU_DEP_4) | instskip(SKIP_1) | instid1(VALU_DEP_1)
	v_div_fmas_f64 v[22:23], v[26:27], v[52:53], v[30:31]
	v_fmaak_f64 v[26:27], v[14:15], v[14:15], 0xc0489bf66072a432
	v_mul_f64_e32 v[20:21], v[26:27], v[20:21]
	s_delay_alu instid0(VALU_DEP_4) | instskip(NEXT) | instid1(VALU_DEP_4)
	v_add_f64_e32 v[16:17], v[40:41], v[16:17]
	v_div_fixup_f64 v[22:23], v[22:23], v[14:15], -1.0
	s_delay_alu instid0(VALU_DEP_1) | instskip(NEXT) | instid1(VALU_DEP_1)
	v_fmac_f64_e32 v[22:23], v[20:21], v[16:17]
	v_mul_f64_e32 v[16:17], 0x3fe45f306dc9c883, v[22:23]
	s_delay_alu instid0(VALU_DEP_1)
	v_fmac_f64_e32 v[16:17], v[14:15], v[18:19]
.LBB7_124:
	s_or_b32 exec_lo, exec_lo, s3
.LBB7_125:
	s_delay_alu instid0(SALU_CYCLE_1)
	s_or_b32 exec_lo, exec_lo, s2
                                        ; implicit-def: $vgpr14_vgpr15
.LBB7_126:
	s_and_not1_saveexec_b32 s2, s1
	s_cbranch_execz .LBB7_136
; %bb.127:
	v_add_f64_e32 v[16:17], 0xc002d97c7f3321d2, v[14:15]
                                        ; implicit-def: $vgpr1
                                        ; implicit-def: $vgpr18_vgpr19
                                        ; implicit-def: $vgpr20_vgpr21
	s_delay_alu instid0(VALU_DEP_1)
	v_cmp_ngt_f64_e64 s0, 0x41d00000, |v[16:17]|
	v_trig_preop_f64 v[30:31], |v[16:17]|, 0
	v_trig_preop_f64 v[28:29], |v[16:17]|, 1
	v_ldexp_f64 v[32:33], |v[16:17]|, 0xffffff80
	v_trig_preop_f64 v[24:25], |v[16:17]|, 2
	v_and_b32_e32 v5, 0x7fffffff, v17
	s_and_saveexec_b32 s1, s0
	s_delay_alu instid0(SALU_CYCLE_1)
	s_xor_b32 s1, exec_lo, s1
	s_cbranch_execz .LBB7_129
; %bb.128:
	v_cmp_le_f64_e64 vcc_lo, 0x7b000000, |v[16:17]|
	s_mov_b64 s[6:7], 0x3ff921fb54442d18
	v_dual_mov_b32 v46, 0 :: v_dual_cndmask_b32 v19, v5, v33
	v_cndmask_b32_e32 v18, v16, v32, vcc_lo
	s_delay_alu instid0(VALU_DEP_1) | instskip(SKIP_2) | instid1(VALU_DEP_3)
	v_mul_f64_e32 v[20:21], v[30:31], v[18:19]
	v_mul_f64_e32 v[22:23], v[28:29], v[18:19]
	;; [unrolled: 1-line block ×3, first 2 shown]
	v_fma_f64 v[26:27], v[30:31], v[18:19], -v[20:21]
	s_delay_alu instid0(VALU_DEP_3) | instskip(NEXT) | instid1(VALU_DEP_3)
	v_fma_f64 v[44:45], v[28:29], v[18:19], -v[22:23]
	v_fma_f64 v[18:19], v[24:25], v[18:19], -v[42:43]
	s_delay_alu instid0(VALU_DEP_3) | instskip(NEXT) | instid1(VALU_DEP_1)
	v_add_f64_e32 v[34:35], v[22:23], v[26:27]
	v_add_f64_e64 v[36:37], v[34:35], -v[22:23]
	v_add_f64_e32 v[40:41], v[20:21], v[34:35]
	s_delay_alu instid0(VALU_DEP_2) | instskip(SKIP_1) | instid1(VALU_DEP_3)
	v_add_f64_e64 v[38:39], v[34:35], -v[36:37]
	v_add_f64_e64 v[26:27], v[26:27], -v[36:37]
	v_ldexp_f64 v[36:37], v[40:41], -2
	v_add_f64_e64 v[20:21], v[40:41], -v[20:21]
	s_delay_alu instid0(VALU_DEP_4) | instskip(NEXT) | instid1(VALU_DEP_3)
	v_add_f64_e64 v[22:23], v[22:23], -v[38:39]
	v_cmp_neq_f64_e64 vcc_lo, 0x7ff00000, |v[36:37]|
	s_delay_alu instid0(VALU_DEP_3) | instskip(NEXT) | instid1(VALU_DEP_3)
	v_add_f64_e64 v[20:21], v[34:35], -v[20:21]
	v_add_f64_e32 v[22:23], v[26:27], v[22:23]
	v_fract_f64_e32 v[26:27], v[36:37]
	s_delay_alu instid0(VALU_DEP_1) | instskip(NEXT) | instid1(VALU_DEP_1)
	v_ldexp_f64 v[26:27], v[26:27], 2
	v_dual_add_f64 v[38:39], v[42:43], v[44:45] :: v_dual_cndmask_b32 v26, 0, v26, vcc_lo
	s_delay_alu instid0(VALU_DEP_1) | instskip(NEXT) | instid1(VALU_DEP_3)
	v_add_f64_e32 v[34:35], v[38:39], v[22:23]
	v_cndmask_b32_e32 v27, 0, v27, vcc_lo
	s_delay_alu instid0(VALU_DEP_2) | instskip(SKIP_1) | instid1(VALU_DEP_2)
	v_add_f64_e32 v[36:37], v[20:21], v[34:35]
	v_add_f64_e64 v[48:49], v[34:35], -v[38:39]
	v_add_f64_e32 v[40:41], v[36:37], v[26:27]
	s_delay_alu instid0(VALU_DEP_2) | instskip(SKIP_2) | instid1(VALU_DEP_4)
	v_add_f64_e64 v[54:55], v[34:35], -v[48:49]
	v_add_f64_e64 v[22:23], v[22:23], -v[48:49]
	;; [unrolled: 1-line block ×3, first 2 shown]
	v_cmp_gt_f64_e32 vcc_lo, 0, v[40:41]
	v_add_f64_e64 v[40:41], v[38:39], -v[42:43]
	s_delay_alu instid0(VALU_DEP_3) | instskip(SKIP_1) | instid1(VALU_DEP_3)
	v_add_f64_e64 v[20:21], v[34:35], -v[20:21]
	v_cndmask_b32_e64 v47, 0, 0x40100000, vcc_lo
	v_add_f64_e64 v[52:53], v[38:39], -v[40:41]
	v_add_f64_e64 v[40:41], v[44:45], -v[40:41]
	;; [unrolled: 1-line block ×3, first 2 shown]
	s_delay_alu instid0(VALU_DEP_4) | instskip(NEXT) | instid1(VALU_DEP_4)
	v_add_f64_e32 v[26:27], v[26:27], v[46:47]
	v_add_f64_e64 v[44:45], v[42:43], -v[52:53]
	s_delay_alu instid0(VALU_DEP_3) | instskip(NEXT) | instid1(VALU_DEP_3)
	v_add_f64_e32 v[22:23], v[22:23], v[38:39]
	v_add_f64_e32 v[50:51], v[36:37], v[26:27]
	s_delay_alu instid0(VALU_DEP_3) | instskip(NEXT) | instid1(VALU_DEP_2)
	v_add_f64_e32 v[40:41], v[40:41], v[44:45]
	v_cvt_i32_f64_e32 v1, v[50:51]
	s_delay_alu instid0(VALU_DEP_2) | instskip(NEXT) | instid1(VALU_DEP_2)
	v_add_f64_e32 v[22:23], v[40:41], v[22:23]
	v_cvt_f64_i32_e32 v[48:49], v1
	s_delay_alu instid0(VALU_DEP_2) | instskip(NEXT) | instid1(VALU_DEP_2)
	v_add_f64_e32 v[18:19], v[18:19], v[22:23]
	v_add_f64_e64 v[26:27], v[26:27], -v[48:49]
	s_delay_alu instid0(VALU_DEP_2) | instskip(NEXT) | instid1(VALU_DEP_2)
	v_add_f64_e32 v[18:19], v[20:21], v[18:19]
	v_add_f64_e32 v[38:39], v[36:37], v[26:27]
	s_delay_alu instid0(VALU_DEP_1) | instskip(SKIP_1) | instid1(VALU_DEP_2)
	v_add_f64_e64 v[22:23], v[38:39], -v[26:27]
	v_cmp_le_f64_e32 vcc_lo, 0.5, v[38:39]
	v_add_f64_e64 v[20:21], v[36:37], -v[22:23]
	v_cndmask_b32_e64 v47, 0, 0x3ff00000, vcc_lo
	v_add_co_ci_u32_e64 v1, null, 0, v1, vcc_lo
	s_delay_alu instid0(VALU_DEP_3) | instskip(NEXT) | instid1(VALU_DEP_3)
	v_add_f64_e32 v[18:19], v[18:19], v[20:21]
	v_add_f64_e64 v[20:21], v[38:39], -v[46:47]
	s_delay_alu instid0(VALU_DEP_1) | instskip(NEXT) | instid1(VALU_DEP_1)
	v_add_f64_e32 v[22:23], v[20:21], v[18:19]
	v_mul_f64_e32 v[26:27], 0x3ff921fb54442d18, v[22:23]
	v_add_f64_e64 v[20:21], v[22:23], -v[20:21]
	s_delay_alu instid0(VALU_DEP_2) | instskip(NEXT) | instid1(VALU_DEP_2)
	v_fma_f64 v[34:35], v[22:23], s[6:7], -v[26:27]
	v_add_f64_e64 v[18:19], v[18:19], -v[20:21]
	s_delay_alu instid0(VALU_DEP_2) | instskip(NEXT) | instid1(VALU_DEP_1)
	v_fmamk_f64 v[20:21], v[22:23], 0x3c91a62633145c07, v[34:35]
	v_fmac_f64_e32 v[20:21], 0x3ff921fb54442d18, v[18:19]
	s_delay_alu instid0(VALU_DEP_1) | instskip(NEXT) | instid1(VALU_DEP_1)
	v_add_f64_e32 v[18:19], v[26:27], v[20:21]
	v_add_f64_e64 v[22:23], v[18:19], -v[26:27]
	s_delay_alu instid0(VALU_DEP_1)
	v_add_f64_e64 v[20:21], v[20:21], -v[22:23]
	s_and_not1_saveexec_b32 s1, s1
	s_cbranch_execz .LBB7_131
	s_branch .LBB7_130
.LBB7_129:
	s_and_not1_saveexec_b32 s1, s1
	s_cbranch_execz .LBB7_131
.LBB7_130:
	s_mov_b64 s[6:7], 0x3fe45f306dc9c883
	s_delay_alu instid0(SALU_CYCLE_1) | instskip(SKIP_1) | instid1(VALU_DEP_1)
	v_mul_f64_e64 v[18:19], |v[16:17]|, s[6:7]
	s_mov_b64 s[6:7], 0xbff921fb54442d18
	v_rndne_f64_e32 v[22:23], v[18:19]
	s_delay_alu instid0(VALU_DEP_1) | instskip(SKIP_2) | instid1(VALU_DEP_3)
	v_fma_f64 v[18:19], v[22:23], s[6:7], |v[16:17]|
	v_mul_f64_e32 v[20:21], 0xbc91a62633145c00, v[22:23]
	v_cvt_i32_f64_e32 v1, v[22:23]
	v_fmamk_f64 v[36:37], v[22:23], 0xbc91a62633145c00, v[18:19]
	s_delay_alu instid0(VALU_DEP_3) | instskip(NEXT) | instid1(VALU_DEP_1)
	v_add_f64_e32 v[26:27], v[18:19], v[20:21]
	v_add_f64_e64 v[34:35], v[18:19], -v[26:27]
	s_delay_alu instid0(VALU_DEP_3) | instskip(NEXT) | instid1(VALU_DEP_2)
	v_add_f64_e64 v[18:19], v[26:27], -v[36:37]
	v_add_f64_e32 v[26:27], v[34:35], v[20:21]
	v_fmamk_f64 v[20:21], v[22:23], 0x3c91a62633145c00, v[20:21]
	s_delay_alu instid0(VALU_DEP_2) | instskip(NEXT) | instid1(VALU_DEP_1)
	v_add_f64_e32 v[18:19], v[18:19], v[26:27]
	v_add_f64_e64 v[18:19], v[18:19], -v[20:21]
	s_delay_alu instid0(VALU_DEP_1) | instskip(NEXT) | instid1(VALU_DEP_1)
	v_fmamk_f64 v[20:21], v[22:23], 0xb97b839a252049c0, v[18:19]
	v_add_f64_e32 v[18:19], v[36:37], v[20:21]
	s_delay_alu instid0(VALU_DEP_1) | instskip(NEXT) | instid1(VALU_DEP_1)
	v_add_f64_e64 v[26:27], v[18:19], -v[36:37]
	v_add_f64_e64 v[20:21], v[20:21], -v[26:27]
.LBB7_131:
	s_or_b32 exec_lo, exec_lo, s1
                                        ; implicit-def: $vgpr3
                                        ; implicit-def: $vgpr22_vgpr23
                                        ; implicit-def: $vgpr26_vgpr27
	s_and_saveexec_b32 s1, s0
	s_delay_alu instid0(SALU_CYCLE_1)
	s_xor_b32 s0, exec_lo, s1
	s_cbranch_execz .LBB7_133
; %bb.132:
	v_cmp_le_f64_e64 vcc_lo, 0x7b000000, |v[16:17]|
	s_mov_b64 s[6:7], 0x3ff921fb54442d18
	v_dual_mov_b32 v44, 0 :: v_dual_cndmask_b32 v23, v5, v33
	v_cndmask_b32_e32 v22, v16, v32, vcc_lo
	s_delay_alu instid0(VALU_DEP_1) | instskip(SKIP_2) | instid1(VALU_DEP_3)
	v_mul_f64_e32 v[26:27], v[30:31], v[22:23]
	v_mul_f64_e32 v[32:33], v[28:29], v[22:23]
	;; [unrolled: 1-line block ×3, first 2 shown]
	v_fma_f64 v[30:31], v[30:31], v[22:23], -v[26:27]
	s_delay_alu instid0(VALU_DEP_3) | instskip(NEXT) | instid1(VALU_DEP_3)
	v_fma_f64 v[28:29], v[28:29], v[22:23], -v[32:33]
	v_fma_f64 v[22:23], v[24:25], v[22:23], -v[42:43]
	s_delay_alu instid0(VALU_DEP_3) | instskip(NEXT) | instid1(VALU_DEP_1)
	v_add_f64_e32 v[34:35], v[32:33], v[30:31]
	v_add_f64_e64 v[36:37], v[34:35], -v[32:33]
	v_add_f64_e32 v[40:41], v[26:27], v[34:35]
	s_delay_alu instid0(VALU_DEP_2) | instskip(SKIP_1) | instid1(VALU_DEP_3)
	v_add_f64_e64 v[38:39], v[34:35], -v[36:37]
	v_add_f64_e64 v[30:31], v[30:31], -v[36:37]
	v_ldexp_f64 v[36:37], v[40:41], -2
	s_delay_alu instid0(VALU_DEP_3) | instskip(SKIP_1) | instid1(VALU_DEP_3)
	v_add_f64_e64 v[32:33], v[32:33], -v[38:39]
	v_add_f64_e32 v[38:39], v[42:43], v[28:29]
	v_cmp_neq_f64_e64 vcc_lo, 0x7ff00000, |v[36:37]|
	s_delay_alu instid0(VALU_DEP_3) | instskip(SKIP_1) | instid1(VALU_DEP_1)
	v_add_f64_e32 v[30:31], v[30:31], v[32:33]
	v_fract_f64_e32 v[32:33], v[36:37]
	v_ldexp_f64 v[32:33], v[32:33], 2
	s_delay_alu instid0(VALU_DEP_1) | instskip(NEXT) | instid1(VALU_DEP_1)
	v_dual_add_f64 v[26:27], v[40:41], -v[26:27] :: v_dual_cndmask_b32 v33, 0, v33, vcc_lo
	v_dual_add_f64 v[26:27], v[34:35], -v[26:27] :: v_dual_cndmask_b32 v32, 0, v32, vcc_lo
	v_add_f64_e32 v[34:35], v[38:39], v[30:31]
	s_delay_alu instid0(VALU_DEP_1) | instskip(SKIP_1) | instid1(VALU_DEP_2)
	v_add_f64_e32 v[36:37], v[26:27], v[34:35]
	v_add_f64_e64 v[46:47], v[34:35], -v[38:39]
	v_add_f64_e32 v[40:41], v[36:37], v[32:33]
	s_delay_alu instid0(VALU_DEP_2) | instskip(SKIP_2) | instid1(VALU_DEP_4)
	v_add_f64_e64 v[52:53], v[34:35], -v[46:47]
	v_add_f64_e64 v[30:31], v[30:31], -v[46:47]
	;; [unrolled: 1-line block ×3, first 2 shown]
	v_cmp_gt_f64_e32 vcc_lo, 0, v[40:41]
	v_add_f64_e64 v[40:41], v[38:39], -v[42:43]
	s_delay_alu instid0(VALU_DEP_3) | instskip(SKIP_1) | instid1(VALU_DEP_3)
	v_add_f64_e64 v[24:25], v[34:35], -v[24:25]
	v_cndmask_b32_e64 v45, 0, 0x40100000, vcc_lo
	v_add_f64_e64 v[50:51], v[38:39], -v[40:41]
	v_add_f64_e64 v[28:29], v[28:29], -v[40:41]
	;; [unrolled: 1-line block ×3, first 2 shown]
	s_delay_alu instid0(VALU_DEP_4) | instskip(NEXT) | instid1(VALU_DEP_4)
	v_add_f64_e32 v[32:33], v[32:33], v[44:45]
	v_add_f64_e64 v[40:41], v[42:43], -v[50:51]
	s_delay_alu instid0(VALU_DEP_3) | instskip(NEXT) | instid1(VALU_DEP_3)
	v_add_f64_e32 v[30:31], v[30:31], v[38:39]
	v_add_f64_e32 v[48:49], v[36:37], v[32:33]
	s_delay_alu instid0(VALU_DEP_3) | instskip(NEXT) | instid1(VALU_DEP_2)
	v_add_f64_e32 v[28:29], v[28:29], v[40:41]
	v_cvt_i32_f64_e32 v3, v[48:49]
	s_delay_alu instid0(VALU_DEP_2) | instskip(NEXT) | instid1(VALU_DEP_2)
	v_add_f64_e32 v[26:27], v[28:29], v[30:31]
	v_cvt_f64_i32_e32 v[46:47], v3
	s_delay_alu instid0(VALU_DEP_2) | instskip(NEXT) | instid1(VALU_DEP_2)
	v_add_f64_e32 v[22:23], v[22:23], v[26:27]
	v_add_f64_e64 v[32:33], v[32:33], -v[46:47]
	s_delay_alu instid0(VALU_DEP_2) | instskip(NEXT) | instid1(VALU_DEP_2)
	v_add_f64_e32 v[22:23], v[24:25], v[22:23]
	v_add_f64_e32 v[28:29], v[36:37], v[32:33]
	s_delay_alu instid0(VALU_DEP_1) | instskip(SKIP_1) | instid1(VALU_DEP_2)
	v_add_f64_e64 v[26:27], v[28:29], -v[32:33]
	v_cmp_le_f64_e32 vcc_lo, 0.5, v[28:29]
	v_add_f64_e64 v[24:25], v[36:37], -v[26:27]
	v_cndmask_b32_e64 v45, 0, 0x3ff00000, vcc_lo
	v_add_co_ci_u32_e64 v3, null, 0, v3, vcc_lo
	s_delay_alu instid0(VALU_DEP_3) | instskip(NEXT) | instid1(VALU_DEP_3)
	v_add_f64_e32 v[22:23], v[22:23], v[24:25]
	v_add_f64_e64 v[24:25], v[28:29], -v[44:45]
	s_delay_alu instid0(VALU_DEP_1) | instskip(NEXT) | instid1(VALU_DEP_1)
	v_add_f64_e32 v[26:27], v[24:25], v[22:23]
	v_mul_f64_e32 v[28:29], 0x3ff921fb54442d18, v[26:27]
	v_add_f64_e64 v[24:25], v[26:27], -v[24:25]
	s_delay_alu instid0(VALU_DEP_2) | instskip(NEXT) | instid1(VALU_DEP_2)
	v_fma_f64 v[30:31], v[26:27], s[6:7], -v[28:29]
	v_add_f64_e64 v[22:23], v[22:23], -v[24:25]
	s_delay_alu instid0(VALU_DEP_2) | instskip(NEXT) | instid1(VALU_DEP_1)
	v_fmamk_f64 v[24:25], v[26:27], 0x3c91a62633145c07, v[30:31]
	v_fmac_f64_e32 v[24:25], 0x3ff921fb54442d18, v[22:23]
	s_delay_alu instid0(VALU_DEP_1) | instskip(NEXT) | instid1(VALU_DEP_1)
	v_add_f64_e32 v[22:23], v[28:29], v[24:25]
	v_add_f64_e64 v[26:27], v[22:23], -v[28:29]
	s_delay_alu instid0(VALU_DEP_1)
	v_add_f64_e64 v[26:27], v[24:25], -v[26:27]
	s_and_not1_saveexec_b32 s0, s0
	s_cbranch_execnz .LBB7_134
	s_branch .LBB7_135
.LBB7_133:
	s_and_not1_saveexec_b32 s0, s0
	s_cbranch_execz .LBB7_135
.LBB7_134:
	s_mov_b64 s[6:7], 0x3fe45f306dc9c883
	s_delay_alu instid0(SALU_CYCLE_1) | instskip(SKIP_1) | instid1(VALU_DEP_1)
	v_mul_f64_e64 v[22:23], |v[16:17]|, s[6:7]
	s_mov_b64 s[6:7], 0xbff921fb54442d18
	v_rndne_f64_e32 v[24:25], v[22:23]
	s_delay_alu instid0(VALU_DEP_1) | instskip(SKIP_2) | instid1(VALU_DEP_3)
	v_fma_f64 v[22:23], v[24:25], s[6:7], |v[16:17]|
	v_mul_f64_e32 v[26:27], 0xbc91a62633145c00, v[24:25]
	v_cvt_i32_f64_e32 v3, v[24:25]
	v_fmamk_f64 v[32:33], v[24:25], 0xbc91a62633145c00, v[22:23]
	s_delay_alu instid0(VALU_DEP_3) | instskip(NEXT) | instid1(VALU_DEP_1)
	v_add_f64_e32 v[28:29], v[22:23], v[26:27]
	v_add_f64_e64 v[30:31], v[22:23], -v[28:29]
	s_delay_alu instid0(VALU_DEP_3) | instskip(NEXT) | instid1(VALU_DEP_2)
	v_add_f64_e64 v[22:23], v[28:29], -v[32:33]
	v_add_f64_e32 v[28:29], v[30:31], v[26:27]
	v_fmamk_f64 v[26:27], v[24:25], 0x3c91a62633145c00, v[26:27]
	s_delay_alu instid0(VALU_DEP_2) | instskip(NEXT) | instid1(VALU_DEP_1)
	v_add_f64_e32 v[22:23], v[22:23], v[28:29]
	v_add_f64_e64 v[22:23], v[22:23], -v[26:27]
	s_delay_alu instid0(VALU_DEP_1) | instskip(NEXT) | instid1(VALU_DEP_1)
	v_fmamk_f64 v[26:27], v[24:25], 0xb97b839a252049c0, v[22:23]
	v_add_f64_e32 v[22:23], v[32:33], v[26:27]
	s_delay_alu instid0(VALU_DEP_1) | instskip(NEXT) | instid1(VALU_DEP_1)
	v_add_f64_e64 v[28:29], v[22:23], -v[32:33]
	v_add_f64_e64 v[26:27], v[26:27], -v[28:29]
.LBB7_135:
	s_or_b32 exec_lo, exec_lo, s0
	v_div_scale_f64 v[24:25], null, v[14:15], v[14:15], 0x40140000
	v_div_scale_f64 v[32:33], vcc_lo, 0x40140000, v[14:15], 0x40140000
	v_mul_f64_e32 v[42:43], v[22:23], v[22:23]
	v_mov_b64_e32 v[48:49], 0xbe5ae600b42fdfa7
	v_mov_b64_e32 v[56:57], 0x3ec71de3796cde01
	;; [unrolled: 1-line block ×5, first 2 shown]
	v_mul_f64_e32 v[72:73], 0.5, v[26:27]
	v_cmp_gt_f64_e64 s0, 0x10000000, v[14:15]
	v_mov_b64_e32 v[80:81], 0x3fa5555555555555
	v_rcp_f64_e32 v[28:29], v[24:25]
	v_mul_f64_e32 v[60:61], 0.5, v[42:43]
	v_mul_f64_e64 v[74:75], v[22:23], -v[42:43]
	v_mul_f64_e32 v[86:87], v[42:43], v[42:43]
	v_cndmask_b32_e64 v5, 0, 0x100, s0
	s_delay_alu instid0(TRANS32_DEP_1) | instskip(NEXT) | instid1(VALU_DEP_1)
	v_fma_f64 v[30:31], -v[24:25], v[28:29], 1.0
	v_fmac_f64_e32 v[28:29], v[28:29], v[30:31]
	s_delay_alu instid0(VALU_DEP_1) | instskip(NEXT) | instid1(VALU_DEP_1)
	v_fma_f64 v[30:31], -v[24:25], v[28:29], 1.0
	v_fmac_f64_e32 v[28:29], v[28:29], v[30:31]
	s_delay_alu instid0(VALU_DEP_1) | instskip(NEXT) | instid1(VALU_DEP_1)
	v_mul_f64_e32 v[30:31], v[32:33], v[28:29]
	v_fma_f64 v[24:25], -v[24:25], v[30:31], v[32:33]
	s_delay_alu instid0(VALU_DEP_1) | instskip(NEXT) | instid1(VALU_DEP_1)
	v_div_fmas_f64 v[24:25], v[24:25], v[28:29], v[30:31]
	v_div_fixup_f64 v[24:25], v[24:25], v[14:15], 0x40140000
	v_ldexp_f64 v[14:15], v[14:15], v5
	v_dual_lshlrev_b32 v3, 30, v3 :: v_dual_bitop2_b32 v5, 1, v3 bitop3:0x40
	s_delay_alu instid0(VALU_DEP_3) | instskip(NEXT) | instid1(VALU_DEP_3)
	v_mul_f64_e32 v[34:35], v[24:25], v[24:25]
	v_rsq_f64_e32 v[68:69], v[14:15]
	s_delay_alu instid0(VALU_DEP_1) | instskip(SKIP_3) | instid1(VALU_DEP_4)
	v_fmaak_f64 v[28:29], 0, v[34:35], 0x3f42b89b13443d69
	v_fmaak_f64 v[30:31], 0, v[34:35], 0x3f48f92c4c6c651b
	;; [unrolled: 1-line block ×5, first 2 shown]
	s_delay_alu instid0(VALU_DEP_4) | instskip(NEXT) | instid1(VALU_DEP_4)
	v_fmaak_f64 v[30:31], v[34:35], v[30:31], 0x3fb2b948a3fec4b6
	v_fmaak_f64 v[32:33], v[34:35], v[32:33], 0x4013edb5c66d8fd6
	s_delay_alu instid0(VALU_DEP_4) | instskip(NEXT) | instid1(VALU_DEP_4)
	v_fmaak_f64 v[36:37], v[34:35], v[36:37], 0x409081cba20e5f6f
	v_fmaak_f64 v[28:29], v[34:35], v[28:29], 0x3ff1aea9b850eed6
	;; [unrolled: 3-line block ×9, first 2 shown]
	s_delay_alu instid0(VALU_DEP_4) | instskip(NEXT) | instid1(VALU_DEP_4)
	v_fmaak_f64 v[36:37], v[34:35], v[36:37], 0x40a61462b4bd1781
	v_fma_f64 v[28:29], v[34:35], v[28:29], 1.0
	s_delay_alu instid0(VALU_DEP_4) | instskip(NEXT) | instid1(VALU_DEP_4)
	v_fma_f64 v[30:31], v[34:35], v[30:31], 1.0
	v_fmaak_f64 v[38:39], v[34:35], v[32:33], 0x406a760a4c54bb0b
	s_delay_alu instid0(VALU_DEP_4) | instskip(SKIP_1) | instid1(VALU_DEP_3)
	v_fmaak_f64 v[32:33], v[34:35], v[36:37], 0x4075017f6ae75997
	v_mul_f64_e32 v[36:37], v[18:19], v[18:19]
	v_fmaak_f64 v[34:35], v[34:35], v[38:39], 0x403934ff4d159eb5
	s_delay_alu instid0(VALU_DEP_1) | instskip(SKIP_1) | instid1(VALU_DEP_4)
	v_div_scale_f64 v[40:41], null, v[32:33], v[32:33], v[34:35]
	v_div_scale_f64 v[38:39], null, v[28:29], v[28:29], v[30:31]
	v_fmamk_f64 v[50:51], v[36:37], 0x3de5e0b2f9a43bb8, v[48:49]
	v_fmac_f64_e32 v[48:49], 0x3de5e0b2f9a43bb8, v[42:43]
	s_delay_alu instid0(VALU_DEP_4) | instskip(NEXT) | instid1(VALU_DEP_3)
	v_rcp_f64_e32 v[46:47], v[40:41]
	v_rcp_f64_e32 v[44:45], v[38:39]
	s_delay_alu instid0(VALU_DEP_1) | instskip(SKIP_2) | instid1(TRANS32_DEP_2)
	v_fmac_f64_e32 v[56:57], v[42:43], v[48:49]
	v_fmamk_f64 v[48:49], v[36:37], 0xbda907db46cc5e42, v[58:59]
	v_fmac_f64_e32 v[58:59], 0xbda907db46cc5e42, v[42:43]
	v_fma_f64 v[54:55], -v[40:41], v[46:47], 1.0
	s_delay_alu instid0(TRANS32_DEP_1) | instskip(NEXT) | instid1(VALU_DEP_2)
	v_fma_f64 v[52:53], -v[38:39], v[44:45], 1.0
	v_fmac_f64_e32 v[46:47], v[46:47], v[54:55]
	v_mov_b64_e32 v[54:55], 0xbe927e4fa17f65f6
	s_delay_alu instid0(VALU_DEP_1) | instskip(NEXT) | instid1(VALU_DEP_4)
	v_fmac_f64_e32 v[54:55], v[42:43], v[58:59]
	v_fmac_f64_e32 v[44:45], v[44:45], v[52:53]
	v_mov_b64_e32 v[52:53], 0xbf2a01a019e83e5c
	s_delay_alu instid0(VALU_DEP_1)
	v_fmac_f64_e32 v[52:53], v[42:43], v[56:57]
	v_add_f64_e64 v[56:57], -v[60:61], 1.0
	v_fma_f64 v[62:63], -v[40:41], v[46:47], 1.0
	v_fmac_f64_e32 v[66:67], v[42:43], v[54:55]
	v_div_scale_f64 v[54:55], vcc_lo, v[30:31], v[28:29], v[30:31]
	v_fma_f64 v[58:59], -v[38:39], v[44:45], 1.0
	v_fmac_f64_e32 v[64:65], v[42:43], v[52:53]
	v_add_f64_e64 v[52:53], -v[56:57], 1.0
	v_fmac_f64_e32 v[46:47], v[46:47], v[62:63]
	v_mov_b64_e32 v[62:63], 0xbf56c16c16c16967
	s_delay_alu instid0(VALU_DEP_1)
	v_fmac_f64_e32 v[62:63], v[42:43], v[66:67]
	v_fmac_f64_e32 v[44:45], v[44:45], v[58:59]
	v_div_scale_f64 v[58:59], s1, v[34:35], v[32:33], v[34:35]
	v_fmac_f64_e32 v[72:73], v[74:75], v[64:65]
	v_add_f64_e64 v[52:53], v[52:53], -v[60:61]
	v_mul_f64_e32 v[64:65], v[14:15], v[68:69]
	v_fmac_f64_e32 v[80:81], v[42:43], v[62:63]
	v_mul_f64_e32 v[60:61], v[54:55], v[44:45]
	v_mul_f64_e32 v[66:67], v[58:59], v[46:47]
	v_fma_f64 v[72:73], v[42:43], v[72:73], -v[26:27]
	v_fma_f64 v[26:27], v[22:23], -v[26:27], v[52:53]
	s_delay_alu instid0(VALU_DEP_4) | instskip(NEXT) | instid1(VALU_DEP_4)
	v_fma_f64 v[38:39], -v[38:39], v[60:61], v[54:55]
	v_fma_f64 v[40:41], -v[40:41], v[66:67], v[58:59]
	s_delay_alu instid0(VALU_DEP_4) | instskip(NEXT) | instid1(VALU_DEP_4)
	v_fmac_f64_e32 v[72:73], 0xbfc5555555555555, v[74:75]
	v_fmac_f64_e32 v[26:27], v[86:87], v[80:81]
	s_delay_alu instid0(VALU_DEP_4) | instskip(SKIP_1) | instid1(VALU_DEP_4)
	v_div_fmas_f64 v[38:39], v[38:39], v[44:45], v[60:61]
	s_mov_b32 vcc_lo, s1
	v_div_fmas_f64 v[40:41], v[40:41], v[46:47], v[66:67]
	v_cmp_eq_u32_e32 vcc_lo, 0, v5
	v_add_f64_e64 v[22:23], v[22:23], -v[72:73]
	v_add_f64_e32 v[26:27], v[56:57], v[26:27]
	v_mul_f64_e32 v[68:69], 0.5, v[68:69]
	v_div_fixup_f64 v[28:29], v[38:39], v[28:29], v[30:31]
	v_div_fixup_f64 v[32:33], v[40:41], v[32:33], v[34:35]
	v_xor_b32_e32 v7, 0x80000000, v23
	s_delay_alu instid0(VALU_DEP_1) | instskip(SKIP_2) | instid1(VALU_DEP_3)
	v_dual_cndmask_b32 v5, v7, v27, vcc_lo :: v_dual_cndmask_b32 v7, v22, v26, vcc_lo
	v_cmp_class_f64_e64 vcc_lo, v[16:17], 0x1f8
	v_fma_f64 v[88:89], -v[68:69], v[64:65], 0.5
	v_bitop3_b32 v3, v5, v3, 0x80000000 bitop3:0x78
	v_mul_f64_e32 v[22:23], v[24:25], v[32:33]
	s_delay_alu instid0(VALU_DEP_2) | instskip(SKIP_4) | instid1(VALU_DEP_4)
	v_cndmask_b32_e32 v27, 0x7ff80000, v3, vcc_lo
	v_dual_lshlrev_b32 v3, 30, v1 :: v_dual_bitop2_b32 v1, 1, v1 bitop3:0x40
	v_dual_mul_f64 v[70:71], 0.5, v[36:37] :: v_dual_cndmask_b32 v26, 0, v7, vcc_lo
	v_mul_f64_e64 v[82:83], v[18:19], -v[36:37]
	v_fmaak_f64 v[42:43], v[36:37], v[50:51], 0x3ec71de3796cde01
	v_cmp_eq_u32_e64 s1, 0, v1
	v_mul_f64_e32 v[78:79], 0.5, v[20:21]
	v_fmac_f64_e32 v[64:65], v[64:65], v[88:89]
	v_mul_f64_e32 v[44:45], v[36:37], v[36:37]
	v_fmac_f64_e32 v[68:69], v[68:69], v[88:89]
	v_xor_b32_e32 v3, v3, v17
	v_fmaak_f64 v[42:43], v[36:37], v[42:43], 0xbf2a01a019e83e5c
	s_delay_alu instid0(VALU_DEP_1) | instskip(SKIP_2) | instid1(VALU_DEP_3)
	v_fmaak_f64 v[42:43], v[36:37], v[42:43], 0x3f81111111110bb3
	v_mul_f64_e32 v[22:23], v[22:23], v[26:27]
	v_add_f64_e64 v[76:77], -v[70:71], 1.0
	v_fmac_f64_e32 v[78:79], v[82:83], v[42:43]
	s_delay_alu instid0(VALU_DEP_2) | instskip(NEXT) | instid1(VALU_DEP_2)
	v_add_f64_e64 v[84:85], -v[76:77], 1.0
	v_fma_f64 v[46:47], v[36:37], v[78:79], -v[20:21]
	s_delay_alu instid0(VALU_DEP_2) | instskip(NEXT) | instid1(VALU_DEP_2)
	v_add_f64_e64 v[42:43], v[84:85], -v[70:71]
	v_fmac_f64_e32 v[46:47], 0xbfc5555555555555, v[82:83]
	s_delay_alu instid0(VALU_DEP_2) | instskip(SKIP_2) | instid1(VALU_DEP_4)
	v_fma_f64 v[20:21], v[18:19], -v[20:21], v[42:43]
	v_fmaak_f64 v[42:43], v[36:37], v[48:49], 0xbe927e4fa17f65f6
	v_fma_f64 v[48:49], -v[64:65], v[64:65], v[14:15]
	v_add_f64_e64 v[18:19], v[18:19], -v[46:47]
	s_delay_alu instid0(VALU_DEP_3) | instskip(NEXT) | instid1(VALU_DEP_1)
	v_fmaak_f64 v[42:43], v[36:37], v[42:43], 0x3efa01a019f4ec90
	v_fmaak_f64 v[34:35], v[36:37], v[42:43], 0xbf56c16c16c16967
	s_delay_alu instid0(VALU_DEP_1) | instskip(NEXT) | instid1(VALU_DEP_1)
	v_fmaak_f64 v[34:35], v[36:37], v[34:35], 0x3fa5555555555555
	v_fmac_f64_e32 v[20:21], v[44:45], v[34:35]
	v_fmac_f64_e32 v[64:65], v[48:49], v[68:69]
	s_delay_alu instid0(VALU_DEP_2) | instskip(NEXT) | instid1(VALU_DEP_2)
	v_add_f64_e32 v[20:21], v[76:77], v[20:21]
	v_fma_f64 v[24:25], -v[64:65], v[64:65], v[14:15]
	s_delay_alu instid0(VALU_DEP_2) | instskip(NEXT) | instid1(VALU_DEP_2)
	v_dual_cndmask_b32 v1, v21, v19, s1 :: v_dual_cndmask_b32 v5, v20, v18, s1
	v_fmac_f64_e32 v[64:65], v[24:25], v[68:69]
	s_delay_alu instid0(VALU_DEP_2) | instskip(NEXT) | instid1(VALU_DEP_3)
	v_bitop3_b32 v1, v1, v3, 0x80000000 bitop3:0x78
	v_cndmask_b32_e32 v16, 0, v5, vcc_lo
	s_delay_alu instid0(VALU_DEP_2) | instskip(SKIP_2) | instid1(VALU_DEP_3)
	v_cndmask_b32_e32 v17, 0x7ff80000, v1, vcc_lo
	v_cndmask_b32_e64 v1, 0, 0xffffff80, s0
	v_cmp_class_f64_e64 vcc_lo, v[14:15], 0x260
	v_fmac_f64_e32 v[22:23], v[28:29], v[16:17]
	s_delay_alu instid0(VALU_DEP_3) | instskip(NEXT) | instid1(VALU_DEP_2)
	v_ldexp_f64 v[16:17], v[64:65], v1
	v_mul_f64_e32 v[18:19], 0x3fe9884533d43651, v[22:23]
	s_delay_alu instid0(VALU_DEP_2) | instskip(NEXT) | instid1(VALU_DEP_1)
	v_dual_cndmask_b32 v15, v17, v15 :: v_dual_cndmask_b32 v14, v16, v14
	v_div_scale_f64 v[16:17], null, v[14:15], v[14:15], v[18:19]
	s_delay_alu instid0(VALU_DEP_1) | instskip(SKIP_1) | instid1(TRANS32_DEP_1)
	v_rcp_f64_e32 v[20:21], v[16:17]
	v_nop
	v_fma_f64 v[22:23], -v[16:17], v[20:21], 1.0
	s_delay_alu instid0(VALU_DEP_1) | instskip(NEXT) | instid1(VALU_DEP_1)
	v_fmac_f64_e32 v[20:21], v[20:21], v[22:23]
	v_fma_f64 v[22:23], -v[16:17], v[20:21], 1.0
	s_delay_alu instid0(VALU_DEP_1) | instskip(SKIP_1) | instid1(VALU_DEP_1)
	v_fmac_f64_e32 v[20:21], v[20:21], v[22:23]
	v_div_scale_f64 v[22:23], vcc_lo, v[18:19], v[14:15], v[18:19]
	v_mul_f64_e32 v[24:25], v[22:23], v[20:21]
	s_delay_alu instid0(VALU_DEP_1) | instskip(NEXT) | instid1(VALU_DEP_1)
	v_fma_f64 v[16:17], -v[16:17], v[24:25], v[22:23]
	v_div_fmas_f64 v[16:17], v[16:17], v[20:21], v[24:25]
	s_delay_alu instid0(VALU_DEP_1)
	v_div_fixup_f64 v[16:17], v[16:17], v[14:15], v[18:19]
.LBB7_136:
	s_or_b32 exec_lo, exec_lo, s2
	s_clause 0x3
	global_store_b64 v0, v[8:9], s[4:5]
	global_store_b64 v2, v[10:11], s[4:5]
	;; [unrolled: 1-line block ×4, first 2 shown]
	s_sendmsg sendmsg(MSG_DEALLOC_VGPRS)
	s_endpgm
.LBB7_137:
	v_dual_mov_b32 v1, 0 :: v_dual_mov_b32 v0, 0
	s_branch .LBB7_143
.LBB7_138:
	v_dual_mov_b32 v1, 0 :: v_dual_mov_b32 v0, 0
	s_branch .LBB7_175
.LBB7_139:
	v_mov_b64_e32 v[0:1], 0
	v_mov_b32_e32 v2, v4
	s_mov_b32 s0, 0
.LBB7_140:
	s_and_b32 s2, s1, 3
	s_mov_b32 s1, 0
	s_cmp_eq_u32 s2, 0
	s_cbranch_scc1 .LBB7_143
; %bb.141:
	s_lshl_b32 s24, s0, 3
	s_mov_b32 s25, s1
	s_mul_u64 s[26:27], s[0:1], 12
	s_add_nc_u64 s[24:25], s[16:17], s[24:25]
	s_delay_alu instid0(SALU_CYCLE_1)
	s_add_nc_u64 s[0:1], s[24:25], 0xc4
	s_add_nc_u64 s[24:25], s[16:17], s[26:27]
.LBB7_142:                              ; =>This Inner Loop Header: Depth=1
	s_load_b96 s[40:42], s[24:25], 0x4
	s_load_b64 s[26:27], s[0:1], 0x0
	s_add_co_i32 s2, s2, -1
	s_wait_xcnt 0x0
	s_add_nc_u64 s[24:25], s[24:25], 12
	s_cmp_lg_u32 s2, 0
	s_add_nc_u64 s[0:1], s[0:1], 8
	s_wait_kmcnt 0x0
	v_mul_hi_u32 v3, s41, v2
	s_delay_alu instid0(VALU_DEP_1) | instskip(NEXT) | instid1(VALU_DEP_1)
	v_add_nc_u32_e32 v3, v2, v3
	v_lshrrev_b32_e32 v3, s42, v3
	s_delay_alu instid0(VALU_DEP_1) | instskip(NEXT) | instid1(VALU_DEP_1)
	v_mul_lo_u32 v5, v3, s40
	v_sub_nc_u32_e32 v2, v2, v5
	s_delay_alu instid0(VALU_DEP_1)
	v_mad_u32 v1, v2, s27, v1
	v_mad_u32 v0, v2, s26, v0
	v_mov_b32_e32 v2, v3
	s_cbranch_scc1 .LBB7_142
.LBB7_143:
	s_cbranch_execnz .LBB7_146
.LBB7_144:
	v_mov_b32_e32 v5, 0
	s_and_not1_b32 vcc_lo, exec_lo, s33
	s_delay_alu instid0(VALU_DEP_1) | instskip(NEXT) | instid1(VALU_DEP_1)
	v_mul_u64_e32 v[0:1], s[18:19], v[4:5]
	v_add_nc_u32_e32 v0, v4, v1
	s_delay_alu instid0(VALU_DEP_1) | instskip(NEXT) | instid1(VALU_DEP_1)
	v_lshrrev_b32_e32 v2, s10, v0
	v_mul_lo_u32 v0, v2, s8
	s_delay_alu instid0(VALU_DEP_1) | instskip(NEXT) | instid1(VALU_DEP_1)
	v_sub_nc_u32_e32 v0, v4, v0
	v_mul_lo_u32 v1, v0, s13
	v_mul_lo_u32 v0, v0, s12
	s_cbranch_vccnz .LBB7_146
; %bb.145:
	v_mov_b32_e32 v3, v5
	s_delay_alu instid0(VALU_DEP_1) | instskip(NEXT) | instid1(VALU_DEP_1)
	v_mul_u64_e32 v[6:7], s[20:21], v[2:3]
	v_add_nc_u32_e32 v3, v2, v7
	s_delay_alu instid0(VALU_DEP_1) | instskip(NEXT) | instid1(VALU_DEP_1)
	v_lshrrev_b32_e32 v3, s3, v3
	v_mul_lo_u32 v3, v3, s11
	s_delay_alu instid0(VALU_DEP_1) | instskip(NEXT) | instid1(VALU_DEP_1)
	v_sub_nc_u32_e32 v2, v2, v3
	v_mad_u32 v0, v2, s14, v0
	v_mad_u32 v1, v2, s15, v1
.LBB7_146:
	global_load_b64 v[2:3], v1, s[6:7]
                                        ; implicit-def: $vgpr6_vgpr7
	s_mov_b32 s0, exec_lo
	s_wait_loadcnt 0x0
	v_cmpx_ge_f64_e32 0x40140000, v[2:3]
	s_xor_b32 s1, exec_lo, s0
	s_cbranch_execz .LBB7_152
; %bb.147:
	v_mov_b64_e32 v[6:7], 0xfff0000000000000
	s_mov_b32 s2, exec_lo
	v_cmpx_neq_f64_e32 0, v[2:3]
	s_cbranch_execz .LBB7_151
; %bb.148:
	v_mov_b64_e32 v[6:7], 0x7ff8000000000000
	s_mov_b32 s24, exec_lo
	v_cmpx_nge_f64_e32 0, v[2:3]
	s_cbranch_execz .LBB7_150
; %bb.149:
	v_frexp_mant_f64_e32 v[6:7], v[2:3]
	s_mov_b64 s[26:27], 0x3fe5555555555555
	s_delay_alu instid0(VALU_DEP_1) | instid1(SALU_CYCLE_1)
	v_cmp_gt_f64_e32 vcc_lo, s[26:27], v[6:7]
	s_mov_b64 s[26:27], 0x3fc3ab76bf559e2b
	v_cndmask_b32_e64 v1, 0, 1, vcc_lo
	s_delay_alu instid0(VALU_DEP_1) | instskip(SKIP_1) | instid1(VALU_DEP_2)
	v_ldexp_f64 v[6:7], v[6:7], v1
	v_frexp_exp_i32_f64_e32 v1, v[2:3]
	v_add_f64_e32 v[8:9], 1.0, v[6:7]
	v_add_f64_e32 v[14:15], -1.0, v[6:7]
	s_delay_alu instid0(VALU_DEP_3) | instskip(NEXT) | instid1(VALU_DEP_3)
	v_subrev_co_ci_u32_e64 v1, null, 0, v1, vcc_lo
	v_rcp_f64_e32 v[10:11], v[8:9]
	v_add_f64_e32 v[16:17], -1.0, v[8:9]
	s_delay_alu instid0(VALU_DEP_1) | instskip(NEXT) | instid1(TRANS32_DEP_1)
	v_add_f64_e64 v[6:7], v[6:7], -v[16:17]
	v_fma_f64 v[12:13], -v[8:9], v[10:11], 1.0
	s_delay_alu instid0(VALU_DEP_1) | instskip(NEXT) | instid1(VALU_DEP_1)
	v_fmac_f64_e32 v[10:11], v[12:13], v[10:11]
	v_fma_f64 v[12:13], -v[8:9], v[10:11], 1.0
	s_delay_alu instid0(VALU_DEP_1) | instskip(NEXT) | instid1(VALU_DEP_1)
	v_fmac_f64_e32 v[10:11], v[12:13], v[10:11]
	v_mul_f64_e32 v[12:13], v[14:15], v[10:11]
	s_delay_alu instid0(VALU_DEP_1) | instskip(NEXT) | instid1(VALU_DEP_1)
	v_mul_f64_e32 v[18:19], v[8:9], v[12:13]
	v_fma_f64 v[8:9], v[12:13], v[8:9], -v[18:19]
	s_delay_alu instid0(VALU_DEP_1) | instskip(NEXT) | instid1(VALU_DEP_1)
	v_fmac_f64_e32 v[8:9], v[12:13], v[6:7]
	v_add_f64_e32 v[6:7], v[18:19], v[8:9]
	s_delay_alu instid0(VALU_DEP_1) | instskip(SKIP_1) | instid1(VALU_DEP_2)
	v_add_f64_e64 v[16:17], v[14:15], -v[6:7]
	v_add_f64_e64 v[18:19], v[6:7], -v[18:19]
	v_add_f64_e64 v[14:15], v[14:15], -v[16:17]
	s_delay_alu instid0(VALU_DEP_2) | instskip(SKIP_1) | instid1(VALU_DEP_3)
	v_add_f64_e64 v[8:9], v[18:19], -v[8:9]
	v_cvt_f64_i32_e32 v[18:19], v1
	v_add_f64_e64 v[6:7], v[14:15], -v[6:7]
	s_delay_alu instid0(VALU_DEP_2) | instskip(NEXT) | instid1(VALU_DEP_2)
	v_mul_f64_e32 v[24:25], 0x3fe62e42fefa39ef, v[18:19]
	v_add_f64_e32 v[6:7], v[8:9], v[6:7]
	s_delay_alu instid0(VALU_DEP_1) | instskip(NEXT) | instid1(VALU_DEP_1)
	v_add_f64_e32 v[6:7], v[16:17], v[6:7]
	v_mul_f64_e32 v[6:7], v[10:11], v[6:7]
	s_delay_alu instid0(VALU_DEP_1) | instskip(NEXT) | instid1(VALU_DEP_1)
	v_add_f64_e32 v[8:9], v[12:13], v[6:7]
	v_mul_f64_e32 v[10:11], v[8:9], v[8:9]
	s_delay_alu instid0(VALU_DEP_1) | instskip(SKIP_2) | instid1(SALU_CYCLE_1)
	v_fmaak_f64 v[14:15], s[26:27], v[10:11], 0x3fc385386b47b09a
	v_mul_f64_e32 v[16:17], v[8:9], v[10:11]
	s_mov_b64 s[26:27], 0x3fe62e42fefa39ef
	v_fma_f64 v[28:29], v[18:19], s[26:27], -v[24:25]
	s_delay_alu instid0(VALU_DEP_3) | instskip(NEXT) | instid1(VALU_DEP_1)
	v_fmaak_f64 v[14:15], v[10:11], v[14:15], 0x3fc7474dd7f4df2e
	v_fmaak_f64 v[14:15], v[10:11], v[14:15], 0x3fcc71c016291751
	s_delay_alu instid0(VALU_DEP_1) | instskip(NEXT) | instid1(VALU_DEP_1)
	v_fmaak_f64 v[14:15], v[10:11], v[14:15], 0x3fd249249b27acf1
	v_fmaak_f64 v[14:15], v[10:11], v[14:15], 0x3fd99999998ef7b6
	s_delay_alu instid0(VALU_DEP_1) | instskip(SKIP_3) | instid1(VALU_DEP_4)
	v_fmaak_f64 v[10:11], v[10:11], v[14:15], 0x3fe5555555555780
	v_ldexp_f64 v[14:15], v[8:9], 1
	v_add_f64_e64 v[8:9], v[8:9], -v[12:13]
	v_fmamk_f64 v[18:19], v[18:19], 0x3c7abc9e3b39803f, v[28:29]
	v_mul_f64_e32 v[10:11], v[16:17], v[10:11]
	v_mul_f64_e32 v[16:17], v[2:3], v[2:3]
	s_delay_alu instid0(VALU_DEP_3) | instskip(SKIP_1) | instid1(VALU_DEP_4)
	v_add_f64_e32 v[28:29], v[24:25], v[18:19]
	v_add_f64_e64 v[6:7], v[6:7], -v[8:9]
	v_add_f64_e32 v[12:13], v[14:15], v[10:11]
	s_delay_alu instid0(VALU_DEP_4)
	v_fmaak_f64 v[20:21], 0, v[16:17], 0x40829269a93f7ac2
	v_fmaak_f64 v[22:23], 0, v[16:17], 0x408366b11b7086e7
	;; [unrolled: 1-line block ×3, first 2 shown]
	v_add_f64_e64 v[24:25], v[28:29], -v[24:25]
	v_ldexp_f64 v[6:7], v[6:7], 1
	v_add_f64_e64 v[8:9], v[12:13], -v[14:15]
	v_fmaak_f64 v[14:15], v[16:17], v[20:21], 0x410cc160be58ef7f
	v_fmaak_f64 v[20:21], v[16:17], v[22:23], 0x410f5eda0dd701b2
	;; [unrolled: 1-line block ×3, first 2 shown]
	v_add_f64_e64 v[18:19], v[18:19], -v[24:25]
	s_delay_alu instid0(VALU_DEP_4) | instskip(NEXT) | instid1(VALU_DEP_4)
	v_fmaak_f64 v[14:15], v[16:17], v[14:15], 0x419184efa9c8acee
	v_fmaak_f64 v[20:21], v[16:17], v[20:21], 0x4193e954dc92a1b1
	s_delay_alu instid0(VALU_DEP_4) | instskip(NEXT) | instid1(VALU_DEP_3)
	v_fmaak_f64 v[22:23], v[16:17], v[22:23], 0xc262d72d58836521
	v_fmaak_f64 v[14:15], v[16:17], v[14:15], 0x421178c3906b7b83
	s_delay_alu instid0(VALU_DEP_3) | instskip(NEXT) | instid1(VALU_DEP_3)
	v_fmaak_f64 v[20:21], v[16:17], v[20:21], 0x4214a13f7befeac1
	v_fmaak_f64 v[22:23], v[16:17], v[22:23], 0x42da0954b0910fef
	s_delay_alu instid0(VALU_DEP_3) | instskip(NEXT) | instid1(VALU_DEP_3)
	;; [unrolled: 3-line block ×4, first 2 shown]
	v_fmaak_f64 v[20:21], v[16:17], v[20:21], 0x43064b0a3eccf45f
	v_fmaak_f64 v[22:23], v[16:17], v[22:23], 0x438679ad0b7366b1
	v_add_f64_e64 v[8:9], v[10:11], -v[8:9]
	v_fmaak_f64 v[10:11], v[16:17], v[26:27], 0x425a52ba0d438c6b
	v_fmaak_f64 v[14:15], v[16:17], v[14:15], 0x436e83e3c547a488
	v_fmaak_f64 v[20:21], v[16:17], v[20:21], 0x4373e0bff4653f81
	v_fmaak_f64 v[22:23], v[16:17], v[22:23], 0xc3a59e415dde2b17
	s_delay_alu instid0(VALU_DEP_4) | instskip(NEXT) | instid1(VALU_DEP_4)
	v_fmaak_f64 v[10:11], v[16:17], v[10:11], 0xc2d08a92e6ccf175
	v_fmaak_f64 v[14:15], v[16:17], v[14:15], 0x43cb90f190f6747f
	s_delay_alu instid0(VALU_DEP_2) | instskip(SKIP_1) | instid1(VALU_DEP_3)
	v_fmaak_f64 v[10:11], v[16:17], v[10:11], 0x432a2b42a697c482
	v_fmaak_f64 v[16:17], v[16:17], v[20:21], 0x43d2779576702939
	v_div_scale_f64 v[20:21], null, v[14:15], v[14:15], v[22:23]
	v_div_scale_f64 v[48:49], vcc_lo, v[22:23], v[14:15], v[22:23]
	s_delay_alu instid0(VALU_DEP_3) | instskip(SKIP_1) | instid1(VALU_DEP_4)
	v_div_scale_f64 v[26:27], null, v[16:17], v[16:17], v[10:11]
	v_add_f64_e32 v[6:7], v[6:7], v[8:9]
	v_rcp_f64_e32 v[8:9], v[20:21]
	s_delay_alu instid0(VALU_DEP_2) | instskip(NEXT) | instid1(VALU_DEP_1)
	v_rcp_f64_e32 v[30:31], v[26:27]
	v_add_f64_e32 v[32:33], v[12:13], v[6:7]
	s_delay_alu instid0(TRANS32_DEP_2) | instskip(NEXT) | instid1(TRANS32_DEP_1)
	v_fma_f64 v[34:35], -v[20:21], v[8:9], 1.0
	v_fma_f64 v[36:37], -v[26:27], v[30:31], 1.0
	s_delay_alu instid0(VALU_DEP_3) | instskip(SKIP_1) | instid1(VALU_DEP_4)
	v_add_f64_e32 v[38:39], v[28:29], v[32:33]
	v_add_f64_e64 v[12:13], v[32:33], -v[12:13]
	v_fmac_f64_e32 v[8:9], v[8:9], v[34:35]
	v_div_scale_f64 v[34:35], null, v[2:3], v[2:3], -1.0
	v_fmac_f64_e32 v[30:31], v[30:31], v[36:37]
	v_add_f64_e64 v[36:37], v[38:39], -v[28:29]
	v_add_f64_e64 v[6:7], v[6:7], -v[12:13]
	v_fma_f64 v[40:41], -v[20:21], v[8:9], 1.0
	v_rcp_f64_e32 v[42:43], v[34:35]
	s_delay_alu instid0(VALU_DEP_4) | instskip(NEXT) | instid1(VALU_DEP_4)
	v_fma_f64 v[44:45], -v[26:27], v[30:31], 1.0
	v_add_f64_e64 v[46:47], v[38:39], -v[36:37]
	v_add_f64_e64 v[12:13], v[32:33], -v[36:37]
	s_delay_alu instid0(VALU_DEP_4) | instskip(SKIP_4) | instid1(TRANS32_DEP_1)
	v_fmac_f64_e32 v[8:9], v[8:9], v[40:41]
	v_div_scale_f64 v[40:41], s0, v[10:11], v[16:17], v[10:11]
	v_fmac_f64_e32 v[30:31], v[30:31], v[44:45]
	v_add_f64_e32 v[44:45], v[18:19], v[6:7]
	v_add_f64_e64 v[24:25], v[28:29], -v[46:47]
	v_fma_f64 v[28:29], -v[34:35], v[42:43], 1.0
	v_mul_f64_e32 v[32:33], v[48:49], v[8:9]
	v_mul_f64_e32 v[36:37], v[40:41], v[30:31]
	s_delay_alu instid0(VALU_DEP_4) | instskip(NEXT) | instid1(VALU_DEP_4)
	v_add_f64_e32 v[12:13], v[12:13], v[24:25]
	v_fmac_f64_e32 v[42:43], v[42:43], v[28:29]
	s_delay_alu instid0(VALU_DEP_4) | instskip(NEXT) | instid1(VALU_DEP_4)
	v_fma_f64 v[20:21], -v[20:21], v[32:33], v[48:49]
	v_fma_f64 v[24:25], -v[26:27], v[36:37], v[40:41]
	v_add_f64_e64 v[26:27], v[44:45], -v[18:19]
	v_add_f64_e32 v[12:13], v[44:45], v[12:13]
	v_fma_f64 v[28:29], -v[34:35], v[42:43], 1.0
	v_div_fmas_f64 v[8:9], v[20:21], v[8:9], v[32:33]
	s_mov_b32 vcc_lo, s0
	v_div_fmas_f64 v[20:21], v[24:25], v[30:31], v[36:37]
	v_add_f64_e64 v[24:25], v[44:45], -v[26:27]
	v_div_scale_f64 v[32:33], vcc_lo, -1.0, v[2:3], -1.0
	v_add_f64_e32 v[30:31], v[38:39], v[12:13]
	v_fmac_f64_e32 v[42:43], v[42:43], v[28:29]
	v_add_f64_e64 v[6:7], v[6:7], -v[26:27]
	v_div_fixup_f64 v[8:9], v[8:9], v[14:15], v[22:23]
	v_div_fixup_f64 v[10:11], v[20:21], v[16:17], v[10:11]
	v_add_f64_e64 v[16:17], v[18:19], -v[24:25]
	v_add_f64_e64 v[18:19], v[30:31], -v[38:39]
	v_mul_f64_e32 v[20:21], v[32:33], v[42:43]
	s_delay_alu instid0(VALU_DEP_4) | instskip(NEXT) | instid1(VALU_DEP_4)
	v_mul_f64_e32 v[10:11], v[2:3], v[10:11]
	v_add_f64_e32 v[6:7], v[6:7], v[16:17]
	s_delay_alu instid0(VALU_DEP_4) | instskip(NEXT) | instid1(VALU_DEP_4)
	v_add_f64_e64 v[12:13], v[12:13], -v[18:19]
	v_fma_f64 v[16:17], -v[34:35], v[20:21], v[32:33]
	v_fmaak_f64 v[18:19], v[2:3], v[2:3], 0xc02d5d2b4189822c
	s_delay_alu instid0(VALU_DEP_1) | instskip(NEXT) | instid1(VALU_DEP_4)
	v_mul_f64_e32 v[10:11], v[18:19], v[10:11]
	v_add_f64_e32 v[6:7], v[6:7], v[12:13]
	s_delay_alu instid0(VALU_DEP_4) | instskip(SKIP_1) | instid1(VALU_DEP_1)
	v_div_fmas_f64 v[12:13], v[16:17], v[42:43], v[20:21]
	v_fmaak_f64 v[16:17], v[2:3], v[2:3], 0xc0489bf66072a432
	v_mul_f64_e32 v[10:11], v[16:17], v[10:11]
	s_delay_alu instid0(VALU_DEP_4) | instskip(NEXT) | instid1(VALU_DEP_4)
	v_add_f64_e32 v[6:7], v[30:31], v[6:7]
	v_div_fixup_f64 v[12:13], v[12:13], v[2:3], -1.0
	s_delay_alu instid0(VALU_DEP_1) | instskip(NEXT) | instid1(VALU_DEP_1)
	v_fmac_f64_e32 v[12:13], v[10:11], v[6:7]
	v_mul_f64_e32 v[6:7], 0x3fe45f306dc9c883, v[12:13]
	s_delay_alu instid0(VALU_DEP_1)
	v_fmac_f64_e32 v[6:7], v[2:3], v[8:9]
.LBB7_150:
	s_or_b32 exec_lo, exec_lo, s24
.LBB7_151:
	s_delay_alu instid0(SALU_CYCLE_1)
	s_or_b32 exec_lo, exec_lo, s2
                                        ; implicit-def: $vgpr2_vgpr3
.LBB7_152:
	s_and_not1_saveexec_b32 s24, s1
	s_cbranch_execz .LBB7_162
; %bb.153:
	v_add_f64_e32 v[6:7], 0xc002d97c7f3321d2, v[2:3]
                                        ; implicit-def: $vgpr1
                                        ; implicit-def: $vgpr8_vgpr9
                                        ; implicit-def: $vgpr10_vgpr11
	s_delay_alu instid0(VALU_DEP_1) | instskip(SKIP_1) | instid1(SALU_CYCLE_1)
	v_cmp_ngt_f64_e64 s0, 0x41d00000, |v[6:7]|
	s_and_saveexec_b32 s1, s0
	s_xor_b32 s1, exec_lo, s1
	s_cbranch_execz .LBB7_155
; %bb.154:
	v_ldexp_f64 v[8:9], |v[6:7]|, 0xffffff80
	v_cmp_le_f64_e64 vcc_lo, 0x7b000000, |v[6:7]|
	v_trig_preop_f64 v[10:11], |v[6:7]|, 0
	v_and_b32_e32 v1, 0x7fffffff, v7
	v_trig_preop_f64 v[12:13], |v[6:7]|, 1
	v_trig_preop_f64 v[22:23], |v[6:7]|, 2
	s_mov_b64 s[26:27], 0x3ff921fb54442d18
	s_delay_alu instid0(VALU_DEP_3) | instskip(SKIP_1) | instid1(VALU_DEP_1)
	v_dual_mov_b32 v30, 0 :: v_dual_cndmask_b32 v9, v1, v9
	v_cndmask_b32_e32 v8, v6, v8, vcc_lo
	v_mul_f64_e32 v[14:15], v[10:11], v[8:9]
	v_mul_f64_e32 v[16:17], v[12:13], v[8:9]
	;; [unrolled: 1-line block ×3, first 2 shown]
	s_delay_alu instid0(VALU_DEP_3) | instskip(NEXT) | instid1(VALU_DEP_3)
	v_fma_f64 v[10:11], v[10:11], v[8:9], -v[14:15]
	v_fma_f64 v[12:13], v[12:13], v[8:9], -v[16:17]
	s_delay_alu instid0(VALU_DEP_3) | instskip(NEXT) | instid1(VALU_DEP_3)
	v_fma_f64 v[8:9], v[22:23], v[8:9], -v[28:29]
	v_add_f64_e32 v[18:19], v[16:17], v[10:11]
	s_delay_alu instid0(VALU_DEP_1) | instskip(SKIP_1) | instid1(VALU_DEP_2)
	v_add_f64_e64 v[20:21], v[18:19], -v[16:17]
	v_add_f64_e32 v[26:27], v[14:15], v[18:19]
	v_add_f64_e64 v[24:25], v[18:19], -v[20:21]
	v_add_f64_e64 v[10:11], v[10:11], -v[20:21]
	s_delay_alu instid0(VALU_DEP_3) | instskip(NEXT) | instid1(VALU_DEP_3)
	v_ldexp_f64 v[20:21], v[26:27], -2
	v_add_f64_e64 v[16:17], v[16:17], -v[24:25]
	v_add_f64_e32 v[24:25], v[28:29], v[12:13]
	s_delay_alu instid0(VALU_DEP_3) | instskip(NEXT) | instid1(VALU_DEP_3)
	v_cmp_neq_f64_e64 vcc_lo, 0x7ff00000, |v[20:21]|
	v_add_f64_e32 v[10:11], v[10:11], v[16:17]
	v_fract_f64_e32 v[16:17], v[20:21]
	s_delay_alu instid0(VALU_DEP_1) | instskip(NEXT) | instid1(VALU_DEP_1)
	v_ldexp_f64 v[16:17], v[16:17], 2
	v_dual_add_f64 v[14:15], v[26:27], -v[14:15] :: v_dual_cndmask_b32 v16, 0, v16, vcc_lo
	s_delay_alu instid0(VALU_DEP_1) | instskip(SKIP_1) | instid1(VALU_DEP_1)
	v_dual_add_f64 v[14:15], v[18:19], -v[14:15] :: v_dual_cndmask_b32 v17, 0, v17, vcc_lo
	v_add_f64_e32 v[18:19], v[24:25], v[10:11]
	v_add_f64_e32 v[20:21], v[14:15], v[18:19]
	v_add_f64_e64 v[32:33], v[18:19], -v[24:25]
	s_delay_alu instid0(VALU_DEP_2) | instskip(NEXT) | instid1(VALU_DEP_2)
	v_add_f64_e32 v[26:27], v[20:21], v[16:17]
	v_add_f64_e64 v[38:39], v[18:19], -v[32:33]
	v_add_f64_e64 v[10:11], v[10:11], -v[32:33]
	;; [unrolled: 1-line block ×3, first 2 shown]
	s_delay_alu instid0(VALU_DEP_4) | instskip(SKIP_1) | instid1(VALU_DEP_3)
	v_cmp_gt_f64_e32 vcc_lo, 0, v[26:27]
	v_add_f64_e64 v[26:27], v[24:25], -v[28:29]
	v_add_f64_e64 v[14:15], v[18:19], -v[14:15]
	v_cndmask_b32_e64 v31, 0, 0x40100000, vcc_lo
	s_delay_alu instid0(VALU_DEP_3) | instskip(SKIP_2) | instid1(VALU_DEP_4)
	v_add_f64_e64 v[36:37], v[24:25], -v[26:27]
	v_add_f64_e64 v[12:13], v[12:13], -v[26:27]
	;; [unrolled: 1-line block ×3, first 2 shown]
	v_add_f64_e32 v[16:17], v[16:17], v[30:31]
	s_delay_alu instid0(VALU_DEP_4) | instskip(NEXT) | instid1(VALU_DEP_3)
	v_add_f64_e64 v[26:27], v[28:29], -v[36:37]
	v_add_f64_e32 v[10:11], v[10:11], v[24:25]
	s_delay_alu instid0(VALU_DEP_3) | instskip(NEXT) | instid1(VALU_DEP_3)
	v_add_f64_e32 v[34:35], v[20:21], v[16:17]
	v_add_f64_e32 v[12:13], v[12:13], v[26:27]
	s_delay_alu instid0(VALU_DEP_2) | instskip(NEXT) | instid1(VALU_DEP_2)
	v_cvt_i32_f64_e32 v1, v[34:35]
	v_add_f64_e32 v[10:11], v[12:13], v[10:11]
	s_delay_alu instid0(VALU_DEP_2) | instskip(NEXT) | instid1(VALU_DEP_2)
	v_cvt_f64_i32_e32 v[32:33], v1
	v_add_f64_e32 v[8:9], v[8:9], v[10:11]
	s_delay_alu instid0(VALU_DEP_2) | instskip(NEXT) | instid1(VALU_DEP_2)
	v_add_f64_e64 v[16:17], v[16:17], -v[32:33]
	v_add_f64_e32 v[8:9], v[14:15], v[8:9]
	s_delay_alu instid0(VALU_DEP_2) | instskip(NEXT) | instid1(VALU_DEP_1)
	v_add_f64_e32 v[12:13], v[20:21], v[16:17]
	v_add_f64_e64 v[10:11], v[12:13], -v[16:17]
	v_cmp_le_f64_e32 vcc_lo, 0.5, v[12:13]
	s_delay_alu instid0(VALU_DEP_2) | instskip(SKIP_2) | instid1(VALU_DEP_3)
	v_add_f64_e64 v[10:11], v[20:21], -v[10:11]
	v_cndmask_b32_e64 v31, 0, 0x3ff00000, vcc_lo
	v_add_co_ci_u32_e64 v1, null, 0, v1, vcc_lo
	v_add_f64_e32 v[8:9], v[8:9], v[10:11]
	s_delay_alu instid0(VALU_DEP_3) | instskip(NEXT) | instid1(VALU_DEP_1)
	v_add_f64_e64 v[10:11], v[12:13], -v[30:31]
	v_add_f64_e32 v[12:13], v[10:11], v[8:9]
	s_delay_alu instid0(VALU_DEP_1) | instskip(SKIP_1) | instid1(VALU_DEP_2)
	v_mul_f64_e32 v[14:15], 0x3ff921fb54442d18, v[12:13]
	v_add_f64_e64 v[10:11], v[12:13], -v[10:11]
	v_fma_f64 v[16:17], v[12:13], s[26:27], -v[14:15]
	s_delay_alu instid0(VALU_DEP_2) | instskip(NEXT) | instid1(VALU_DEP_2)
	v_add_f64_e64 v[8:9], v[8:9], -v[10:11]
	v_fmamk_f64 v[10:11], v[12:13], 0x3c91a62633145c07, v[16:17]
	s_delay_alu instid0(VALU_DEP_1) | instskip(NEXT) | instid1(VALU_DEP_1)
	v_fmac_f64_e32 v[10:11], 0x3ff921fb54442d18, v[8:9]
	v_add_f64_e32 v[8:9], v[14:15], v[10:11]
	s_delay_alu instid0(VALU_DEP_1) | instskip(NEXT) | instid1(VALU_DEP_1)
	v_add_f64_e64 v[12:13], v[8:9], -v[14:15]
	v_add_f64_e64 v[10:11], v[10:11], -v[12:13]
	s_and_not1_saveexec_b32 s1, s1
	s_cbranch_execz .LBB7_157
	s_branch .LBB7_156
.LBB7_155:
	s_and_not1_saveexec_b32 s1, s1
	s_cbranch_execz .LBB7_157
.LBB7_156:
	s_mov_b64 s[26:27], 0x3fe45f306dc9c883
	s_delay_alu instid0(SALU_CYCLE_1) | instskip(SKIP_1) | instid1(VALU_DEP_1)
	v_mul_f64_e64 v[8:9], |v[6:7]|, s[26:27]
	s_mov_b64 s[26:27], 0xbff921fb54442d18
	v_rndne_f64_e32 v[12:13], v[8:9]
	s_delay_alu instid0(VALU_DEP_1) | instskip(SKIP_2) | instid1(VALU_DEP_3)
	v_fma_f64 v[8:9], v[12:13], s[26:27], |v[6:7]|
	v_mul_f64_e32 v[10:11], 0xbc91a62633145c00, v[12:13]
	v_cvt_i32_f64_e32 v1, v[12:13]
	v_fmamk_f64 v[18:19], v[12:13], 0xbc91a62633145c00, v[8:9]
	s_delay_alu instid0(VALU_DEP_3) | instskip(NEXT) | instid1(VALU_DEP_1)
	v_add_f64_e32 v[14:15], v[8:9], v[10:11]
	v_add_f64_e64 v[16:17], v[8:9], -v[14:15]
	s_delay_alu instid0(VALU_DEP_3) | instskip(NEXT) | instid1(VALU_DEP_2)
	v_add_f64_e64 v[8:9], v[14:15], -v[18:19]
	v_add_f64_e32 v[14:15], v[16:17], v[10:11]
	v_fmamk_f64 v[10:11], v[12:13], 0x3c91a62633145c00, v[10:11]
	s_delay_alu instid0(VALU_DEP_2) | instskip(NEXT) | instid1(VALU_DEP_1)
	v_add_f64_e32 v[8:9], v[8:9], v[14:15]
	v_add_f64_e64 v[8:9], v[8:9], -v[10:11]
	s_delay_alu instid0(VALU_DEP_1) | instskip(NEXT) | instid1(VALU_DEP_1)
	v_fmamk_f64 v[10:11], v[12:13], 0xb97b839a252049c0, v[8:9]
	v_add_f64_e32 v[8:9], v[18:19], v[10:11]
	s_delay_alu instid0(VALU_DEP_1) | instskip(NEXT) | instid1(VALU_DEP_1)
	v_add_f64_e64 v[14:15], v[8:9], -v[18:19]
	v_add_f64_e64 v[10:11], v[10:11], -v[14:15]
.LBB7_157:
	s_or_b32 exec_lo, exec_lo, s1
                                        ; implicit-def: $vgpr5
                                        ; implicit-def: $vgpr12_vgpr13
                                        ; implicit-def: $vgpr14_vgpr15
	s_and_saveexec_b32 s1, s0
	s_delay_alu instid0(SALU_CYCLE_1)
	s_xor_b32 s0, exec_lo, s1
	s_cbranch_execz .LBB7_159
; %bb.158:
	v_ldexp_f64 v[12:13], |v[6:7]|, 0xffffff80
	v_cmp_le_f64_e64 vcc_lo, 0x7b000000, |v[6:7]|
	v_trig_preop_f64 v[14:15], |v[6:7]|, 0
	v_and_b32_e32 v5, 0x7fffffff, v7
	v_trig_preop_f64 v[16:17], |v[6:7]|, 1
	v_trig_preop_f64 v[26:27], |v[6:7]|, 2
	s_mov_b64 s[26:27], 0x3ff921fb54442d18
	s_delay_alu instid0(VALU_DEP_3) | instskip(SKIP_1) | instid1(VALU_DEP_1)
	v_dual_mov_b32 v34, 0 :: v_dual_cndmask_b32 v13, v5, v13
	v_cndmask_b32_e32 v12, v6, v12, vcc_lo
	v_mul_f64_e32 v[18:19], v[14:15], v[12:13]
	v_mul_f64_e32 v[20:21], v[16:17], v[12:13]
	v_mul_f64_e32 v[32:33], v[26:27], v[12:13]
	s_delay_alu instid0(VALU_DEP_3) | instskip(NEXT) | instid1(VALU_DEP_3)
	v_fma_f64 v[14:15], v[14:15], v[12:13], -v[18:19]
	v_fma_f64 v[16:17], v[16:17], v[12:13], -v[20:21]
	s_delay_alu instid0(VALU_DEP_3) | instskip(NEXT) | instid1(VALU_DEP_3)
	v_fma_f64 v[12:13], v[26:27], v[12:13], -v[32:33]
	v_add_f64_e32 v[22:23], v[20:21], v[14:15]
	s_delay_alu instid0(VALU_DEP_1) | instskip(SKIP_1) | instid1(VALU_DEP_2)
	v_add_f64_e64 v[24:25], v[22:23], -v[20:21]
	v_add_f64_e32 v[30:31], v[18:19], v[22:23]
	v_add_f64_e64 v[28:29], v[22:23], -v[24:25]
	v_add_f64_e64 v[14:15], v[14:15], -v[24:25]
	s_delay_alu instid0(VALU_DEP_3) | instskip(NEXT) | instid1(VALU_DEP_3)
	v_ldexp_f64 v[24:25], v[30:31], -2
	v_add_f64_e64 v[20:21], v[20:21], -v[28:29]
	v_add_f64_e32 v[28:29], v[32:33], v[16:17]
	s_delay_alu instid0(VALU_DEP_3) | instskip(NEXT) | instid1(VALU_DEP_3)
	v_cmp_neq_f64_e64 vcc_lo, 0x7ff00000, |v[24:25]|
	v_add_f64_e32 v[14:15], v[14:15], v[20:21]
	v_fract_f64_e32 v[20:21], v[24:25]
	s_delay_alu instid0(VALU_DEP_1) | instskip(NEXT) | instid1(VALU_DEP_1)
	v_ldexp_f64 v[20:21], v[20:21], 2
	v_dual_add_f64 v[18:19], v[30:31], -v[18:19] :: v_dual_cndmask_b32 v20, 0, v20, vcc_lo
	s_delay_alu instid0(VALU_DEP_1) | instskip(SKIP_1) | instid1(VALU_DEP_1)
	v_dual_add_f64 v[18:19], v[22:23], -v[18:19] :: v_dual_cndmask_b32 v21, 0, v21, vcc_lo
	v_add_f64_e32 v[22:23], v[28:29], v[14:15]
	v_add_f64_e32 v[24:25], v[18:19], v[22:23]
	v_add_f64_e64 v[36:37], v[22:23], -v[28:29]
	s_delay_alu instid0(VALU_DEP_2) | instskip(NEXT) | instid1(VALU_DEP_2)
	v_add_f64_e32 v[30:31], v[24:25], v[20:21]
	v_add_f64_e64 v[42:43], v[22:23], -v[36:37]
	v_add_f64_e64 v[14:15], v[14:15], -v[36:37]
	;; [unrolled: 1-line block ×3, first 2 shown]
	s_delay_alu instid0(VALU_DEP_4) | instskip(SKIP_1) | instid1(VALU_DEP_3)
	v_cmp_gt_f64_e32 vcc_lo, 0, v[30:31]
	v_add_f64_e64 v[30:31], v[28:29], -v[32:33]
	v_add_f64_e64 v[18:19], v[22:23], -v[18:19]
	v_cndmask_b32_e64 v35, 0, 0x40100000, vcc_lo
	s_delay_alu instid0(VALU_DEP_3) | instskip(SKIP_2) | instid1(VALU_DEP_4)
	v_add_f64_e64 v[40:41], v[28:29], -v[30:31]
	v_add_f64_e64 v[16:17], v[16:17], -v[30:31]
	v_add_f64_e64 v[28:29], v[28:29], -v[42:43]
	v_add_f64_e32 v[20:21], v[20:21], v[34:35]
	s_delay_alu instid0(VALU_DEP_4) | instskip(NEXT) | instid1(VALU_DEP_3)
	v_add_f64_e64 v[30:31], v[32:33], -v[40:41]
	v_add_f64_e32 v[14:15], v[14:15], v[28:29]
	s_delay_alu instid0(VALU_DEP_3) | instskip(NEXT) | instid1(VALU_DEP_3)
	v_add_f64_e32 v[38:39], v[24:25], v[20:21]
	v_add_f64_e32 v[16:17], v[16:17], v[30:31]
	s_delay_alu instid0(VALU_DEP_2) | instskip(NEXT) | instid1(VALU_DEP_2)
	v_cvt_i32_f64_e32 v5, v[38:39]
	v_add_f64_e32 v[14:15], v[16:17], v[14:15]
	s_delay_alu instid0(VALU_DEP_2) | instskip(NEXT) | instid1(VALU_DEP_2)
	v_cvt_f64_i32_e32 v[36:37], v5
	v_add_f64_e32 v[12:13], v[12:13], v[14:15]
	s_delay_alu instid0(VALU_DEP_2) | instskip(NEXT) | instid1(VALU_DEP_2)
	v_add_f64_e64 v[20:21], v[20:21], -v[36:37]
	v_add_f64_e32 v[12:13], v[18:19], v[12:13]
	s_delay_alu instid0(VALU_DEP_2) | instskip(NEXT) | instid1(VALU_DEP_1)
	v_add_f64_e32 v[16:17], v[24:25], v[20:21]
	v_add_f64_e64 v[14:15], v[16:17], -v[20:21]
	v_cmp_le_f64_e32 vcc_lo, 0.5, v[16:17]
	s_delay_alu instid0(VALU_DEP_2) | instskip(SKIP_2) | instid1(VALU_DEP_3)
	v_add_f64_e64 v[14:15], v[24:25], -v[14:15]
	v_cndmask_b32_e64 v35, 0, 0x3ff00000, vcc_lo
	v_add_co_ci_u32_e64 v5, null, 0, v5, vcc_lo
	v_add_f64_e32 v[12:13], v[12:13], v[14:15]
	s_delay_alu instid0(VALU_DEP_3) | instskip(NEXT) | instid1(VALU_DEP_1)
	v_add_f64_e64 v[14:15], v[16:17], -v[34:35]
	v_add_f64_e32 v[16:17], v[14:15], v[12:13]
	s_delay_alu instid0(VALU_DEP_1) | instskip(SKIP_1) | instid1(VALU_DEP_2)
	v_mul_f64_e32 v[18:19], 0x3ff921fb54442d18, v[16:17]
	v_add_f64_e64 v[14:15], v[16:17], -v[14:15]
	v_fma_f64 v[20:21], v[16:17], s[26:27], -v[18:19]
	s_delay_alu instid0(VALU_DEP_2) | instskip(NEXT) | instid1(VALU_DEP_2)
	v_add_f64_e64 v[12:13], v[12:13], -v[14:15]
	v_fmamk_f64 v[14:15], v[16:17], 0x3c91a62633145c07, v[20:21]
	s_delay_alu instid0(VALU_DEP_1) | instskip(NEXT) | instid1(VALU_DEP_1)
	v_fmac_f64_e32 v[14:15], 0x3ff921fb54442d18, v[12:13]
	v_add_f64_e32 v[12:13], v[18:19], v[14:15]
	s_delay_alu instid0(VALU_DEP_1) | instskip(NEXT) | instid1(VALU_DEP_1)
	v_add_f64_e64 v[16:17], v[12:13], -v[18:19]
	v_add_f64_e64 v[14:15], v[14:15], -v[16:17]
	s_and_not1_saveexec_b32 s0, s0
	s_cbranch_execnz .LBB7_160
	s_branch .LBB7_161
.LBB7_159:
	s_and_not1_saveexec_b32 s0, s0
	s_cbranch_execz .LBB7_161
.LBB7_160:
	s_mov_b64 s[26:27], 0x3fe45f306dc9c883
	s_delay_alu instid0(SALU_CYCLE_1) | instskip(SKIP_1) | instid1(VALU_DEP_1)
	v_mul_f64_e64 v[12:13], |v[6:7]|, s[26:27]
	s_mov_b64 s[26:27], 0xbff921fb54442d18
	v_rndne_f64_e32 v[16:17], v[12:13]
	s_delay_alu instid0(VALU_DEP_1) | instskip(SKIP_2) | instid1(VALU_DEP_3)
	v_fma_f64 v[12:13], v[16:17], s[26:27], |v[6:7]|
	v_mul_f64_e32 v[14:15], 0xbc91a62633145c00, v[16:17]
	v_cvt_i32_f64_e32 v5, v[16:17]
	v_fmamk_f64 v[22:23], v[16:17], 0xbc91a62633145c00, v[12:13]
	s_delay_alu instid0(VALU_DEP_3) | instskip(NEXT) | instid1(VALU_DEP_1)
	v_add_f64_e32 v[18:19], v[12:13], v[14:15]
	v_add_f64_e64 v[20:21], v[12:13], -v[18:19]
	s_delay_alu instid0(VALU_DEP_3) | instskip(NEXT) | instid1(VALU_DEP_2)
	v_add_f64_e64 v[12:13], v[18:19], -v[22:23]
	v_add_f64_e32 v[18:19], v[20:21], v[14:15]
	v_fmamk_f64 v[14:15], v[16:17], 0x3c91a62633145c00, v[14:15]
	s_delay_alu instid0(VALU_DEP_2) | instskip(NEXT) | instid1(VALU_DEP_1)
	v_add_f64_e32 v[12:13], v[12:13], v[18:19]
	v_add_f64_e64 v[12:13], v[12:13], -v[14:15]
	s_delay_alu instid0(VALU_DEP_1) | instskip(NEXT) | instid1(VALU_DEP_1)
	v_fmamk_f64 v[14:15], v[16:17], 0xb97b839a252049c0, v[12:13]
	v_add_f64_e32 v[12:13], v[22:23], v[14:15]
	s_delay_alu instid0(VALU_DEP_1) | instskip(NEXT) | instid1(VALU_DEP_1)
	v_add_f64_e64 v[18:19], v[12:13], -v[22:23]
	v_add_f64_e64 v[14:15], v[14:15], -v[18:19]
.LBB7_161:
	s_or_b32 exec_lo, exec_lo, s0
	v_div_scale_f64 v[16:17], null, v[2:3], v[2:3], 0x40140000
	v_div_scale_f64 v[22:23], vcc_lo, 0x40140000, v[2:3], 0x40140000
	v_cmp_gt_f64_e64 s0, 0x10000000, v[2:3]
	v_mov_b64_e32 v[42:43], 0xbe5ae600b42fdfa7
	v_mul_f64_e32 v[60:61], 0.5, v[10:11]
	v_mov_b64_e32 v[56:57], 0xbf2a01a019e83e5c
	v_mov_b64_e32 v[58:59], 0xbe927e4fa17f65f6
	;; [unrolled: 1-line block ×4, first 2 shown]
	v_rcp_f64_e32 v[18:19], v[16:17]
	v_cndmask_b32_e64 v50, 0, 0x100, s0
	s_delay_alu instid0(TRANS32_DEP_1) | instskip(NEXT) | instid1(VALU_DEP_1)
	v_fma_f64 v[20:21], -v[16:17], v[18:19], 1.0
	v_fmac_f64_e32 v[18:19], v[18:19], v[20:21]
	s_delay_alu instid0(VALU_DEP_1) | instskip(NEXT) | instid1(VALU_DEP_1)
	v_fma_f64 v[20:21], -v[16:17], v[18:19], 1.0
	v_fmac_f64_e32 v[18:19], v[18:19], v[20:21]
	s_delay_alu instid0(VALU_DEP_1) | instskip(NEXT) | instid1(VALU_DEP_1)
	v_mul_f64_e32 v[20:21], v[22:23], v[18:19]
	v_fma_f64 v[16:17], -v[16:17], v[20:21], v[22:23]
	s_delay_alu instid0(VALU_DEP_1) | instskip(NEXT) | instid1(VALU_DEP_1)
	v_div_fmas_f64 v[16:17], v[16:17], v[18:19], v[20:21]
	v_div_fixup_f64 v[16:17], v[16:17], v[2:3], 0x40140000
	v_ldexp_f64 v[2:3], v[2:3], v50
	v_mul_f64_e32 v[34:35], v[8:9], v[8:9]
	v_mul_f64_e32 v[36:37], v[12:13], v[12:13]
	s_delay_alu instid0(VALU_DEP_4) | instskip(NEXT) | instid1(VALU_DEP_3)
	v_mul_f64_e32 v[18:19], v[16:17], v[16:17]
	v_mul_f64_e32 v[46:47], 0.5, v[34:35]
	v_mul_f64_e64 v[62:63], v[8:9], -v[34:35]
	v_fmamk_f64 v[44:45], v[34:35], 0x3de5e0b2f9a43bb8, v[42:43]
	v_fmac_f64_e32 v[42:43], 0x3de5e0b2f9a43bb8, v[36:37]
	v_mul_f64_e64 v[72:73], v[12:13], -v[36:37]
	s_delay_alu instid0(VALU_DEP_3) | instskip(NEXT) | instid1(VALU_DEP_1)
	v_fmaak_f64 v[44:45], v[34:35], v[44:45], 0x3ec71de3796cde01
	v_fmaak_f64 v[44:45], v[34:35], v[44:45], 0xbf2a01a019e83e5c
	s_delay_alu instid0(VALU_DEP_1)
	v_fmaak_f64 v[44:45], v[34:35], v[44:45], 0x3f81111111110bb3
	v_fmaak_f64 v[20:21], 0, v[18:19], 0x3f42b89b13443d69
	;; [unrolled: 1-line block ×5, first 2 shown]
	v_add_f64_e64 v[50:51], -v[46:47], 1.0
	v_fmac_f64_e32 v[60:61], v[62:63], v[44:45]
	v_fmaak_f64 v[20:21], v[18:19], v[20:21], 0x3fb19fdd5948aa83
	v_fmaak_f64 v[22:23], v[18:19], v[22:23], 0x3fb2b948a3fec4b6
	;; [unrolled: 1-line block ×4, first 2 shown]
	s_delay_alu instid0(VALU_DEP_4) | instskip(NEXT) | instid1(VALU_DEP_4)
	v_fmaak_f64 v[20:21], v[18:19], v[20:21], 0x3ff1aea9b850eed6
	v_fmaak_f64 v[22:23], v[18:19], v[22:23], 0x3ff208fec21596d6
	s_delay_alu instid0(VALU_DEP_4) | instskip(NEXT) | instid1(VALU_DEP_4)
	v_fmaak_f64 v[24:25], v[18:19], v[24:25], 0x4052f4b99acf1c67
	v_fmaak_f64 v[26:27], v[18:19], v[26:27], 0x40b37a691bfdfe81
	;; [unrolled: 3-line block ×8, first 2 shown]
	v_add_f64_e64 v[64:65], -v[50:51], 1.0
	v_fma_f64 v[60:61], v[34:35], v[60:61], -v[10:11]
	v_fma_f64 v[20:21], v[18:19], v[20:21], 1.0
	v_fma_f64 v[22:23], v[18:19], v[22:23], 1.0
	v_fmaak_f64 v[24:25], v[18:19], v[24:25], 0x406a760a4c54bb0b
	v_fmaak_f64 v[26:27], v[18:19], v[26:27], 0x4075017f6ae75997
	s_delay_alu instid0(VALU_DEP_2) | instskip(NEXT) | instid1(VALU_DEP_1)
	v_fmaak_f64 v[18:19], v[18:19], v[24:25], 0x403934ff4d159eb5
	v_div_scale_f64 v[28:29], null, v[26:27], v[26:27], v[18:19]
	v_add_f64_e64 v[44:45], v[64:65], -v[46:47]
	v_div_scale_f64 v[24:25], null, v[20:21], v[20:21], v[22:23]
	v_div_scale_f64 v[66:67], vcc_lo, v[22:23], v[20:21], v[22:23]
	s_delay_alu instid0(VALU_DEP_4) | instskip(NEXT) | instid1(VALU_DEP_2)
	v_rcp_f64_e32 v[32:33], v[28:29]
	v_rcp_f64_e32 v[30:31], v[24:25]
	s_delay_alu instid0(TRANS32_DEP_2) | instskip(NEXT) | instid1(TRANS32_DEP_1)
	v_fma_f64 v[40:41], -v[28:29], v[32:33], 1.0
	v_fma_f64 v[38:39], -v[24:25], v[30:31], 1.0
	s_delay_alu instid0(VALU_DEP_2) | instskip(SKIP_1) | instid1(VALU_DEP_3)
	v_fmac_f64_e32 v[32:33], v[32:33], v[40:41]
	v_mov_b64_e32 v[40:41], 0x3e21eeb69037ab78
	v_fmac_f64_e32 v[30:31], v[30:31], v[38:39]
	v_mov_b64_e32 v[38:39], 0x3ec71de3796cde01
	s_delay_alu instid0(VALU_DEP_1) | instskip(NEXT) | instid1(VALU_DEP_4)
	v_fmac_f64_e32 v[38:39], v[36:37], v[42:43]
	v_fmamk_f64 v[42:43], v[34:35], 0xbda907db46cc5e42, v[40:41]
	v_fmac_f64_e32 v[40:41], 0xbda907db46cc5e42, v[36:37]
	v_fma_f64 v[54:55], -v[28:29], v[32:33], 1.0
	s_delay_alu instid0(VALU_DEP_3) | instskip(NEXT) | instid1(VALU_DEP_1)
	v_fmaak_f64 v[42:43], v[34:35], v[42:43], 0xbe927e4fa17f65f6
	v_fmaak_f64 v[42:43], v[34:35], v[42:43], 0x3efa01a019f4ec90
	s_delay_alu instid0(VALU_DEP_1)
	v_fmaak_f64 v[42:43], v[34:35], v[42:43], 0xbf56c16c16c16967
	v_fma_f64 v[52:53], -v[24:25], v[30:31], 1.0
	v_fmac_f64_e32 v[56:57], v[36:37], v[38:39]
	v_fmac_f64_e32 v[58:59], v[36:37], v[40:41]
	v_rsq_f64_e32 v[40:41], v[2:3]
	v_fmac_f64_e32 v[32:33], v[32:33], v[54:55]
	v_mov_b64_e32 v[54:55], 0x3f81111111110bb3
	v_fmac_f64_e32 v[30:31], v[30:31], v[52:53]
	v_div_scale_f64 v[52:53], s1, v[18:19], v[26:27], v[18:19]
	s_delay_alu instid0(VALU_DEP_3) | instskip(SKIP_1) | instid1(VALU_DEP_4)
	v_fmac_f64_e32 v[54:55], v[36:37], v[56:57]
	v_fmac_f64_e32 v[68:69], v[36:37], v[58:59]
	v_mul_f64_e32 v[46:47], v[66:67], v[30:31]
	s_delay_alu instid0(VALU_DEP_4) | instskip(NEXT) | instid1(VALU_DEP_3)
	v_mul_f64_e32 v[64:65], v[52:53], v[32:33]
	v_fmac_f64_e32 v[74:75], v[36:37], v[68:69]
	s_delay_alu instid0(VALU_DEP_3) | instskip(NEXT) | instid1(VALU_DEP_3)
	v_fma_f64 v[24:25], -v[24:25], v[46:47], v[66:67]
	v_fma_f64 v[28:29], -v[28:29], v[64:65], v[52:53]
	v_mul_f64_e32 v[66:67], v[36:37], v[36:37]
	s_delay_alu instid0(VALU_DEP_3)
	v_div_fmas_f64 v[24:25], v[24:25], v[30:31], v[46:47]
	s_mov_b32 vcc_lo, s1
	v_cmp_class_f64_e64 s1, v[6:7], 0x1f8
	v_and_b32_e32 v6, 1, v5
	v_div_fmas_f64 v[28:29], v[28:29], v[32:33], v[64:65]
	v_dual_mul_f64 v[70:71], 0.5, v[14:15] :: v_dual_lshlrev_b32 v5, 30, v5
	v_fmac_f64_e32 v[60:61], 0xbfc5555555555555, v[62:63]
	s_delay_alu instid0(VALU_DEP_4) | instskip(SKIP_3) | instid1(TRANS32_DEP_1)
	v_cmp_eq_u32_e64 s2, 0, v6
	v_mul_f64_e32 v[48:49], 0.5, v[36:37]
	v_div_fixup_f64 v[18:19], v[28:29], v[26:27], v[18:19]
	v_dual_lshlrev_b32 v1, 30, v1 :: v_dual_bitop2_b32 v26, 1, v1 bitop3:0x40
	v_mul_f64_e32 v[58:59], v[2:3], v[40:41]
	v_mul_f64_e32 v[40:41], 0.5, v[40:41]
	v_add_f64_e64 v[38:39], -v[48:49], 1.0
	v_fmac_f64_e32 v[70:71], v[72:73], v[54:55]
	v_xor_b32_e32 v1, v1, v7
	v_fma_f64 v[10:11], v[8:9], -v[10:11], v[44:45]
	v_mov_b64_e32 v[44:45], 0x3fa5555555555555
	v_mul_f64_e32 v[54:55], v[34:35], v[34:35]
	v_fmaak_f64 v[34:35], v[34:35], v[42:43], 0x3fa5555555555555
	v_add_f64_e64 v[8:9], v[8:9], -v[60:61]
	v_cmp_eq_u32_e32 vcc_lo, 0, v26
	v_fmac_f64_e32 v[44:45], v[36:37], v[74:75]
	v_mul_f64_e32 v[16:17], v[16:17], v[18:19]
	v_div_fixup_f64 v[18:19], v[24:25], v[20:21], v[22:23]
	v_add_f64_e64 v[56:57], -v[38:39], 1.0
	v_fma_f64 v[52:53], v[36:37], v[70:71], -v[14:15]
	v_fmac_f64_e32 v[10:11], v[54:55], v[34:35]
	s_delay_alu instid0(VALU_DEP_3) | instskip(SKIP_1) | instid1(VALU_DEP_4)
	v_add_f64_e64 v[48:49], v[56:57], -v[48:49]
	v_fma_f64 v[56:57], -v[40:41], v[58:59], 0.5
	v_fmac_f64_e32 v[52:53], 0xbfc5555555555555, v[72:73]
	s_delay_alu instid0(VALU_DEP_4) | instskip(NEXT) | instid1(VALU_DEP_4)
	v_add_f64_e32 v[10:11], v[50:51], v[10:11]
	v_fma_f64 v[14:15], v[12:13], -v[14:15], v[48:49]
	s_delay_alu instid0(VALU_DEP_4)
	v_fmac_f64_e32 v[58:59], v[58:59], v[56:57]
	v_fmac_f64_e32 v[40:41], v[40:41], v[56:57]
	v_add_f64_e64 v[12:13], v[12:13], -v[52:53]
	v_cndmask_b32_e32 v8, v10, v8, vcc_lo
	v_fmac_f64_e32 v[14:15], v[66:67], v[44:45]
	v_fma_f64 v[30:31], -v[58:59], v[58:59], v[2:3]
	s_delay_alu instid0(VALU_DEP_4) | instskip(NEXT) | instid1(VALU_DEP_3)
	v_xor_b32_e32 v6, 0x80000000, v13
	v_add_f64_e32 v[14:15], v[38:39], v[14:15]
	s_delay_alu instid0(VALU_DEP_3) | instskip(NEXT) | instid1(VALU_DEP_2)
	v_fmac_f64_e32 v[58:59], v[30:31], v[40:41]
	v_dual_cndmask_b32 v6, v6, v15, s2 :: v_dual_cndmask_b32 v10, v12, v14, s2
	s_delay_alu instid0(VALU_DEP_2) | instskip(NEXT) | instid1(VALU_DEP_2)
	v_fma_f64 v[12:13], -v[58:59], v[58:59], v[2:3]
	v_bitop3_b32 v5, v6, v5, 0x80000000 bitop3:0x78
	s_delay_alu instid0(VALU_DEP_3) | instskip(NEXT) | instid1(VALU_DEP_2)
	v_dual_cndmask_b32 v14, 0, v10, s1 :: v_dual_cndmask_b32 v6, 0, v8, s1
	v_cndmask_b32_e64 v15, 0x7ff80000, v5, s1
	v_cndmask_b32_e32 v5, v11, v9, vcc_lo
	v_cmp_class_f64_e64 vcc_lo, v[2:3], 0x260
	s_delay_alu instid0(VALU_DEP_3) | instskip(NEXT) | instid1(VALU_DEP_3)
	v_mul_f64_e32 v[14:15], v[16:17], v[14:15]
	v_bitop3_b32 v1, v5, v1, 0x80000000 bitop3:0x78
	s_delay_alu instid0(VALU_DEP_1) | instskip(SKIP_2) | instid1(VALU_DEP_3)
	v_cndmask_b32_e64 v7, 0x7ff80000, v1, s1
	v_cndmask_b32_e64 v1, 0, 0xffffff80, s0
	v_fmac_f64_e32 v[58:59], v[12:13], v[40:41]
	v_fmac_f64_e32 v[14:15], v[18:19], v[6:7]
	s_delay_alu instid0(VALU_DEP_2) | instskip(NEXT) | instid1(VALU_DEP_2)
	v_ldexp_f64 v[6:7], v[58:59], v1
	v_mul_f64_e32 v[8:9], 0x3fe9884533d43651, v[14:15]
	s_delay_alu instid0(VALU_DEP_2) | instskip(NEXT) | instid1(VALU_DEP_1)
	v_dual_cndmask_b32 v3, v7, v3 :: v_dual_cndmask_b32 v2, v6, v2
	v_div_scale_f64 v[6:7], null, v[2:3], v[2:3], v[8:9]
	s_delay_alu instid0(VALU_DEP_1) | instskip(SKIP_1) | instid1(TRANS32_DEP_1)
	v_rcp_f64_e32 v[10:11], v[6:7]
	v_nop
	v_fma_f64 v[12:13], -v[6:7], v[10:11], 1.0
	s_delay_alu instid0(VALU_DEP_1) | instskip(NEXT) | instid1(VALU_DEP_1)
	v_fmac_f64_e32 v[10:11], v[10:11], v[12:13]
	v_fma_f64 v[12:13], -v[6:7], v[10:11], 1.0
	s_delay_alu instid0(VALU_DEP_1) | instskip(SKIP_1) | instid1(VALU_DEP_1)
	v_fmac_f64_e32 v[10:11], v[10:11], v[12:13]
	v_div_scale_f64 v[12:13], vcc_lo, v[8:9], v[2:3], v[8:9]
	v_mul_f64_e32 v[14:15], v[12:13], v[10:11]
	s_delay_alu instid0(VALU_DEP_1) | instskip(NEXT) | instid1(VALU_DEP_1)
	v_fma_f64 v[6:7], -v[6:7], v[14:15], v[12:13]
	v_div_fmas_f64 v[6:7], v[6:7], v[10:11], v[14:15]
	s_delay_alu instid0(VALU_DEP_1)
	v_div_fixup_f64 v[6:7], v[6:7], v[2:3], v[8:9]
.LBB7_162:
	s_or_b32 exec_lo, exec_lo, s24
	v_add_nc_u32_e32 v4, 0x80, v4
	global_store_b64 v0, v[6:7], s[4:5]
	s_wait_xcnt 0x0
	s_or_b32 exec_lo, exec_lo, s9
	s_delay_alu instid0(SALU_CYCLE_1)
	s_mov_b32 s9, exec_lo
	v_cmpx_gt_i32_e64 s34, v4
	s_cbranch_execnz .LBB7_15
.LBB7_163:
	s_or_b32 exec_lo, exec_lo, s9
	s_delay_alu instid0(SALU_CYCLE_1)
	s_mov_b32 s9, exec_lo
	v_cmpx_gt_i32_e64 s34, v4
	s_cbranch_execz .LBB7_195
.LBB7_164:
	s_and_not1_b32 vcc_lo, exec_lo, s30
	s_cbranch_vccnz .LBB7_169
; %bb.165:
	s_and_not1_b32 vcc_lo, exec_lo, s36
	s_cbranch_vccnz .LBB7_170
; %bb.166:
	s_add_co_i32 s1, s35, 1
	s_cmp_eq_u32 s29, 2
	s_cbranch_scc1 .LBB7_198
; %bb.167:
	v_dual_mov_b32 v0, 0 :: v_dual_mov_b32 v1, 0
	v_mov_b32_e32 v2, v4
	s_and_b32 s0, s1, 28
	s_mov_b32 s2, 0
	s_mov_b64 s[24:25], s[16:17]
	s_mov_b64 s[26:27], s[22:23]
.LBB7_168:                              ; =>This Inner Loop Header: Depth=1
	s_clause 0x1
	s_load_b256 s[40:47], s[24:25], 0x4
	s_load_b128 s[56:59], s[24:25], 0x24
	s_load_b256 s[48:55], s[26:27], 0x0
	s_add_co_i32 s2, s2, 4
	s_wait_xcnt 0x0
	s_add_nc_u64 s[24:25], s[24:25], 48
	s_cmp_eq_u32 s0, s2
	s_add_nc_u64 s[26:27], s[26:27], 32
	s_wait_kmcnt 0x0
	v_mul_hi_u32 v3, s41, v2
	s_delay_alu instid0(VALU_DEP_1) | instskip(NEXT) | instid1(VALU_DEP_1)
	v_add_nc_u32_e32 v3, v2, v3
	v_lshrrev_b32_e32 v3, s42, v3
	s_delay_alu instid0(VALU_DEP_1) | instskip(NEXT) | instid1(VALU_DEP_1)
	v_mul_hi_u32 v5, s44, v3
	v_add_nc_u32_e32 v5, v3, v5
	s_delay_alu instid0(VALU_DEP_1) | instskip(NEXT) | instid1(VALU_DEP_1)
	v_lshrrev_b32_e32 v5, s45, v5
	v_mul_hi_u32 v6, s47, v5
	s_delay_alu instid0(VALU_DEP_1) | instskip(SKIP_1) | instid1(VALU_DEP_1)
	v_add_nc_u32_e32 v6, v5, v6
	v_mul_lo_u32 v7, v3, s40
	v_sub_nc_u32_e32 v2, v2, v7
	v_mul_lo_u32 v7, v5, s43
	s_delay_alu instid0(VALU_DEP_4) | instskip(NEXT) | instid1(VALU_DEP_3)
	v_lshrrev_b32_e32 v6, s56, v6
	v_mad_u32 v1, v2, s49, v1
	v_mad_u32 v0, v2, s48, v0
	s_delay_alu instid0(VALU_DEP_4) | instskip(NEXT) | instid1(VALU_DEP_4)
	v_sub_nc_u32_e32 v2, v3, v7
	v_mul_hi_u32 v8, s58, v6
	v_mul_lo_u32 v3, v6, s46
	s_delay_alu instid0(VALU_DEP_3) | instskip(SKIP_1) | instid1(VALU_DEP_3)
	v_mad_u32 v1, v2, s51, v1
	v_mad_u32 v0, v2, s50, v0
	v_dual_add_nc_u32 v7, v6, v8 :: v_dual_sub_nc_u32 v3, v5, v3
	s_delay_alu instid0(VALU_DEP_1) | instskip(NEXT) | instid1(VALU_DEP_2)
	v_lshrrev_b32_e32 v2, s59, v7
	v_mad_u32 v1, v3, s53, v1
	s_delay_alu instid0(VALU_DEP_4) | instskip(NEXT) | instid1(VALU_DEP_3)
	v_mad_u32 v0, v3, s52, v0
	v_mul_lo_u32 v5, v2, s57
	s_delay_alu instid0(VALU_DEP_1) | instskip(NEXT) | instid1(VALU_DEP_1)
	v_sub_nc_u32_e32 v3, v6, v5
	v_mad_u32 v1, v3, s55, v1
	s_delay_alu instid0(VALU_DEP_4)
	v_mad_u32 v0, v3, s54, v0
	s_cbranch_scc0 .LBB7_168
	s_branch .LBB7_199
.LBB7_169:
                                        ; implicit-def: $vgpr1
	s_branch .LBB7_203
.LBB7_170:
	v_dual_mov_b32 v1, 0 :: v_dual_mov_b32 v0, 0
	s_branch .LBB7_202
.LBB7_171:
	v_mov_b64_e32 v[0:1], 0
	v_mov_b32_e32 v2, v4
	s_mov_b32 s0, 0
.LBB7_172:
	s_and_b32 s2, s1, 3
	s_mov_b32 s1, 0
	s_cmp_eq_u32 s2, 0
	s_cbranch_scc1 .LBB7_175
; %bb.173:
	s_lshl_b32 s24, s0, 3
	s_mov_b32 s25, s1
	s_mul_u64 s[26:27], s[0:1], 12
	s_add_nc_u64 s[24:25], s[16:17], s[24:25]
	s_delay_alu instid0(SALU_CYCLE_1)
	s_add_nc_u64 s[0:1], s[24:25], 0xc4
	s_add_nc_u64 s[24:25], s[16:17], s[26:27]
.LBB7_174:                              ; =>This Inner Loop Header: Depth=1
	s_load_b96 s[40:42], s[24:25], 0x4
	s_load_b64 s[26:27], s[0:1], 0x0
	s_add_co_i32 s2, s2, -1
	s_wait_xcnt 0x0
	s_add_nc_u64 s[24:25], s[24:25], 12
	s_cmp_lg_u32 s2, 0
	s_add_nc_u64 s[0:1], s[0:1], 8
	s_wait_kmcnt 0x0
	v_mul_hi_u32 v3, s41, v2
	s_delay_alu instid0(VALU_DEP_1) | instskip(NEXT) | instid1(VALU_DEP_1)
	v_add_nc_u32_e32 v3, v2, v3
	v_lshrrev_b32_e32 v3, s42, v3
	s_delay_alu instid0(VALU_DEP_1) | instskip(NEXT) | instid1(VALU_DEP_1)
	v_mul_lo_u32 v5, v3, s40
	v_sub_nc_u32_e32 v2, v2, v5
	s_delay_alu instid0(VALU_DEP_1)
	v_mad_u32 v1, v2, s27, v1
	v_mad_u32 v0, v2, s26, v0
	v_mov_b32_e32 v2, v3
	s_cbranch_scc1 .LBB7_174
.LBB7_175:
	s_cbranch_execnz .LBB7_178
.LBB7_176:
	v_mov_b32_e32 v5, 0
	s_and_not1_b32 vcc_lo, exec_lo, s33
	s_delay_alu instid0(VALU_DEP_1) | instskip(NEXT) | instid1(VALU_DEP_1)
	v_mul_u64_e32 v[0:1], s[18:19], v[4:5]
	v_add_nc_u32_e32 v0, v4, v1
	s_delay_alu instid0(VALU_DEP_1) | instskip(NEXT) | instid1(VALU_DEP_1)
	v_lshrrev_b32_e32 v2, s10, v0
	v_mul_lo_u32 v0, v2, s8
	s_delay_alu instid0(VALU_DEP_1) | instskip(NEXT) | instid1(VALU_DEP_1)
	v_sub_nc_u32_e32 v0, v4, v0
	v_mul_lo_u32 v1, v0, s13
	v_mul_lo_u32 v0, v0, s12
	s_cbranch_vccnz .LBB7_178
; %bb.177:
	v_mov_b32_e32 v3, v5
	s_delay_alu instid0(VALU_DEP_1) | instskip(NEXT) | instid1(VALU_DEP_1)
	v_mul_u64_e32 v[6:7], s[20:21], v[2:3]
	v_add_nc_u32_e32 v3, v2, v7
	s_delay_alu instid0(VALU_DEP_1) | instskip(NEXT) | instid1(VALU_DEP_1)
	v_lshrrev_b32_e32 v3, s3, v3
	v_mul_lo_u32 v3, v3, s11
	s_delay_alu instid0(VALU_DEP_1) | instskip(NEXT) | instid1(VALU_DEP_1)
	v_sub_nc_u32_e32 v2, v2, v3
	v_mad_u32 v0, v2, s14, v0
	v_mad_u32 v1, v2, s15, v1
.LBB7_178:
	global_load_b64 v[2:3], v1, s[6:7]
                                        ; implicit-def: $vgpr6_vgpr7
	s_mov_b32 s0, exec_lo
	s_wait_loadcnt 0x0
	v_cmpx_ge_f64_e32 0x40140000, v[2:3]
	s_xor_b32 s1, exec_lo, s0
	s_cbranch_execz .LBB7_184
; %bb.179:
	v_mov_b64_e32 v[6:7], 0xfff0000000000000
	s_mov_b32 s2, exec_lo
	v_cmpx_neq_f64_e32 0, v[2:3]
	s_cbranch_execz .LBB7_183
; %bb.180:
	v_mov_b64_e32 v[6:7], 0x7ff8000000000000
	s_mov_b32 s24, exec_lo
	v_cmpx_nge_f64_e32 0, v[2:3]
	s_cbranch_execz .LBB7_182
; %bb.181:
	v_frexp_mant_f64_e32 v[6:7], v[2:3]
	s_mov_b64 s[26:27], 0x3fe5555555555555
	s_delay_alu instid0(VALU_DEP_1) | instid1(SALU_CYCLE_1)
	v_cmp_gt_f64_e32 vcc_lo, s[26:27], v[6:7]
	s_mov_b64 s[26:27], 0x3fc3ab76bf559e2b
	v_cndmask_b32_e64 v1, 0, 1, vcc_lo
	s_delay_alu instid0(VALU_DEP_1) | instskip(SKIP_1) | instid1(VALU_DEP_2)
	v_ldexp_f64 v[6:7], v[6:7], v1
	v_frexp_exp_i32_f64_e32 v1, v[2:3]
	v_add_f64_e32 v[8:9], 1.0, v[6:7]
	v_add_f64_e32 v[14:15], -1.0, v[6:7]
	s_delay_alu instid0(VALU_DEP_3) | instskip(NEXT) | instid1(VALU_DEP_3)
	v_subrev_co_ci_u32_e64 v1, null, 0, v1, vcc_lo
	v_rcp_f64_e32 v[10:11], v[8:9]
	v_add_f64_e32 v[16:17], -1.0, v[8:9]
	s_delay_alu instid0(VALU_DEP_1) | instskip(NEXT) | instid1(TRANS32_DEP_1)
	v_add_f64_e64 v[6:7], v[6:7], -v[16:17]
	v_fma_f64 v[12:13], -v[8:9], v[10:11], 1.0
	s_delay_alu instid0(VALU_DEP_1) | instskip(NEXT) | instid1(VALU_DEP_1)
	v_fmac_f64_e32 v[10:11], v[12:13], v[10:11]
	v_fma_f64 v[12:13], -v[8:9], v[10:11], 1.0
	s_delay_alu instid0(VALU_DEP_1) | instskip(NEXT) | instid1(VALU_DEP_1)
	v_fmac_f64_e32 v[10:11], v[12:13], v[10:11]
	v_mul_f64_e32 v[12:13], v[14:15], v[10:11]
	s_delay_alu instid0(VALU_DEP_1) | instskip(NEXT) | instid1(VALU_DEP_1)
	v_mul_f64_e32 v[18:19], v[8:9], v[12:13]
	v_fma_f64 v[8:9], v[12:13], v[8:9], -v[18:19]
	s_delay_alu instid0(VALU_DEP_1) | instskip(NEXT) | instid1(VALU_DEP_1)
	v_fmac_f64_e32 v[8:9], v[12:13], v[6:7]
	v_add_f64_e32 v[6:7], v[18:19], v[8:9]
	s_delay_alu instid0(VALU_DEP_1) | instskip(SKIP_1) | instid1(VALU_DEP_2)
	v_add_f64_e64 v[16:17], v[14:15], -v[6:7]
	v_add_f64_e64 v[18:19], v[6:7], -v[18:19]
	v_add_f64_e64 v[14:15], v[14:15], -v[16:17]
	s_delay_alu instid0(VALU_DEP_2) | instskip(SKIP_1) | instid1(VALU_DEP_3)
	v_add_f64_e64 v[8:9], v[18:19], -v[8:9]
	v_cvt_f64_i32_e32 v[18:19], v1
	v_add_f64_e64 v[6:7], v[14:15], -v[6:7]
	s_delay_alu instid0(VALU_DEP_2) | instskip(NEXT) | instid1(VALU_DEP_2)
	v_mul_f64_e32 v[24:25], 0x3fe62e42fefa39ef, v[18:19]
	v_add_f64_e32 v[6:7], v[8:9], v[6:7]
	s_delay_alu instid0(VALU_DEP_1) | instskip(NEXT) | instid1(VALU_DEP_1)
	v_add_f64_e32 v[6:7], v[16:17], v[6:7]
	v_mul_f64_e32 v[6:7], v[10:11], v[6:7]
	s_delay_alu instid0(VALU_DEP_1) | instskip(NEXT) | instid1(VALU_DEP_1)
	v_add_f64_e32 v[8:9], v[12:13], v[6:7]
	v_mul_f64_e32 v[10:11], v[8:9], v[8:9]
	s_delay_alu instid0(VALU_DEP_1) | instskip(SKIP_2) | instid1(SALU_CYCLE_1)
	v_fmaak_f64 v[14:15], s[26:27], v[10:11], 0x3fc385386b47b09a
	v_mul_f64_e32 v[16:17], v[8:9], v[10:11]
	s_mov_b64 s[26:27], 0x3fe62e42fefa39ef
	v_fma_f64 v[28:29], v[18:19], s[26:27], -v[24:25]
	s_delay_alu instid0(VALU_DEP_3) | instskip(NEXT) | instid1(VALU_DEP_1)
	v_fmaak_f64 v[14:15], v[10:11], v[14:15], 0x3fc7474dd7f4df2e
	v_fmaak_f64 v[14:15], v[10:11], v[14:15], 0x3fcc71c016291751
	s_delay_alu instid0(VALU_DEP_1) | instskip(NEXT) | instid1(VALU_DEP_1)
	v_fmaak_f64 v[14:15], v[10:11], v[14:15], 0x3fd249249b27acf1
	v_fmaak_f64 v[14:15], v[10:11], v[14:15], 0x3fd99999998ef7b6
	s_delay_alu instid0(VALU_DEP_1) | instskip(SKIP_3) | instid1(VALU_DEP_4)
	v_fmaak_f64 v[10:11], v[10:11], v[14:15], 0x3fe5555555555780
	v_ldexp_f64 v[14:15], v[8:9], 1
	v_add_f64_e64 v[8:9], v[8:9], -v[12:13]
	v_fmamk_f64 v[18:19], v[18:19], 0x3c7abc9e3b39803f, v[28:29]
	v_mul_f64_e32 v[10:11], v[16:17], v[10:11]
	v_mul_f64_e32 v[16:17], v[2:3], v[2:3]
	s_delay_alu instid0(VALU_DEP_3) | instskip(SKIP_1) | instid1(VALU_DEP_4)
	v_add_f64_e32 v[28:29], v[24:25], v[18:19]
	v_add_f64_e64 v[6:7], v[6:7], -v[8:9]
	v_add_f64_e32 v[12:13], v[14:15], v[10:11]
	s_delay_alu instid0(VALU_DEP_4)
	v_fmaak_f64 v[20:21], 0, v[16:17], 0x40829269a93f7ac2
	v_fmaak_f64 v[22:23], 0, v[16:17], 0x408366b11b7086e7
	;; [unrolled: 1-line block ×3, first 2 shown]
	v_add_f64_e64 v[24:25], v[28:29], -v[24:25]
	v_ldexp_f64 v[6:7], v[6:7], 1
	v_add_f64_e64 v[8:9], v[12:13], -v[14:15]
	v_fmaak_f64 v[14:15], v[16:17], v[20:21], 0x410cc160be58ef7f
	v_fmaak_f64 v[20:21], v[16:17], v[22:23], 0x410f5eda0dd701b2
	;; [unrolled: 1-line block ×3, first 2 shown]
	v_add_f64_e64 v[18:19], v[18:19], -v[24:25]
	s_delay_alu instid0(VALU_DEP_4) | instskip(NEXT) | instid1(VALU_DEP_4)
	v_fmaak_f64 v[14:15], v[16:17], v[14:15], 0x419184efa9c8acee
	v_fmaak_f64 v[20:21], v[16:17], v[20:21], 0x4193e954dc92a1b1
	s_delay_alu instid0(VALU_DEP_4) | instskip(NEXT) | instid1(VALU_DEP_3)
	v_fmaak_f64 v[22:23], v[16:17], v[22:23], 0xc262d72d58836521
	v_fmaak_f64 v[14:15], v[16:17], v[14:15], 0x421178c3906b7b83
	s_delay_alu instid0(VALU_DEP_3) | instskip(NEXT) | instid1(VALU_DEP_3)
	v_fmaak_f64 v[20:21], v[16:17], v[20:21], 0x4214a13f7befeac1
	v_fmaak_f64 v[22:23], v[16:17], v[22:23], 0x42da0954b0910fef
	s_delay_alu instid0(VALU_DEP_3) | instskip(NEXT) | instid1(VALU_DEP_3)
	;; [unrolled: 3-line block ×4, first 2 shown]
	v_fmaak_f64 v[20:21], v[16:17], v[20:21], 0x43064b0a3eccf45f
	v_fmaak_f64 v[22:23], v[16:17], v[22:23], 0x438679ad0b7366b1
	v_add_f64_e64 v[8:9], v[10:11], -v[8:9]
	v_fmaak_f64 v[10:11], v[16:17], v[26:27], 0x425a52ba0d438c6b
	v_fmaak_f64 v[14:15], v[16:17], v[14:15], 0x436e83e3c547a488
	;; [unrolled: 1-line block ×4, first 2 shown]
	s_delay_alu instid0(VALU_DEP_4) | instskip(NEXT) | instid1(VALU_DEP_4)
	v_fmaak_f64 v[10:11], v[16:17], v[10:11], 0xc2d08a92e6ccf175
	v_fmaak_f64 v[14:15], v[16:17], v[14:15], 0x43cb90f190f6747f
	s_delay_alu instid0(VALU_DEP_2) | instskip(SKIP_1) | instid1(VALU_DEP_3)
	v_fmaak_f64 v[10:11], v[16:17], v[10:11], 0x432a2b42a697c482
	v_fmaak_f64 v[16:17], v[16:17], v[20:21], 0x43d2779576702939
	v_div_scale_f64 v[20:21], null, v[14:15], v[14:15], v[22:23]
	v_div_scale_f64 v[48:49], vcc_lo, v[22:23], v[14:15], v[22:23]
	s_delay_alu instid0(VALU_DEP_3) | instskip(SKIP_1) | instid1(VALU_DEP_4)
	v_div_scale_f64 v[26:27], null, v[16:17], v[16:17], v[10:11]
	v_add_f64_e32 v[6:7], v[6:7], v[8:9]
	v_rcp_f64_e32 v[8:9], v[20:21]
	s_delay_alu instid0(VALU_DEP_2) | instskip(NEXT) | instid1(VALU_DEP_1)
	v_rcp_f64_e32 v[30:31], v[26:27]
	v_add_f64_e32 v[32:33], v[12:13], v[6:7]
	s_delay_alu instid0(TRANS32_DEP_2) | instskip(NEXT) | instid1(TRANS32_DEP_1)
	v_fma_f64 v[34:35], -v[20:21], v[8:9], 1.0
	v_fma_f64 v[36:37], -v[26:27], v[30:31], 1.0
	s_delay_alu instid0(VALU_DEP_3) | instskip(SKIP_1) | instid1(VALU_DEP_4)
	v_add_f64_e32 v[38:39], v[28:29], v[32:33]
	v_add_f64_e64 v[12:13], v[32:33], -v[12:13]
	v_fmac_f64_e32 v[8:9], v[8:9], v[34:35]
	v_div_scale_f64 v[34:35], null, v[2:3], v[2:3], -1.0
	v_fmac_f64_e32 v[30:31], v[30:31], v[36:37]
	v_add_f64_e64 v[36:37], v[38:39], -v[28:29]
	v_add_f64_e64 v[6:7], v[6:7], -v[12:13]
	v_fma_f64 v[40:41], -v[20:21], v[8:9], 1.0
	v_rcp_f64_e32 v[42:43], v[34:35]
	s_delay_alu instid0(VALU_DEP_4) | instskip(NEXT) | instid1(VALU_DEP_4)
	v_fma_f64 v[44:45], -v[26:27], v[30:31], 1.0
	v_add_f64_e64 v[46:47], v[38:39], -v[36:37]
	v_add_f64_e64 v[12:13], v[32:33], -v[36:37]
	s_delay_alu instid0(VALU_DEP_4) | instskip(SKIP_4) | instid1(TRANS32_DEP_1)
	v_fmac_f64_e32 v[8:9], v[8:9], v[40:41]
	v_div_scale_f64 v[40:41], s0, v[10:11], v[16:17], v[10:11]
	v_fmac_f64_e32 v[30:31], v[30:31], v[44:45]
	v_add_f64_e32 v[44:45], v[18:19], v[6:7]
	v_add_f64_e64 v[24:25], v[28:29], -v[46:47]
	v_fma_f64 v[28:29], -v[34:35], v[42:43], 1.0
	v_mul_f64_e32 v[32:33], v[48:49], v[8:9]
	v_mul_f64_e32 v[36:37], v[40:41], v[30:31]
	s_delay_alu instid0(VALU_DEP_4) | instskip(NEXT) | instid1(VALU_DEP_4)
	v_add_f64_e32 v[12:13], v[12:13], v[24:25]
	v_fmac_f64_e32 v[42:43], v[42:43], v[28:29]
	s_delay_alu instid0(VALU_DEP_4) | instskip(NEXT) | instid1(VALU_DEP_4)
	v_fma_f64 v[20:21], -v[20:21], v[32:33], v[48:49]
	v_fma_f64 v[24:25], -v[26:27], v[36:37], v[40:41]
	v_add_f64_e64 v[26:27], v[44:45], -v[18:19]
	v_add_f64_e32 v[12:13], v[44:45], v[12:13]
	v_fma_f64 v[28:29], -v[34:35], v[42:43], 1.0
	v_div_fmas_f64 v[8:9], v[20:21], v[8:9], v[32:33]
	s_mov_b32 vcc_lo, s0
	v_div_fmas_f64 v[20:21], v[24:25], v[30:31], v[36:37]
	v_add_f64_e64 v[24:25], v[44:45], -v[26:27]
	v_div_scale_f64 v[32:33], vcc_lo, -1.0, v[2:3], -1.0
	v_add_f64_e32 v[30:31], v[38:39], v[12:13]
	v_fmac_f64_e32 v[42:43], v[42:43], v[28:29]
	v_add_f64_e64 v[6:7], v[6:7], -v[26:27]
	v_div_fixup_f64 v[8:9], v[8:9], v[14:15], v[22:23]
	v_div_fixup_f64 v[10:11], v[20:21], v[16:17], v[10:11]
	v_add_f64_e64 v[16:17], v[18:19], -v[24:25]
	v_add_f64_e64 v[18:19], v[30:31], -v[38:39]
	v_mul_f64_e32 v[20:21], v[32:33], v[42:43]
	s_delay_alu instid0(VALU_DEP_4) | instskip(NEXT) | instid1(VALU_DEP_4)
	v_mul_f64_e32 v[10:11], v[2:3], v[10:11]
	v_add_f64_e32 v[6:7], v[6:7], v[16:17]
	s_delay_alu instid0(VALU_DEP_4) | instskip(NEXT) | instid1(VALU_DEP_4)
	v_add_f64_e64 v[12:13], v[12:13], -v[18:19]
	v_fma_f64 v[16:17], -v[34:35], v[20:21], v[32:33]
	v_fmaak_f64 v[18:19], v[2:3], v[2:3], 0xc02d5d2b4189822c
	s_delay_alu instid0(VALU_DEP_1) | instskip(NEXT) | instid1(VALU_DEP_4)
	v_mul_f64_e32 v[10:11], v[18:19], v[10:11]
	v_add_f64_e32 v[6:7], v[6:7], v[12:13]
	s_delay_alu instid0(VALU_DEP_4) | instskip(SKIP_1) | instid1(VALU_DEP_1)
	v_div_fmas_f64 v[12:13], v[16:17], v[42:43], v[20:21]
	v_fmaak_f64 v[16:17], v[2:3], v[2:3], 0xc0489bf66072a432
	v_mul_f64_e32 v[10:11], v[16:17], v[10:11]
	s_delay_alu instid0(VALU_DEP_4) | instskip(NEXT) | instid1(VALU_DEP_4)
	v_add_f64_e32 v[6:7], v[30:31], v[6:7]
	v_div_fixup_f64 v[12:13], v[12:13], v[2:3], -1.0
	s_delay_alu instid0(VALU_DEP_1) | instskip(NEXT) | instid1(VALU_DEP_1)
	v_fmac_f64_e32 v[12:13], v[10:11], v[6:7]
	v_mul_f64_e32 v[6:7], 0x3fe45f306dc9c883, v[12:13]
	s_delay_alu instid0(VALU_DEP_1)
	v_fmac_f64_e32 v[6:7], v[2:3], v[8:9]
.LBB7_182:
	s_or_b32 exec_lo, exec_lo, s24
.LBB7_183:
	s_delay_alu instid0(SALU_CYCLE_1)
	s_or_b32 exec_lo, exec_lo, s2
                                        ; implicit-def: $vgpr2_vgpr3
.LBB7_184:
	s_and_not1_saveexec_b32 s24, s1
	s_cbranch_execz .LBB7_194
; %bb.185:
	v_add_f64_e32 v[6:7], 0xc002d97c7f3321d2, v[2:3]
                                        ; implicit-def: $vgpr1
                                        ; implicit-def: $vgpr8_vgpr9
                                        ; implicit-def: $vgpr10_vgpr11
	s_delay_alu instid0(VALU_DEP_1) | instskip(SKIP_1) | instid1(SALU_CYCLE_1)
	v_cmp_ngt_f64_e64 s0, 0x41d00000, |v[6:7]|
	s_and_saveexec_b32 s1, s0
	s_xor_b32 s1, exec_lo, s1
	s_cbranch_execz .LBB7_187
; %bb.186:
	v_ldexp_f64 v[8:9], |v[6:7]|, 0xffffff80
	v_cmp_le_f64_e64 vcc_lo, 0x7b000000, |v[6:7]|
	v_trig_preop_f64 v[10:11], |v[6:7]|, 0
	v_and_b32_e32 v1, 0x7fffffff, v7
	v_trig_preop_f64 v[12:13], |v[6:7]|, 1
	v_trig_preop_f64 v[22:23], |v[6:7]|, 2
	s_mov_b64 s[26:27], 0x3ff921fb54442d18
	s_delay_alu instid0(VALU_DEP_3) | instskip(SKIP_1) | instid1(VALU_DEP_1)
	v_dual_mov_b32 v30, 0 :: v_dual_cndmask_b32 v9, v1, v9
	v_cndmask_b32_e32 v8, v6, v8, vcc_lo
	v_mul_f64_e32 v[14:15], v[10:11], v[8:9]
	v_mul_f64_e32 v[16:17], v[12:13], v[8:9]
	;; [unrolled: 1-line block ×3, first 2 shown]
	s_delay_alu instid0(VALU_DEP_3) | instskip(NEXT) | instid1(VALU_DEP_3)
	v_fma_f64 v[10:11], v[10:11], v[8:9], -v[14:15]
	v_fma_f64 v[12:13], v[12:13], v[8:9], -v[16:17]
	s_delay_alu instid0(VALU_DEP_3) | instskip(NEXT) | instid1(VALU_DEP_3)
	v_fma_f64 v[8:9], v[22:23], v[8:9], -v[28:29]
	v_add_f64_e32 v[18:19], v[16:17], v[10:11]
	s_delay_alu instid0(VALU_DEP_1) | instskip(SKIP_1) | instid1(VALU_DEP_2)
	v_add_f64_e64 v[20:21], v[18:19], -v[16:17]
	v_add_f64_e32 v[26:27], v[14:15], v[18:19]
	v_add_f64_e64 v[24:25], v[18:19], -v[20:21]
	v_add_f64_e64 v[10:11], v[10:11], -v[20:21]
	s_delay_alu instid0(VALU_DEP_3) | instskip(NEXT) | instid1(VALU_DEP_3)
	v_ldexp_f64 v[20:21], v[26:27], -2
	v_add_f64_e64 v[16:17], v[16:17], -v[24:25]
	v_add_f64_e32 v[24:25], v[28:29], v[12:13]
	s_delay_alu instid0(VALU_DEP_3) | instskip(NEXT) | instid1(VALU_DEP_3)
	v_cmp_neq_f64_e64 vcc_lo, 0x7ff00000, |v[20:21]|
	v_add_f64_e32 v[10:11], v[10:11], v[16:17]
	v_fract_f64_e32 v[16:17], v[20:21]
	s_delay_alu instid0(VALU_DEP_1) | instskip(NEXT) | instid1(VALU_DEP_1)
	v_ldexp_f64 v[16:17], v[16:17], 2
	v_dual_add_f64 v[14:15], v[26:27], -v[14:15] :: v_dual_cndmask_b32 v16, 0, v16, vcc_lo
	s_delay_alu instid0(VALU_DEP_1) | instskip(SKIP_1) | instid1(VALU_DEP_1)
	v_dual_add_f64 v[14:15], v[18:19], -v[14:15] :: v_dual_cndmask_b32 v17, 0, v17, vcc_lo
	v_add_f64_e32 v[18:19], v[24:25], v[10:11]
	v_add_f64_e32 v[20:21], v[14:15], v[18:19]
	v_add_f64_e64 v[32:33], v[18:19], -v[24:25]
	s_delay_alu instid0(VALU_DEP_2) | instskip(NEXT) | instid1(VALU_DEP_2)
	v_add_f64_e32 v[26:27], v[20:21], v[16:17]
	v_add_f64_e64 v[38:39], v[18:19], -v[32:33]
	v_add_f64_e64 v[10:11], v[10:11], -v[32:33]
	;; [unrolled: 1-line block ×3, first 2 shown]
	s_delay_alu instid0(VALU_DEP_4) | instskip(SKIP_1) | instid1(VALU_DEP_3)
	v_cmp_gt_f64_e32 vcc_lo, 0, v[26:27]
	v_add_f64_e64 v[26:27], v[24:25], -v[28:29]
	v_add_f64_e64 v[14:15], v[18:19], -v[14:15]
	v_cndmask_b32_e64 v31, 0, 0x40100000, vcc_lo
	s_delay_alu instid0(VALU_DEP_3) | instskip(SKIP_2) | instid1(VALU_DEP_4)
	v_add_f64_e64 v[36:37], v[24:25], -v[26:27]
	v_add_f64_e64 v[12:13], v[12:13], -v[26:27]
	;; [unrolled: 1-line block ×3, first 2 shown]
	v_add_f64_e32 v[16:17], v[16:17], v[30:31]
	s_delay_alu instid0(VALU_DEP_4) | instskip(NEXT) | instid1(VALU_DEP_3)
	v_add_f64_e64 v[26:27], v[28:29], -v[36:37]
	v_add_f64_e32 v[10:11], v[10:11], v[24:25]
	s_delay_alu instid0(VALU_DEP_3) | instskip(NEXT) | instid1(VALU_DEP_3)
	v_add_f64_e32 v[34:35], v[20:21], v[16:17]
	v_add_f64_e32 v[12:13], v[12:13], v[26:27]
	s_delay_alu instid0(VALU_DEP_2) | instskip(NEXT) | instid1(VALU_DEP_2)
	v_cvt_i32_f64_e32 v1, v[34:35]
	v_add_f64_e32 v[10:11], v[12:13], v[10:11]
	s_delay_alu instid0(VALU_DEP_2) | instskip(NEXT) | instid1(VALU_DEP_2)
	v_cvt_f64_i32_e32 v[32:33], v1
	v_add_f64_e32 v[8:9], v[8:9], v[10:11]
	s_delay_alu instid0(VALU_DEP_2) | instskip(NEXT) | instid1(VALU_DEP_2)
	v_add_f64_e64 v[16:17], v[16:17], -v[32:33]
	v_add_f64_e32 v[8:9], v[14:15], v[8:9]
	s_delay_alu instid0(VALU_DEP_2) | instskip(NEXT) | instid1(VALU_DEP_1)
	v_add_f64_e32 v[12:13], v[20:21], v[16:17]
	v_add_f64_e64 v[10:11], v[12:13], -v[16:17]
	v_cmp_le_f64_e32 vcc_lo, 0.5, v[12:13]
	s_delay_alu instid0(VALU_DEP_2) | instskip(SKIP_2) | instid1(VALU_DEP_3)
	v_add_f64_e64 v[10:11], v[20:21], -v[10:11]
	v_cndmask_b32_e64 v31, 0, 0x3ff00000, vcc_lo
	v_add_co_ci_u32_e64 v1, null, 0, v1, vcc_lo
	v_add_f64_e32 v[8:9], v[8:9], v[10:11]
	s_delay_alu instid0(VALU_DEP_3) | instskip(NEXT) | instid1(VALU_DEP_1)
	v_add_f64_e64 v[10:11], v[12:13], -v[30:31]
	v_add_f64_e32 v[12:13], v[10:11], v[8:9]
	s_delay_alu instid0(VALU_DEP_1) | instskip(SKIP_1) | instid1(VALU_DEP_2)
	v_mul_f64_e32 v[14:15], 0x3ff921fb54442d18, v[12:13]
	v_add_f64_e64 v[10:11], v[12:13], -v[10:11]
	v_fma_f64 v[16:17], v[12:13], s[26:27], -v[14:15]
	s_delay_alu instid0(VALU_DEP_2) | instskip(NEXT) | instid1(VALU_DEP_2)
	v_add_f64_e64 v[8:9], v[8:9], -v[10:11]
	v_fmamk_f64 v[10:11], v[12:13], 0x3c91a62633145c07, v[16:17]
	s_delay_alu instid0(VALU_DEP_1) | instskip(NEXT) | instid1(VALU_DEP_1)
	v_fmac_f64_e32 v[10:11], 0x3ff921fb54442d18, v[8:9]
	v_add_f64_e32 v[8:9], v[14:15], v[10:11]
	s_delay_alu instid0(VALU_DEP_1) | instskip(NEXT) | instid1(VALU_DEP_1)
	v_add_f64_e64 v[12:13], v[8:9], -v[14:15]
	v_add_f64_e64 v[10:11], v[10:11], -v[12:13]
	s_and_not1_saveexec_b32 s1, s1
	s_cbranch_execz .LBB7_189
	s_branch .LBB7_188
.LBB7_187:
	s_and_not1_saveexec_b32 s1, s1
	s_cbranch_execz .LBB7_189
.LBB7_188:
	s_mov_b64 s[26:27], 0x3fe45f306dc9c883
	s_delay_alu instid0(SALU_CYCLE_1) | instskip(SKIP_1) | instid1(VALU_DEP_1)
	v_mul_f64_e64 v[8:9], |v[6:7]|, s[26:27]
	s_mov_b64 s[26:27], 0xbff921fb54442d18
	v_rndne_f64_e32 v[12:13], v[8:9]
	s_delay_alu instid0(VALU_DEP_1) | instskip(SKIP_2) | instid1(VALU_DEP_3)
	v_fma_f64 v[8:9], v[12:13], s[26:27], |v[6:7]|
	v_mul_f64_e32 v[10:11], 0xbc91a62633145c00, v[12:13]
	v_cvt_i32_f64_e32 v1, v[12:13]
	v_fmamk_f64 v[18:19], v[12:13], 0xbc91a62633145c00, v[8:9]
	s_delay_alu instid0(VALU_DEP_3) | instskip(NEXT) | instid1(VALU_DEP_1)
	v_add_f64_e32 v[14:15], v[8:9], v[10:11]
	v_add_f64_e64 v[16:17], v[8:9], -v[14:15]
	s_delay_alu instid0(VALU_DEP_3) | instskip(NEXT) | instid1(VALU_DEP_2)
	v_add_f64_e64 v[8:9], v[14:15], -v[18:19]
	v_add_f64_e32 v[14:15], v[16:17], v[10:11]
	v_fmamk_f64 v[10:11], v[12:13], 0x3c91a62633145c00, v[10:11]
	s_delay_alu instid0(VALU_DEP_2) | instskip(NEXT) | instid1(VALU_DEP_1)
	v_add_f64_e32 v[8:9], v[8:9], v[14:15]
	v_add_f64_e64 v[8:9], v[8:9], -v[10:11]
	s_delay_alu instid0(VALU_DEP_1) | instskip(NEXT) | instid1(VALU_DEP_1)
	v_fmamk_f64 v[10:11], v[12:13], 0xb97b839a252049c0, v[8:9]
	v_add_f64_e32 v[8:9], v[18:19], v[10:11]
	s_delay_alu instid0(VALU_DEP_1) | instskip(NEXT) | instid1(VALU_DEP_1)
	v_add_f64_e64 v[14:15], v[8:9], -v[18:19]
	v_add_f64_e64 v[10:11], v[10:11], -v[14:15]
.LBB7_189:
	s_or_b32 exec_lo, exec_lo, s1
                                        ; implicit-def: $vgpr5
                                        ; implicit-def: $vgpr12_vgpr13
                                        ; implicit-def: $vgpr14_vgpr15
	s_and_saveexec_b32 s1, s0
	s_delay_alu instid0(SALU_CYCLE_1)
	s_xor_b32 s0, exec_lo, s1
	s_cbranch_execz .LBB7_191
; %bb.190:
	v_ldexp_f64 v[12:13], |v[6:7]|, 0xffffff80
	v_cmp_le_f64_e64 vcc_lo, 0x7b000000, |v[6:7]|
	v_trig_preop_f64 v[14:15], |v[6:7]|, 0
	v_and_b32_e32 v5, 0x7fffffff, v7
	v_trig_preop_f64 v[16:17], |v[6:7]|, 1
	v_trig_preop_f64 v[26:27], |v[6:7]|, 2
	s_mov_b64 s[26:27], 0x3ff921fb54442d18
	s_delay_alu instid0(VALU_DEP_3) | instskip(SKIP_1) | instid1(VALU_DEP_1)
	v_dual_mov_b32 v34, 0 :: v_dual_cndmask_b32 v13, v5, v13
	v_cndmask_b32_e32 v12, v6, v12, vcc_lo
	v_mul_f64_e32 v[18:19], v[14:15], v[12:13]
	v_mul_f64_e32 v[20:21], v[16:17], v[12:13]
	;; [unrolled: 1-line block ×3, first 2 shown]
	s_delay_alu instid0(VALU_DEP_3) | instskip(NEXT) | instid1(VALU_DEP_3)
	v_fma_f64 v[14:15], v[14:15], v[12:13], -v[18:19]
	v_fma_f64 v[16:17], v[16:17], v[12:13], -v[20:21]
	s_delay_alu instid0(VALU_DEP_3) | instskip(NEXT) | instid1(VALU_DEP_3)
	v_fma_f64 v[12:13], v[26:27], v[12:13], -v[32:33]
	v_add_f64_e32 v[22:23], v[20:21], v[14:15]
	s_delay_alu instid0(VALU_DEP_1) | instskip(SKIP_1) | instid1(VALU_DEP_2)
	v_add_f64_e64 v[24:25], v[22:23], -v[20:21]
	v_add_f64_e32 v[30:31], v[18:19], v[22:23]
	v_add_f64_e64 v[28:29], v[22:23], -v[24:25]
	v_add_f64_e64 v[14:15], v[14:15], -v[24:25]
	s_delay_alu instid0(VALU_DEP_3) | instskip(NEXT) | instid1(VALU_DEP_3)
	v_ldexp_f64 v[24:25], v[30:31], -2
	v_add_f64_e64 v[20:21], v[20:21], -v[28:29]
	v_add_f64_e32 v[28:29], v[32:33], v[16:17]
	s_delay_alu instid0(VALU_DEP_3) | instskip(NEXT) | instid1(VALU_DEP_3)
	v_cmp_neq_f64_e64 vcc_lo, 0x7ff00000, |v[24:25]|
	v_add_f64_e32 v[14:15], v[14:15], v[20:21]
	v_fract_f64_e32 v[20:21], v[24:25]
	s_delay_alu instid0(VALU_DEP_1) | instskip(NEXT) | instid1(VALU_DEP_1)
	v_ldexp_f64 v[20:21], v[20:21], 2
	v_dual_add_f64 v[18:19], v[30:31], -v[18:19] :: v_dual_cndmask_b32 v20, 0, v20, vcc_lo
	s_delay_alu instid0(VALU_DEP_1) | instskip(SKIP_1) | instid1(VALU_DEP_1)
	v_dual_add_f64 v[18:19], v[22:23], -v[18:19] :: v_dual_cndmask_b32 v21, 0, v21, vcc_lo
	v_add_f64_e32 v[22:23], v[28:29], v[14:15]
	v_add_f64_e32 v[24:25], v[18:19], v[22:23]
	v_add_f64_e64 v[36:37], v[22:23], -v[28:29]
	s_delay_alu instid0(VALU_DEP_2) | instskip(NEXT) | instid1(VALU_DEP_2)
	v_add_f64_e32 v[30:31], v[24:25], v[20:21]
	v_add_f64_e64 v[42:43], v[22:23], -v[36:37]
	v_add_f64_e64 v[14:15], v[14:15], -v[36:37]
	;; [unrolled: 1-line block ×3, first 2 shown]
	s_delay_alu instid0(VALU_DEP_4) | instskip(SKIP_1) | instid1(VALU_DEP_3)
	v_cmp_gt_f64_e32 vcc_lo, 0, v[30:31]
	v_add_f64_e64 v[30:31], v[28:29], -v[32:33]
	v_add_f64_e64 v[18:19], v[22:23], -v[18:19]
	v_cndmask_b32_e64 v35, 0, 0x40100000, vcc_lo
	s_delay_alu instid0(VALU_DEP_3) | instskip(SKIP_2) | instid1(VALU_DEP_4)
	v_add_f64_e64 v[40:41], v[28:29], -v[30:31]
	v_add_f64_e64 v[16:17], v[16:17], -v[30:31]
	;; [unrolled: 1-line block ×3, first 2 shown]
	v_add_f64_e32 v[20:21], v[20:21], v[34:35]
	s_delay_alu instid0(VALU_DEP_4) | instskip(NEXT) | instid1(VALU_DEP_3)
	v_add_f64_e64 v[30:31], v[32:33], -v[40:41]
	v_add_f64_e32 v[14:15], v[14:15], v[28:29]
	s_delay_alu instid0(VALU_DEP_3) | instskip(NEXT) | instid1(VALU_DEP_3)
	v_add_f64_e32 v[38:39], v[24:25], v[20:21]
	v_add_f64_e32 v[16:17], v[16:17], v[30:31]
	s_delay_alu instid0(VALU_DEP_2) | instskip(NEXT) | instid1(VALU_DEP_2)
	v_cvt_i32_f64_e32 v5, v[38:39]
	v_add_f64_e32 v[14:15], v[16:17], v[14:15]
	s_delay_alu instid0(VALU_DEP_2) | instskip(NEXT) | instid1(VALU_DEP_2)
	v_cvt_f64_i32_e32 v[36:37], v5
	v_add_f64_e32 v[12:13], v[12:13], v[14:15]
	s_delay_alu instid0(VALU_DEP_2) | instskip(NEXT) | instid1(VALU_DEP_2)
	v_add_f64_e64 v[20:21], v[20:21], -v[36:37]
	v_add_f64_e32 v[12:13], v[18:19], v[12:13]
	s_delay_alu instid0(VALU_DEP_2) | instskip(NEXT) | instid1(VALU_DEP_1)
	v_add_f64_e32 v[16:17], v[24:25], v[20:21]
	v_add_f64_e64 v[14:15], v[16:17], -v[20:21]
	v_cmp_le_f64_e32 vcc_lo, 0.5, v[16:17]
	s_delay_alu instid0(VALU_DEP_2) | instskip(SKIP_2) | instid1(VALU_DEP_3)
	v_add_f64_e64 v[14:15], v[24:25], -v[14:15]
	v_cndmask_b32_e64 v35, 0, 0x3ff00000, vcc_lo
	v_add_co_ci_u32_e64 v5, null, 0, v5, vcc_lo
	v_add_f64_e32 v[12:13], v[12:13], v[14:15]
	s_delay_alu instid0(VALU_DEP_3) | instskip(NEXT) | instid1(VALU_DEP_1)
	v_add_f64_e64 v[14:15], v[16:17], -v[34:35]
	v_add_f64_e32 v[16:17], v[14:15], v[12:13]
	s_delay_alu instid0(VALU_DEP_1) | instskip(SKIP_1) | instid1(VALU_DEP_2)
	v_mul_f64_e32 v[18:19], 0x3ff921fb54442d18, v[16:17]
	v_add_f64_e64 v[14:15], v[16:17], -v[14:15]
	v_fma_f64 v[20:21], v[16:17], s[26:27], -v[18:19]
	s_delay_alu instid0(VALU_DEP_2) | instskip(NEXT) | instid1(VALU_DEP_2)
	v_add_f64_e64 v[12:13], v[12:13], -v[14:15]
	v_fmamk_f64 v[14:15], v[16:17], 0x3c91a62633145c07, v[20:21]
	s_delay_alu instid0(VALU_DEP_1) | instskip(NEXT) | instid1(VALU_DEP_1)
	v_fmac_f64_e32 v[14:15], 0x3ff921fb54442d18, v[12:13]
	v_add_f64_e32 v[12:13], v[18:19], v[14:15]
	s_delay_alu instid0(VALU_DEP_1) | instskip(NEXT) | instid1(VALU_DEP_1)
	v_add_f64_e64 v[16:17], v[12:13], -v[18:19]
	v_add_f64_e64 v[14:15], v[14:15], -v[16:17]
	s_and_not1_saveexec_b32 s0, s0
	s_cbranch_execnz .LBB7_192
	s_branch .LBB7_193
.LBB7_191:
	s_and_not1_saveexec_b32 s0, s0
	s_cbranch_execz .LBB7_193
.LBB7_192:
	s_mov_b64 s[26:27], 0x3fe45f306dc9c883
	s_delay_alu instid0(SALU_CYCLE_1) | instskip(SKIP_1) | instid1(VALU_DEP_1)
	v_mul_f64_e64 v[12:13], |v[6:7]|, s[26:27]
	s_mov_b64 s[26:27], 0xbff921fb54442d18
	v_rndne_f64_e32 v[16:17], v[12:13]
	s_delay_alu instid0(VALU_DEP_1) | instskip(SKIP_2) | instid1(VALU_DEP_3)
	v_fma_f64 v[12:13], v[16:17], s[26:27], |v[6:7]|
	v_mul_f64_e32 v[14:15], 0xbc91a62633145c00, v[16:17]
	v_cvt_i32_f64_e32 v5, v[16:17]
	v_fmamk_f64 v[22:23], v[16:17], 0xbc91a62633145c00, v[12:13]
	s_delay_alu instid0(VALU_DEP_3) | instskip(NEXT) | instid1(VALU_DEP_1)
	v_add_f64_e32 v[18:19], v[12:13], v[14:15]
	v_add_f64_e64 v[20:21], v[12:13], -v[18:19]
	s_delay_alu instid0(VALU_DEP_3) | instskip(NEXT) | instid1(VALU_DEP_2)
	v_add_f64_e64 v[12:13], v[18:19], -v[22:23]
	v_add_f64_e32 v[18:19], v[20:21], v[14:15]
	v_fmamk_f64 v[14:15], v[16:17], 0x3c91a62633145c00, v[14:15]
	s_delay_alu instid0(VALU_DEP_2) | instskip(NEXT) | instid1(VALU_DEP_1)
	v_add_f64_e32 v[12:13], v[12:13], v[18:19]
	v_add_f64_e64 v[12:13], v[12:13], -v[14:15]
	s_delay_alu instid0(VALU_DEP_1) | instskip(NEXT) | instid1(VALU_DEP_1)
	v_fmamk_f64 v[14:15], v[16:17], 0xb97b839a252049c0, v[12:13]
	v_add_f64_e32 v[12:13], v[22:23], v[14:15]
	s_delay_alu instid0(VALU_DEP_1) | instskip(NEXT) | instid1(VALU_DEP_1)
	v_add_f64_e64 v[18:19], v[12:13], -v[22:23]
	v_add_f64_e64 v[14:15], v[14:15], -v[18:19]
.LBB7_193:
	s_or_b32 exec_lo, exec_lo, s0
	v_div_scale_f64 v[16:17], null, v[2:3], v[2:3], 0x40140000
	v_div_scale_f64 v[22:23], vcc_lo, 0x40140000, v[2:3], 0x40140000
	v_cmp_gt_f64_e64 s0, 0x10000000, v[2:3]
	v_mov_b64_e32 v[42:43], 0xbe5ae600b42fdfa7
	v_mul_f64_e32 v[60:61], 0.5, v[10:11]
	v_mov_b64_e32 v[56:57], 0xbf2a01a019e83e5c
	v_mov_b64_e32 v[58:59], 0xbe927e4fa17f65f6
	;; [unrolled: 1-line block ×4, first 2 shown]
	v_rcp_f64_e32 v[18:19], v[16:17]
	v_cndmask_b32_e64 v50, 0, 0x100, s0
	s_delay_alu instid0(TRANS32_DEP_1) | instskip(NEXT) | instid1(VALU_DEP_1)
	v_fma_f64 v[20:21], -v[16:17], v[18:19], 1.0
	v_fmac_f64_e32 v[18:19], v[18:19], v[20:21]
	s_delay_alu instid0(VALU_DEP_1) | instskip(NEXT) | instid1(VALU_DEP_1)
	v_fma_f64 v[20:21], -v[16:17], v[18:19], 1.0
	v_fmac_f64_e32 v[18:19], v[18:19], v[20:21]
	s_delay_alu instid0(VALU_DEP_1) | instskip(NEXT) | instid1(VALU_DEP_1)
	v_mul_f64_e32 v[20:21], v[22:23], v[18:19]
	v_fma_f64 v[16:17], -v[16:17], v[20:21], v[22:23]
	s_delay_alu instid0(VALU_DEP_1) | instskip(NEXT) | instid1(VALU_DEP_1)
	v_div_fmas_f64 v[16:17], v[16:17], v[18:19], v[20:21]
	v_div_fixup_f64 v[16:17], v[16:17], v[2:3], 0x40140000
	v_ldexp_f64 v[2:3], v[2:3], v50
	v_mul_f64_e32 v[34:35], v[8:9], v[8:9]
	v_mul_f64_e32 v[36:37], v[12:13], v[12:13]
	s_delay_alu instid0(VALU_DEP_4) | instskip(NEXT) | instid1(VALU_DEP_3)
	v_mul_f64_e32 v[18:19], v[16:17], v[16:17]
	v_mul_f64_e32 v[46:47], 0.5, v[34:35]
	v_mul_f64_e64 v[62:63], v[8:9], -v[34:35]
	v_fmamk_f64 v[44:45], v[34:35], 0x3de5e0b2f9a43bb8, v[42:43]
	v_fmac_f64_e32 v[42:43], 0x3de5e0b2f9a43bb8, v[36:37]
	v_mul_f64_e64 v[72:73], v[12:13], -v[36:37]
	s_delay_alu instid0(VALU_DEP_3) | instskip(NEXT) | instid1(VALU_DEP_1)
	v_fmaak_f64 v[44:45], v[34:35], v[44:45], 0x3ec71de3796cde01
	v_fmaak_f64 v[44:45], v[34:35], v[44:45], 0xbf2a01a019e83e5c
	s_delay_alu instid0(VALU_DEP_1)
	v_fmaak_f64 v[44:45], v[34:35], v[44:45], 0x3f81111111110bb3
	v_fmaak_f64 v[20:21], 0, v[18:19], 0x3f42b89b13443d69
	;; [unrolled: 1-line block ×5, first 2 shown]
	v_add_f64_e64 v[50:51], -v[46:47], 1.0
	v_fmac_f64_e32 v[60:61], v[62:63], v[44:45]
	v_fmaak_f64 v[20:21], v[18:19], v[20:21], 0x3fb19fdd5948aa83
	v_fmaak_f64 v[22:23], v[18:19], v[22:23], 0x3fb2b948a3fec4b6
	;; [unrolled: 1-line block ×4, first 2 shown]
	s_delay_alu instid0(VALU_DEP_4) | instskip(NEXT) | instid1(VALU_DEP_4)
	v_fmaak_f64 v[20:21], v[18:19], v[20:21], 0x3ff1aea9b850eed6
	v_fmaak_f64 v[22:23], v[18:19], v[22:23], 0x3ff208fec21596d6
	s_delay_alu instid0(VALU_DEP_4) | instskip(NEXT) | instid1(VALU_DEP_4)
	v_fmaak_f64 v[24:25], v[18:19], v[24:25], 0x4052f4b99acf1c67
	v_fmaak_f64 v[26:27], v[18:19], v[26:27], 0x40b37a691bfdfe81
	;; [unrolled: 3-line block ×8, first 2 shown]
	v_add_f64_e64 v[64:65], -v[50:51], 1.0
	v_fma_f64 v[60:61], v[34:35], v[60:61], -v[10:11]
	v_fma_f64 v[20:21], v[18:19], v[20:21], 1.0
	v_fma_f64 v[22:23], v[18:19], v[22:23], 1.0
	v_fmaak_f64 v[24:25], v[18:19], v[24:25], 0x406a760a4c54bb0b
	v_fmaak_f64 v[26:27], v[18:19], v[26:27], 0x4075017f6ae75997
	s_delay_alu instid0(VALU_DEP_2) | instskip(NEXT) | instid1(VALU_DEP_1)
	v_fmaak_f64 v[18:19], v[18:19], v[24:25], 0x403934ff4d159eb5
	v_div_scale_f64 v[28:29], null, v[26:27], v[26:27], v[18:19]
	v_add_f64_e64 v[44:45], v[64:65], -v[46:47]
	v_div_scale_f64 v[24:25], null, v[20:21], v[20:21], v[22:23]
	v_div_scale_f64 v[66:67], vcc_lo, v[22:23], v[20:21], v[22:23]
	s_delay_alu instid0(VALU_DEP_4) | instskip(NEXT) | instid1(VALU_DEP_2)
	v_rcp_f64_e32 v[32:33], v[28:29]
	v_rcp_f64_e32 v[30:31], v[24:25]
	s_delay_alu instid0(TRANS32_DEP_2) | instskip(NEXT) | instid1(TRANS32_DEP_1)
	v_fma_f64 v[40:41], -v[28:29], v[32:33], 1.0
	v_fma_f64 v[38:39], -v[24:25], v[30:31], 1.0
	s_delay_alu instid0(VALU_DEP_2) | instskip(SKIP_1) | instid1(VALU_DEP_3)
	v_fmac_f64_e32 v[32:33], v[32:33], v[40:41]
	v_mov_b64_e32 v[40:41], 0x3e21eeb69037ab78
	v_fmac_f64_e32 v[30:31], v[30:31], v[38:39]
	v_mov_b64_e32 v[38:39], 0x3ec71de3796cde01
	s_delay_alu instid0(VALU_DEP_1) | instskip(NEXT) | instid1(VALU_DEP_4)
	v_fmac_f64_e32 v[38:39], v[36:37], v[42:43]
	v_fmamk_f64 v[42:43], v[34:35], 0xbda907db46cc5e42, v[40:41]
	v_fmac_f64_e32 v[40:41], 0xbda907db46cc5e42, v[36:37]
	v_fma_f64 v[54:55], -v[28:29], v[32:33], 1.0
	s_delay_alu instid0(VALU_DEP_3) | instskip(NEXT) | instid1(VALU_DEP_1)
	v_fmaak_f64 v[42:43], v[34:35], v[42:43], 0xbe927e4fa17f65f6
	v_fmaak_f64 v[42:43], v[34:35], v[42:43], 0x3efa01a019f4ec90
	s_delay_alu instid0(VALU_DEP_1)
	v_fmaak_f64 v[42:43], v[34:35], v[42:43], 0xbf56c16c16c16967
	v_fma_f64 v[52:53], -v[24:25], v[30:31], 1.0
	v_fmac_f64_e32 v[56:57], v[36:37], v[38:39]
	v_fmac_f64_e32 v[58:59], v[36:37], v[40:41]
	v_rsq_f64_e32 v[40:41], v[2:3]
	v_fmac_f64_e32 v[32:33], v[32:33], v[54:55]
	v_mov_b64_e32 v[54:55], 0x3f81111111110bb3
	v_fmac_f64_e32 v[30:31], v[30:31], v[52:53]
	v_div_scale_f64 v[52:53], s1, v[18:19], v[26:27], v[18:19]
	s_delay_alu instid0(VALU_DEP_3) | instskip(SKIP_1) | instid1(VALU_DEP_4)
	v_fmac_f64_e32 v[54:55], v[36:37], v[56:57]
	v_fmac_f64_e32 v[68:69], v[36:37], v[58:59]
	v_mul_f64_e32 v[46:47], v[66:67], v[30:31]
	s_delay_alu instid0(VALU_DEP_4) | instskip(NEXT) | instid1(VALU_DEP_3)
	v_mul_f64_e32 v[64:65], v[52:53], v[32:33]
	v_fmac_f64_e32 v[74:75], v[36:37], v[68:69]
	s_delay_alu instid0(VALU_DEP_3) | instskip(NEXT) | instid1(VALU_DEP_3)
	v_fma_f64 v[24:25], -v[24:25], v[46:47], v[66:67]
	v_fma_f64 v[28:29], -v[28:29], v[64:65], v[52:53]
	v_mul_f64_e32 v[66:67], v[36:37], v[36:37]
	s_delay_alu instid0(VALU_DEP_3)
	v_div_fmas_f64 v[24:25], v[24:25], v[30:31], v[46:47]
	s_mov_b32 vcc_lo, s1
	v_cmp_class_f64_e64 s1, v[6:7], 0x1f8
	v_and_b32_e32 v6, 1, v5
	v_div_fmas_f64 v[28:29], v[28:29], v[32:33], v[64:65]
	v_dual_mul_f64 v[70:71], 0.5, v[14:15] :: v_dual_lshlrev_b32 v5, 30, v5
	v_fmac_f64_e32 v[60:61], 0xbfc5555555555555, v[62:63]
	s_delay_alu instid0(VALU_DEP_4) | instskip(SKIP_3) | instid1(TRANS32_DEP_1)
	v_cmp_eq_u32_e64 s2, 0, v6
	v_mul_f64_e32 v[48:49], 0.5, v[36:37]
	v_div_fixup_f64 v[18:19], v[28:29], v[26:27], v[18:19]
	v_dual_lshlrev_b32 v1, 30, v1 :: v_dual_bitop2_b32 v26, 1, v1 bitop3:0x40
	v_mul_f64_e32 v[58:59], v[2:3], v[40:41]
	v_mul_f64_e32 v[40:41], 0.5, v[40:41]
	v_add_f64_e64 v[38:39], -v[48:49], 1.0
	v_fmac_f64_e32 v[70:71], v[72:73], v[54:55]
	v_xor_b32_e32 v1, v1, v7
	v_fma_f64 v[10:11], v[8:9], -v[10:11], v[44:45]
	v_mov_b64_e32 v[44:45], 0x3fa5555555555555
	v_mul_f64_e32 v[54:55], v[34:35], v[34:35]
	v_fmaak_f64 v[34:35], v[34:35], v[42:43], 0x3fa5555555555555
	v_add_f64_e64 v[8:9], v[8:9], -v[60:61]
	v_cmp_eq_u32_e32 vcc_lo, 0, v26
	v_fmac_f64_e32 v[44:45], v[36:37], v[74:75]
	v_mul_f64_e32 v[16:17], v[16:17], v[18:19]
	v_div_fixup_f64 v[18:19], v[24:25], v[20:21], v[22:23]
	v_add_f64_e64 v[56:57], -v[38:39], 1.0
	v_fma_f64 v[52:53], v[36:37], v[70:71], -v[14:15]
	v_fmac_f64_e32 v[10:11], v[54:55], v[34:35]
	s_delay_alu instid0(VALU_DEP_3) | instskip(SKIP_1) | instid1(VALU_DEP_4)
	v_add_f64_e64 v[48:49], v[56:57], -v[48:49]
	v_fma_f64 v[56:57], -v[40:41], v[58:59], 0.5
	v_fmac_f64_e32 v[52:53], 0xbfc5555555555555, v[72:73]
	s_delay_alu instid0(VALU_DEP_4) | instskip(NEXT) | instid1(VALU_DEP_4)
	v_add_f64_e32 v[10:11], v[50:51], v[10:11]
	v_fma_f64 v[14:15], v[12:13], -v[14:15], v[48:49]
	s_delay_alu instid0(VALU_DEP_4)
	v_fmac_f64_e32 v[58:59], v[58:59], v[56:57]
	v_fmac_f64_e32 v[40:41], v[40:41], v[56:57]
	v_add_f64_e64 v[12:13], v[12:13], -v[52:53]
	v_cndmask_b32_e32 v8, v10, v8, vcc_lo
	v_fmac_f64_e32 v[14:15], v[66:67], v[44:45]
	v_fma_f64 v[30:31], -v[58:59], v[58:59], v[2:3]
	s_delay_alu instid0(VALU_DEP_4) | instskip(NEXT) | instid1(VALU_DEP_3)
	v_xor_b32_e32 v6, 0x80000000, v13
	v_add_f64_e32 v[14:15], v[38:39], v[14:15]
	s_delay_alu instid0(VALU_DEP_3) | instskip(NEXT) | instid1(VALU_DEP_2)
	v_fmac_f64_e32 v[58:59], v[30:31], v[40:41]
	v_dual_cndmask_b32 v6, v6, v15, s2 :: v_dual_cndmask_b32 v10, v12, v14, s2
	s_delay_alu instid0(VALU_DEP_2) | instskip(NEXT) | instid1(VALU_DEP_2)
	v_fma_f64 v[12:13], -v[58:59], v[58:59], v[2:3]
	v_bitop3_b32 v5, v6, v5, 0x80000000 bitop3:0x78
	s_delay_alu instid0(VALU_DEP_3) | instskip(NEXT) | instid1(VALU_DEP_2)
	v_dual_cndmask_b32 v14, 0, v10, s1 :: v_dual_cndmask_b32 v6, 0, v8, s1
	v_cndmask_b32_e64 v15, 0x7ff80000, v5, s1
	v_cndmask_b32_e32 v5, v11, v9, vcc_lo
	v_cmp_class_f64_e64 vcc_lo, v[2:3], 0x260
	s_delay_alu instid0(VALU_DEP_3) | instskip(NEXT) | instid1(VALU_DEP_3)
	v_mul_f64_e32 v[14:15], v[16:17], v[14:15]
	v_bitop3_b32 v1, v5, v1, 0x80000000 bitop3:0x78
	s_delay_alu instid0(VALU_DEP_1) | instskip(SKIP_2) | instid1(VALU_DEP_3)
	v_cndmask_b32_e64 v7, 0x7ff80000, v1, s1
	v_cndmask_b32_e64 v1, 0, 0xffffff80, s0
	v_fmac_f64_e32 v[58:59], v[12:13], v[40:41]
	v_fmac_f64_e32 v[14:15], v[18:19], v[6:7]
	s_delay_alu instid0(VALU_DEP_2) | instskip(NEXT) | instid1(VALU_DEP_2)
	v_ldexp_f64 v[6:7], v[58:59], v1
	v_mul_f64_e32 v[8:9], 0x3fe9884533d43651, v[14:15]
	s_delay_alu instid0(VALU_DEP_2) | instskip(NEXT) | instid1(VALU_DEP_1)
	v_dual_cndmask_b32 v3, v7, v3 :: v_dual_cndmask_b32 v2, v6, v2
	v_div_scale_f64 v[6:7], null, v[2:3], v[2:3], v[8:9]
	s_delay_alu instid0(VALU_DEP_1) | instskip(SKIP_1) | instid1(TRANS32_DEP_1)
	v_rcp_f64_e32 v[10:11], v[6:7]
	v_nop
	v_fma_f64 v[12:13], -v[6:7], v[10:11], 1.0
	s_delay_alu instid0(VALU_DEP_1) | instskip(NEXT) | instid1(VALU_DEP_1)
	v_fmac_f64_e32 v[10:11], v[10:11], v[12:13]
	v_fma_f64 v[12:13], -v[6:7], v[10:11], 1.0
	s_delay_alu instid0(VALU_DEP_1) | instskip(SKIP_1) | instid1(VALU_DEP_1)
	v_fmac_f64_e32 v[10:11], v[10:11], v[12:13]
	v_div_scale_f64 v[12:13], vcc_lo, v[8:9], v[2:3], v[8:9]
	v_mul_f64_e32 v[14:15], v[12:13], v[10:11]
	s_delay_alu instid0(VALU_DEP_1) | instskip(NEXT) | instid1(VALU_DEP_1)
	v_fma_f64 v[6:7], -v[6:7], v[14:15], v[12:13]
	v_div_fmas_f64 v[6:7], v[6:7], v[10:11], v[14:15]
	s_delay_alu instid0(VALU_DEP_1)
	v_div_fixup_f64 v[6:7], v[6:7], v[2:3], v[8:9]
.LBB7_194:
	s_or_b32 exec_lo, exec_lo, s24
	v_add_nc_u32_e32 v4, 0x80, v4
	global_store_b64 v0, v[6:7], s[4:5]
	s_wait_xcnt 0x0
	s_or_b32 exec_lo, exec_lo, s9
	s_delay_alu instid0(SALU_CYCLE_1)
	s_mov_b32 s9, exec_lo
	v_cmpx_gt_i32_e64 s34, v4
	s_cbranch_execnz .LBB7_164
.LBB7_195:
	s_or_b32 exec_lo, exec_lo, s9
	s_delay_alu instid0(SALU_CYCLE_1)
	s_mov_b32 s9, exec_lo
	v_cmpx_gt_i32_e64 s34, v4
	s_cbranch_execnz .LBB7_222
.LBB7_196:
	s_or_b32 exec_lo, exec_lo, s9
                                        ; implicit-def: $vgpr8
                                        ; implicit-def: $vgpr4
	s_and_not1_saveexec_b32 s0, s31
	s_cbranch_execnz .LBB7_8
.LBB7_197:
	s_sendmsg sendmsg(MSG_DEALLOC_VGPRS)
	s_endpgm
.LBB7_198:
	v_mov_b64_e32 v[0:1], 0
	v_mov_b32_e32 v2, v4
	s_mov_b32 s0, 0
.LBB7_199:
	s_and_b32 s2, s1, 3
	s_mov_b32 s1, 0
	s_cmp_eq_u32 s2, 0
	s_cbranch_scc1 .LBB7_202
; %bb.200:
	s_lshl_b32 s24, s0, 3
	s_mov_b32 s25, s1
	s_mul_u64 s[26:27], s[0:1], 12
	s_add_nc_u64 s[24:25], s[16:17], s[24:25]
	s_delay_alu instid0(SALU_CYCLE_1)
	s_add_nc_u64 s[0:1], s[24:25], 0xc4
	s_add_nc_u64 s[24:25], s[16:17], s[26:27]
.LBB7_201:                              ; =>This Inner Loop Header: Depth=1
	s_load_b96 s[40:42], s[24:25], 0x4
	s_load_b64 s[26:27], s[0:1], 0x0
	s_add_co_i32 s2, s2, -1
	s_wait_xcnt 0x0
	s_add_nc_u64 s[24:25], s[24:25], 12
	s_cmp_lg_u32 s2, 0
	s_add_nc_u64 s[0:1], s[0:1], 8
	s_wait_kmcnt 0x0
	v_mul_hi_u32 v3, s41, v2
	s_delay_alu instid0(VALU_DEP_1) | instskip(NEXT) | instid1(VALU_DEP_1)
	v_add_nc_u32_e32 v3, v2, v3
	v_lshrrev_b32_e32 v3, s42, v3
	s_delay_alu instid0(VALU_DEP_1) | instskip(NEXT) | instid1(VALU_DEP_1)
	v_mul_lo_u32 v5, v3, s40
	v_sub_nc_u32_e32 v2, v2, v5
	s_delay_alu instid0(VALU_DEP_1)
	v_mad_u32 v1, v2, s27, v1
	v_mad_u32 v0, v2, s26, v0
	v_mov_b32_e32 v2, v3
	s_cbranch_scc1 .LBB7_201
.LBB7_202:
	s_cbranch_execnz .LBB7_205
.LBB7_203:
	v_mov_b32_e32 v5, 0
	s_and_not1_b32 vcc_lo, exec_lo, s33
	s_delay_alu instid0(VALU_DEP_1) | instskip(NEXT) | instid1(VALU_DEP_1)
	v_mul_u64_e32 v[0:1], s[18:19], v[4:5]
	v_add_nc_u32_e32 v0, v4, v1
	s_delay_alu instid0(VALU_DEP_1) | instskip(NEXT) | instid1(VALU_DEP_1)
	v_lshrrev_b32_e32 v2, s10, v0
	v_mul_lo_u32 v0, v2, s8
	s_delay_alu instid0(VALU_DEP_1) | instskip(NEXT) | instid1(VALU_DEP_1)
	v_sub_nc_u32_e32 v0, v4, v0
	v_mul_lo_u32 v1, v0, s13
	v_mul_lo_u32 v0, v0, s12
	s_cbranch_vccnz .LBB7_205
; %bb.204:
	v_mov_b32_e32 v3, v5
	s_delay_alu instid0(VALU_DEP_1) | instskip(NEXT) | instid1(VALU_DEP_1)
	v_mul_u64_e32 v[6:7], s[20:21], v[2:3]
	v_add_nc_u32_e32 v3, v2, v7
	s_delay_alu instid0(VALU_DEP_1) | instskip(NEXT) | instid1(VALU_DEP_1)
	v_lshrrev_b32_e32 v3, s3, v3
	v_mul_lo_u32 v3, v3, s11
	s_delay_alu instid0(VALU_DEP_1) | instskip(NEXT) | instid1(VALU_DEP_1)
	v_sub_nc_u32_e32 v2, v2, v3
	v_mad_u32 v0, v2, s14, v0
	v_mad_u32 v1, v2, s15, v1
.LBB7_205:
	global_load_b64 v[2:3], v1, s[6:7]
                                        ; implicit-def: $vgpr6_vgpr7
	s_mov_b32 s0, exec_lo
	s_wait_loadcnt 0x0
	v_cmpx_ge_f64_e32 0x40140000, v[2:3]
	s_xor_b32 s1, exec_lo, s0
	s_cbranch_execz .LBB7_211
; %bb.206:
	v_mov_b64_e32 v[6:7], 0xfff0000000000000
	s_mov_b32 s2, exec_lo
	v_cmpx_neq_f64_e32 0, v[2:3]
	s_cbranch_execz .LBB7_210
; %bb.207:
	v_mov_b64_e32 v[6:7], 0x7ff8000000000000
	s_mov_b32 s24, exec_lo
	v_cmpx_nge_f64_e32 0, v[2:3]
	s_cbranch_execz .LBB7_209
; %bb.208:
	v_frexp_mant_f64_e32 v[6:7], v[2:3]
	s_mov_b64 s[26:27], 0x3fe5555555555555
	s_delay_alu instid0(VALU_DEP_1) | instid1(SALU_CYCLE_1)
	v_cmp_gt_f64_e32 vcc_lo, s[26:27], v[6:7]
	s_mov_b64 s[26:27], 0x3fc3ab76bf559e2b
	v_cndmask_b32_e64 v1, 0, 1, vcc_lo
	s_delay_alu instid0(VALU_DEP_1) | instskip(SKIP_1) | instid1(VALU_DEP_2)
	v_ldexp_f64 v[6:7], v[6:7], v1
	v_frexp_exp_i32_f64_e32 v1, v[2:3]
	v_add_f64_e32 v[8:9], 1.0, v[6:7]
	v_add_f64_e32 v[14:15], -1.0, v[6:7]
	s_delay_alu instid0(VALU_DEP_3) | instskip(NEXT) | instid1(VALU_DEP_3)
	v_subrev_co_ci_u32_e64 v1, null, 0, v1, vcc_lo
	v_rcp_f64_e32 v[10:11], v[8:9]
	v_add_f64_e32 v[16:17], -1.0, v[8:9]
	s_delay_alu instid0(VALU_DEP_1) | instskip(NEXT) | instid1(TRANS32_DEP_1)
	v_add_f64_e64 v[6:7], v[6:7], -v[16:17]
	v_fma_f64 v[12:13], -v[8:9], v[10:11], 1.0
	s_delay_alu instid0(VALU_DEP_1) | instskip(NEXT) | instid1(VALU_DEP_1)
	v_fmac_f64_e32 v[10:11], v[12:13], v[10:11]
	v_fma_f64 v[12:13], -v[8:9], v[10:11], 1.0
	s_delay_alu instid0(VALU_DEP_1) | instskip(NEXT) | instid1(VALU_DEP_1)
	v_fmac_f64_e32 v[10:11], v[12:13], v[10:11]
	v_mul_f64_e32 v[12:13], v[14:15], v[10:11]
	s_delay_alu instid0(VALU_DEP_1) | instskip(NEXT) | instid1(VALU_DEP_1)
	v_mul_f64_e32 v[18:19], v[8:9], v[12:13]
	v_fma_f64 v[8:9], v[12:13], v[8:9], -v[18:19]
	s_delay_alu instid0(VALU_DEP_1) | instskip(NEXT) | instid1(VALU_DEP_1)
	v_fmac_f64_e32 v[8:9], v[12:13], v[6:7]
	v_add_f64_e32 v[6:7], v[18:19], v[8:9]
	s_delay_alu instid0(VALU_DEP_1) | instskip(SKIP_1) | instid1(VALU_DEP_2)
	v_add_f64_e64 v[16:17], v[14:15], -v[6:7]
	v_add_f64_e64 v[18:19], v[6:7], -v[18:19]
	;; [unrolled: 1-line block ×3, first 2 shown]
	s_delay_alu instid0(VALU_DEP_2) | instskip(SKIP_1) | instid1(VALU_DEP_3)
	v_add_f64_e64 v[8:9], v[18:19], -v[8:9]
	v_cvt_f64_i32_e32 v[18:19], v1
	v_add_f64_e64 v[6:7], v[14:15], -v[6:7]
	s_delay_alu instid0(VALU_DEP_2) | instskip(NEXT) | instid1(VALU_DEP_2)
	v_mul_f64_e32 v[24:25], 0x3fe62e42fefa39ef, v[18:19]
	v_add_f64_e32 v[6:7], v[8:9], v[6:7]
	s_delay_alu instid0(VALU_DEP_1) | instskip(NEXT) | instid1(VALU_DEP_1)
	v_add_f64_e32 v[6:7], v[16:17], v[6:7]
	v_mul_f64_e32 v[6:7], v[10:11], v[6:7]
	s_delay_alu instid0(VALU_DEP_1) | instskip(NEXT) | instid1(VALU_DEP_1)
	v_add_f64_e32 v[8:9], v[12:13], v[6:7]
	v_mul_f64_e32 v[10:11], v[8:9], v[8:9]
	s_delay_alu instid0(VALU_DEP_1) | instskip(SKIP_2) | instid1(SALU_CYCLE_1)
	v_fmaak_f64 v[14:15], s[26:27], v[10:11], 0x3fc385386b47b09a
	v_mul_f64_e32 v[16:17], v[8:9], v[10:11]
	s_mov_b64 s[26:27], 0x3fe62e42fefa39ef
	v_fma_f64 v[28:29], v[18:19], s[26:27], -v[24:25]
	s_delay_alu instid0(VALU_DEP_3) | instskip(NEXT) | instid1(VALU_DEP_1)
	v_fmaak_f64 v[14:15], v[10:11], v[14:15], 0x3fc7474dd7f4df2e
	v_fmaak_f64 v[14:15], v[10:11], v[14:15], 0x3fcc71c016291751
	s_delay_alu instid0(VALU_DEP_1) | instskip(NEXT) | instid1(VALU_DEP_1)
	v_fmaak_f64 v[14:15], v[10:11], v[14:15], 0x3fd249249b27acf1
	v_fmaak_f64 v[14:15], v[10:11], v[14:15], 0x3fd99999998ef7b6
	s_delay_alu instid0(VALU_DEP_1) | instskip(SKIP_3) | instid1(VALU_DEP_4)
	v_fmaak_f64 v[10:11], v[10:11], v[14:15], 0x3fe5555555555780
	v_ldexp_f64 v[14:15], v[8:9], 1
	v_add_f64_e64 v[8:9], v[8:9], -v[12:13]
	v_fmamk_f64 v[18:19], v[18:19], 0x3c7abc9e3b39803f, v[28:29]
	v_mul_f64_e32 v[10:11], v[16:17], v[10:11]
	v_mul_f64_e32 v[16:17], v[2:3], v[2:3]
	s_delay_alu instid0(VALU_DEP_3) | instskip(SKIP_1) | instid1(VALU_DEP_4)
	v_add_f64_e32 v[28:29], v[24:25], v[18:19]
	v_add_f64_e64 v[6:7], v[6:7], -v[8:9]
	v_add_f64_e32 v[12:13], v[14:15], v[10:11]
	s_delay_alu instid0(VALU_DEP_4)
	v_fmaak_f64 v[20:21], 0, v[16:17], 0x40829269a93f7ac2
	v_fmaak_f64 v[22:23], 0, v[16:17], 0x408366b11b7086e7
	;; [unrolled: 1-line block ×3, first 2 shown]
	v_add_f64_e64 v[24:25], v[28:29], -v[24:25]
	v_ldexp_f64 v[6:7], v[6:7], 1
	v_add_f64_e64 v[8:9], v[12:13], -v[14:15]
	v_fmaak_f64 v[14:15], v[16:17], v[20:21], 0x410cc160be58ef7f
	v_fmaak_f64 v[20:21], v[16:17], v[22:23], 0x410f5eda0dd701b2
	;; [unrolled: 1-line block ×3, first 2 shown]
	v_add_f64_e64 v[18:19], v[18:19], -v[24:25]
	s_delay_alu instid0(VALU_DEP_4) | instskip(NEXT) | instid1(VALU_DEP_4)
	v_fmaak_f64 v[14:15], v[16:17], v[14:15], 0x419184efa9c8acee
	v_fmaak_f64 v[20:21], v[16:17], v[20:21], 0x4193e954dc92a1b1
	s_delay_alu instid0(VALU_DEP_4) | instskip(NEXT) | instid1(VALU_DEP_3)
	v_fmaak_f64 v[22:23], v[16:17], v[22:23], 0xc262d72d58836521
	v_fmaak_f64 v[14:15], v[16:17], v[14:15], 0x421178c3906b7b83
	s_delay_alu instid0(VALU_DEP_3) | instskip(NEXT) | instid1(VALU_DEP_3)
	v_fmaak_f64 v[20:21], v[16:17], v[20:21], 0x4214a13f7befeac1
	v_fmaak_f64 v[22:23], v[16:17], v[22:23], 0x42da0954b0910fef
	s_delay_alu instid0(VALU_DEP_3) | instskip(NEXT) | instid1(VALU_DEP_3)
	;; [unrolled: 3-line block ×4, first 2 shown]
	v_fmaak_f64 v[20:21], v[16:17], v[20:21], 0x43064b0a3eccf45f
	v_fmaak_f64 v[22:23], v[16:17], v[22:23], 0x438679ad0b7366b1
	v_add_f64_e64 v[8:9], v[10:11], -v[8:9]
	v_fmaak_f64 v[10:11], v[16:17], v[26:27], 0x425a52ba0d438c6b
	v_fmaak_f64 v[14:15], v[16:17], v[14:15], 0x436e83e3c547a488
	;; [unrolled: 1-line block ×4, first 2 shown]
	s_delay_alu instid0(VALU_DEP_4) | instskip(NEXT) | instid1(VALU_DEP_4)
	v_fmaak_f64 v[10:11], v[16:17], v[10:11], 0xc2d08a92e6ccf175
	v_fmaak_f64 v[14:15], v[16:17], v[14:15], 0x43cb90f190f6747f
	s_delay_alu instid0(VALU_DEP_2) | instskip(SKIP_1) | instid1(VALU_DEP_3)
	v_fmaak_f64 v[10:11], v[16:17], v[10:11], 0x432a2b42a697c482
	v_fmaak_f64 v[16:17], v[16:17], v[20:21], 0x43d2779576702939
	v_div_scale_f64 v[20:21], null, v[14:15], v[14:15], v[22:23]
	v_div_scale_f64 v[48:49], vcc_lo, v[22:23], v[14:15], v[22:23]
	s_delay_alu instid0(VALU_DEP_3) | instskip(SKIP_1) | instid1(VALU_DEP_4)
	v_div_scale_f64 v[26:27], null, v[16:17], v[16:17], v[10:11]
	v_add_f64_e32 v[6:7], v[6:7], v[8:9]
	v_rcp_f64_e32 v[8:9], v[20:21]
	s_delay_alu instid0(VALU_DEP_2) | instskip(NEXT) | instid1(VALU_DEP_1)
	v_rcp_f64_e32 v[30:31], v[26:27]
	v_add_f64_e32 v[32:33], v[12:13], v[6:7]
	s_delay_alu instid0(TRANS32_DEP_2) | instskip(NEXT) | instid1(TRANS32_DEP_1)
	v_fma_f64 v[34:35], -v[20:21], v[8:9], 1.0
	v_fma_f64 v[36:37], -v[26:27], v[30:31], 1.0
	s_delay_alu instid0(VALU_DEP_3) | instskip(SKIP_1) | instid1(VALU_DEP_4)
	v_add_f64_e32 v[38:39], v[28:29], v[32:33]
	v_add_f64_e64 v[12:13], v[32:33], -v[12:13]
	v_fmac_f64_e32 v[8:9], v[8:9], v[34:35]
	v_div_scale_f64 v[34:35], null, v[2:3], v[2:3], -1.0
	v_fmac_f64_e32 v[30:31], v[30:31], v[36:37]
	v_add_f64_e64 v[36:37], v[38:39], -v[28:29]
	v_add_f64_e64 v[6:7], v[6:7], -v[12:13]
	v_fma_f64 v[40:41], -v[20:21], v[8:9], 1.0
	v_rcp_f64_e32 v[42:43], v[34:35]
	s_delay_alu instid0(VALU_DEP_4) | instskip(NEXT) | instid1(VALU_DEP_4)
	v_fma_f64 v[44:45], -v[26:27], v[30:31], 1.0
	v_add_f64_e64 v[46:47], v[38:39], -v[36:37]
	v_add_f64_e64 v[12:13], v[32:33], -v[36:37]
	s_delay_alu instid0(VALU_DEP_4) | instskip(SKIP_4) | instid1(TRANS32_DEP_1)
	v_fmac_f64_e32 v[8:9], v[8:9], v[40:41]
	v_div_scale_f64 v[40:41], s0, v[10:11], v[16:17], v[10:11]
	v_fmac_f64_e32 v[30:31], v[30:31], v[44:45]
	v_add_f64_e32 v[44:45], v[18:19], v[6:7]
	v_add_f64_e64 v[24:25], v[28:29], -v[46:47]
	v_fma_f64 v[28:29], -v[34:35], v[42:43], 1.0
	v_mul_f64_e32 v[32:33], v[48:49], v[8:9]
	v_mul_f64_e32 v[36:37], v[40:41], v[30:31]
	s_delay_alu instid0(VALU_DEP_4) | instskip(NEXT) | instid1(VALU_DEP_4)
	v_add_f64_e32 v[12:13], v[12:13], v[24:25]
	v_fmac_f64_e32 v[42:43], v[42:43], v[28:29]
	s_delay_alu instid0(VALU_DEP_4) | instskip(NEXT) | instid1(VALU_DEP_4)
	v_fma_f64 v[20:21], -v[20:21], v[32:33], v[48:49]
	v_fma_f64 v[24:25], -v[26:27], v[36:37], v[40:41]
	v_add_f64_e64 v[26:27], v[44:45], -v[18:19]
	v_add_f64_e32 v[12:13], v[44:45], v[12:13]
	v_fma_f64 v[28:29], -v[34:35], v[42:43], 1.0
	v_div_fmas_f64 v[8:9], v[20:21], v[8:9], v[32:33]
	s_mov_b32 vcc_lo, s0
	v_div_fmas_f64 v[20:21], v[24:25], v[30:31], v[36:37]
	v_add_f64_e64 v[24:25], v[44:45], -v[26:27]
	v_div_scale_f64 v[32:33], vcc_lo, -1.0, v[2:3], -1.0
	v_add_f64_e32 v[30:31], v[38:39], v[12:13]
	v_fmac_f64_e32 v[42:43], v[42:43], v[28:29]
	v_add_f64_e64 v[6:7], v[6:7], -v[26:27]
	v_div_fixup_f64 v[8:9], v[8:9], v[14:15], v[22:23]
	v_div_fixup_f64 v[10:11], v[20:21], v[16:17], v[10:11]
	v_add_f64_e64 v[16:17], v[18:19], -v[24:25]
	v_add_f64_e64 v[18:19], v[30:31], -v[38:39]
	v_mul_f64_e32 v[20:21], v[32:33], v[42:43]
	s_delay_alu instid0(VALU_DEP_4) | instskip(NEXT) | instid1(VALU_DEP_4)
	v_mul_f64_e32 v[10:11], v[2:3], v[10:11]
	v_add_f64_e32 v[6:7], v[6:7], v[16:17]
	s_delay_alu instid0(VALU_DEP_4) | instskip(NEXT) | instid1(VALU_DEP_4)
	v_add_f64_e64 v[12:13], v[12:13], -v[18:19]
	v_fma_f64 v[16:17], -v[34:35], v[20:21], v[32:33]
	v_fmaak_f64 v[18:19], v[2:3], v[2:3], 0xc02d5d2b4189822c
	s_delay_alu instid0(VALU_DEP_1) | instskip(NEXT) | instid1(VALU_DEP_4)
	v_mul_f64_e32 v[10:11], v[18:19], v[10:11]
	v_add_f64_e32 v[6:7], v[6:7], v[12:13]
	s_delay_alu instid0(VALU_DEP_4) | instskip(SKIP_1) | instid1(VALU_DEP_1)
	v_div_fmas_f64 v[12:13], v[16:17], v[42:43], v[20:21]
	v_fmaak_f64 v[16:17], v[2:3], v[2:3], 0xc0489bf66072a432
	v_mul_f64_e32 v[10:11], v[16:17], v[10:11]
	s_delay_alu instid0(VALU_DEP_4) | instskip(NEXT) | instid1(VALU_DEP_4)
	v_add_f64_e32 v[6:7], v[30:31], v[6:7]
	v_div_fixup_f64 v[12:13], v[12:13], v[2:3], -1.0
	s_delay_alu instid0(VALU_DEP_1) | instskip(NEXT) | instid1(VALU_DEP_1)
	v_fmac_f64_e32 v[12:13], v[10:11], v[6:7]
	v_mul_f64_e32 v[6:7], 0x3fe45f306dc9c883, v[12:13]
	s_delay_alu instid0(VALU_DEP_1)
	v_fmac_f64_e32 v[6:7], v[2:3], v[8:9]
.LBB7_209:
	s_or_b32 exec_lo, exec_lo, s24
.LBB7_210:
	s_delay_alu instid0(SALU_CYCLE_1)
	s_or_b32 exec_lo, exec_lo, s2
                                        ; implicit-def: $vgpr2_vgpr3
.LBB7_211:
	s_and_not1_saveexec_b32 s24, s1
	s_cbranch_execz .LBB7_221
; %bb.212:
	v_add_f64_e32 v[6:7], 0xc002d97c7f3321d2, v[2:3]
                                        ; implicit-def: $vgpr1
                                        ; implicit-def: $vgpr8_vgpr9
                                        ; implicit-def: $vgpr10_vgpr11
	s_delay_alu instid0(VALU_DEP_1) | instskip(SKIP_1) | instid1(SALU_CYCLE_1)
	v_cmp_ngt_f64_e64 s0, 0x41d00000, |v[6:7]|
	s_and_saveexec_b32 s1, s0
	s_xor_b32 s1, exec_lo, s1
	s_cbranch_execz .LBB7_214
; %bb.213:
	v_ldexp_f64 v[8:9], |v[6:7]|, 0xffffff80
	v_cmp_le_f64_e64 vcc_lo, 0x7b000000, |v[6:7]|
	v_trig_preop_f64 v[10:11], |v[6:7]|, 0
	v_and_b32_e32 v1, 0x7fffffff, v7
	v_trig_preop_f64 v[12:13], |v[6:7]|, 1
	v_trig_preop_f64 v[22:23], |v[6:7]|, 2
	s_mov_b64 s[26:27], 0x3ff921fb54442d18
	s_delay_alu instid0(VALU_DEP_3) | instskip(SKIP_1) | instid1(VALU_DEP_1)
	v_dual_mov_b32 v30, 0 :: v_dual_cndmask_b32 v9, v1, v9
	v_cndmask_b32_e32 v8, v6, v8, vcc_lo
	v_mul_f64_e32 v[14:15], v[10:11], v[8:9]
	v_mul_f64_e32 v[16:17], v[12:13], v[8:9]
	;; [unrolled: 1-line block ×3, first 2 shown]
	s_delay_alu instid0(VALU_DEP_3) | instskip(NEXT) | instid1(VALU_DEP_3)
	v_fma_f64 v[10:11], v[10:11], v[8:9], -v[14:15]
	v_fma_f64 v[12:13], v[12:13], v[8:9], -v[16:17]
	s_delay_alu instid0(VALU_DEP_3) | instskip(NEXT) | instid1(VALU_DEP_3)
	v_fma_f64 v[8:9], v[22:23], v[8:9], -v[28:29]
	v_add_f64_e32 v[18:19], v[16:17], v[10:11]
	s_delay_alu instid0(VALU_DEP_1) | instskip(SKIP_1) | instid1(VALU_DEP_2)
	v_add_f64_e64 v[20:21], v[18:19], -v[16:17]
	v_add_f64_e32 v[26:27], v[14:15], v[18:19]
	v_add_f64_e64 v[24:25], v[18:19], -v[20:21]
	v_add_f64_e64 v[10:11], v[10:11], -v[20:21]
	s_delay_alu instid0(VALU_DEP_3) | instskip(NEXT) | instid1(VALU_DEP_3)
	v_ldexp_f64 v[20:21], v[26:27], -2
	v_add_f64_e64 v[16:17], v[16:17], -v[24:25]
	v_add_f64_e32 v[24:25], v[28:29], v[12:13]
	s_delay_alu instid0(VALU_DEP_3) | instskip(NEXT) | instid1(VALU_DEP_3)
	v_cmp_neq_f64_e64 vcc_lo, 0x7ff00000, |v[20:21]|
	v_add_f64_e32 v[10:11], v[10:11], v[16:17]
	v_fract_f64_e32 v[16:17], v[20:21]
	s_delay_alu instid0(VALU_DEP_1) | instskip(NEXT) | instid1(VALU_DEP_1)
	v_ldexp_f64 v[16:17], v[16:17], 2
	v_dual_add_f64 v[14:15], v[26:27], -v[14:15] :: v_dual_cndmask_b32 v16, 0, v16, vcc_lo
	s_delay_alu instid0(VALU_DEP_1) | instskip(SKIP_1) | instid1(VALU_DEP_1)
	v_dual_add_f64 v[14:15], v[18:19], -v[14:15] :: v_dual_cndmask_b32 v17, 0, v17, vcc_lo
	v_add_f64_e32 v[18:19], v[24:25], v[10:11]
	v_add_f64_e32 v[20:21], v[14:15], v[18:19]
	v_add_f64_e64 v[32:33], v[18:19], -v[24:25]
	s_delay_alu instid0(VALU_DEP_2) | instskip(NEXT) | instid1(VALU_DEP_2)
	v_add_f64_e32 v[26:27], v[20:21], v[16:17]
	v_add_f64_e64 v[38:39], v[18:19], -v[32:33]
	v_add_f64_e64 v[10:11], v[10:11], -v[32:33]
	;; [unrolled: 1-line block ×3, first 2 shown]
	s_delay_alu instid0(VALU_DEP_4) | instskip(SKIP_1) | instid1(VALU_DEP_3)
	v_cmp_gt_f64_e32 vcc_lo, 0, v[26:27]
	v_add_f64_e64 v[26:27], v[24:25], -v[28:29]
	v_add_f64_e64 v[14:15], v[18:19], -v[14:15]
	v_cndmask_b32_e64 v31, 0, 0x40100000, vcc_lo
	s_delay_alu instid0(VALU_DEP_3) | instskip(SKIP_2) | instid1(VALU_DEP_4)
	v_add_f64_e64 v[36:37], v[24:25], -v[26:27]
	v_add_f64_e64 v[12:13], v[12:13], -v[26:27]
	;; [unrolled: 1-line block ×3, first 2 shown]
	v_add_f64_e32 v[16:17], v[16:17], v[30:31]
	s_delay_alu instid0(VALU_DEP_4) | instskip(NEXT) | instid1(VALU_DEP_3)
	v_add_f64_e64 v[26:27], v[28:29], -v[36:37]
	v_add_f64_e32 v[10:11], v[10:11], v[24:25]
	s_delay_alu instid0(VALU_DEP_3) | instskip(NEXT) | instid1(VALU_DEP_3)
	v_add_f64_e32 v[34:35], v[20:21], v[16:17]
	v_add_f64_e32 v[12:13], v[12:13], v[26:27]
	s_delay_alu instid0(VALU_DEP_2) | instskip(NEXT) | instid1(VALU_DEP_2)
	v_cvt_i32_f64_e32 v1, v[34:35]
	v_add_f64_e32 v[10:11], v[12:13], v[10:11]
	s_delay_alu instid0(VALU_DEP_2) | instskip(NEXT) | instid1(VALU_DEP_2)
	v_cvt_f64_i32_e32 v[32:33], v1
	v_add_f64_e32 v[8:9], v[8:9], v[10:11]
	s_delay_alu instid0(VALU_DEP_2) | instskip(NEXT) | instid1(VALU_DEP_2)
	v_add_f64_e64 v[16:17], v[16:17], -v[32:33]
	v_add_f64_e32 v[8:9], v[14:15], v[8:9]
	s_delay_alu instid0(VALU_DEP_2) | instskip(NEXT) | instid1(VALU_DEP_1)
	v_add_f64_e32 v[12:13], v[20:21], v[16:17]
	v_add_f64_e64 v[10:11], v[12:13], -v[16:17]
	v_cmp_le_f64_e32 vcc_lo, 0.5, v[12:13]
	s_delay_alu instid0(VALU_DEP_2) | instskip(SKIP_2) | instid1(VALU_DEP_3)
	v_add_f64_e64 v[10:11], v[20:21], -v[10:11]
	v_cndmask_b32_e64 v31, 0, 0x3ff00000, vcc_lo
	v_add_co_ci_u32_e64 v1, null, 0, v1, vcc_lo
	v_add_f64_e32 v[8:9], v[8:9], v[10:11]
	s_delay_alu instid0(VALU_DEP_3) | instskip(NEXT) | instid1(VALU_DEP_1)
	v_add_f64_e64 v[10:11], v[12:13], -v[30:31]
	v_add_f64_e32 v[12:13], v[10:11], v[8:9]
	s_delay_alu instid0(VALU_DEP_1) | instskip(SKIP_1) | instid1(VALU_DEP_2)
	v_mul_f64_e32 v[14:15], 0x3ff921fb54442d18, v[12:13]
	v_add_f64_e64 v[10:11], v[12:13], -v[10:11]
	v_fma_f64 v[16:17], v[12:13], s[26:27], -v[14:15]
	s_delay_alu instid0(VALU_DEP_2) | instskip(NEXT) | instid1(VALU_DEP_2)
	v_add_f64_e64 v[8:9], v[8:9], -v[10:11]
	v_fmamk_f64 v[10:11], v[12:13], 0x3c91a62633145c07, v[16:17]
	s_delay_alu instid0(VALU_DEP_1) | instskip(NEXT) | instid1(VALU_DEP_1)
	v_fmac_f64_e32 v[10:11], 0x3ff921fb54442d18, v[8:9]
	v_add_f64_e32 v[8:9], v[14:15], v[10:11]
	s_delay_alu instid0(VALU_DEP_1) | instskip(NEXT) | instid1(VALU_DEP_1)
	v_add_f64_e64 v[12:13], v[8:9], -v[14:15]
	v_add_f64_e64 v[10:11], v[10:11], -v[12:13]
	s_and_not1_saveexec_b32 s1, s1
	s_cbranch_execz .LBB7_216
	s_branch .LBB7_215
.LBB7_214:
	s_and_not1_saveexec_b32 s1, s1
	s_cbranch_execz .LBB7_216
.LBB7_215:
	s_mov_b64 s[26:27], 0x3fe45f306dc9c883
	s_delay_alu instid0(SALU_CYCLE_1) | instskip(SKIP_1) | instid1(VALU_DEP_1)
	v_mul_f64_e64 v[8:9], |v[6:7]|, s[26:27]
	s_mov_b64 s[26:27], 0xbff921fb54442d18
	v_rndne_f64_e32 v[12:13], v[8:9]
	s_delay_alu instid0(VALU_DEP_1) | instskip(SKIP_2) | instid1(VALU_DEP_3)
	v_fma_f64 v[8:9], v[12:13], s[26:27], |v[6:7]|
	v_mul_f64_e32 v[10:11], 0xbc91a62633145c00, v[12:13]
	v_cvt_i32_f64_e32 v1, v[12:13]
	v_fmamk_f64 v[18:19], v[12:13], 0xbc91a62633145c00, v[8:9]
	s_delay_alu instid0(VALU_DEP_3) | instskip(NEXT) | instid1(VALU_DEP_1)
	v_add_f64_e32 v[14:15], v[8:9], v[10:11]
	v_add_f64_e64 v[16:17], v[8:9], -v[14:15]
	s_delay_alu instid0(VALU_DEP_3) | instskip(NEXT) | instid1(VALU_DEP_2)
	v_add_f64_e64 v[8:9], v[14:15], -v[18:19]
	v_add_f64_e32 v[14:15], v[16:17], v[10:11]
	v_fmamk_f64 v[10:11], v[12:13], 0x3c91a62633145c00, v[10:11]
	s_delay_alu instid0(VALU_DEP_2) | instskip(NEXT) | instid1(VALU_DEP_1)
	v_add_f64_e32 v[8:9], v[8:9], v[14:15]
	v_add_f64_e64 v[8:9], v[8:9], -v[10:11]
	s_delay_alu instid0(VALU_DEP_1) | instskip(NEXT) | instid1(VALU_DEP_1)
	v_fmamk_f64 v[10:11], v[12:13], 0xb97b839a252049c0, v[8:9]
	v_add_f64_e32 v[8:9], v[18:19], v[10:11]
	s_delay_alu instid0(VALU_DEP_1) | instskip(NEXT) | instid1(VALU_DEP_1)
	v_add_f64_e64 v[14:15], v[8:9], -v[18:19]
	v_add_f64_e64 v[10:11], v[10:11], -v[14:15]
.LBB7_216:
	s_or_b32 exec_lo, exec_lo, s1
                                        ; implicit-def: $vgpr5
                                        ; implicit-def: $vgpr12_vgpr13
                                        ; implicit-def: $vgpr14_vgpr15
	s_and_saveexec_b32 s1, s0
	s_delay_alu instid0(SALU_CYCLE_1)
	s_xor_b32 s0, exec_lo, s1
	s_cbranch_execz .LBB7_218
; %bb.217:
	v_ldexp_f64 v[12:13], |v[6:7]|, 0xffffff80
	v_cmp_le_f64_e64 vcc_lo, 0x7b000000, |v[6:7]|
	v_trig_preop_f64 v[14:15], |v[6:7]|, 0
	v_and_b32_e32 v5, 0x7fffffff, v7
	v_trig_preop_f64 v[16:17], |v[6:7]|, 1
	v_trig_preop_f64 v[26:27], |v[6:7]|, 2
	s_mov_b64 s[26:27], 0x3ff921fb54442d18
	s_delay_alu instid0(VALU_DEP_3) | instskip(SKIP_1) | instid1(VALU_DEP_1)
	v_dual_mov_b32 v34, 0 :: v_dual_cndmask_b32 v13, v5, v13
	v_cndmask_b32_e32 v12, v6, v12, vcc_lo
	v_mul_f64_e32 v[18:19], v[14:15], v[12:13]
	v_mul_f64_e32 v[20:21], v[16:17], v[12:13]
	;; [unrolled: 1-line block ×3, first 2 shown]
	s_delay_alu instid0(VALU_DEP_3) | instskip(NEXT) | instid1(VALU_DEP_3)
	v_fma_f64 v[14:15], v[14:15], v[12:13], -v[18:19]
	v_fma_f64 v[16:17], v[16:17], v[12:13], -v[20:21]
	s_delay_alu instid0(VALU_DEP_3) | instskip(NEXT) | instid1(VALU_DEP_3)
	v_fma_f64 v[12:13], v[26:27], v[12:13], -v[32:33]
	v_add_f64_e32 v[22:23], v[20:21], v[14:15]
	s_delay_alu instid0(VALU_DEP_1) | instskip(SKIP_1) | instid1(VALU_DEP_2)
	v_add_f64_e64 v[24:25], v[22:23], -v[20:21]
	v_add_f64_e32 v[30:31], v[18:19], v[22:23]
	v_add_f64_e64 v[28:29], v[22:23], -v[24:25]
	v_add_f64_e64 v[14:15], v[14:15], -v[24:25]
	s_delay_alu instid0(VALU_DEP_3) | instskip(NEXT) | instid1(VALU_DEP_3)
	v_ldexp_f64 v[24:25], v[30:31], -2
	v_add_f64_e64 v[20:21], v[20:21], -v[28:29]
	v_add_f64_e32 v[28:29], v[32:33], v[16:17]
	s_delay_alu instid0(VALU_DEP_3) | instskip(NEXT) | instid1(VALU_DEP_3)
	v_cmp_neq_f64_e64 vcc_lo, 0x7ff00000, |v[24:25]|
	v_add_f64_e32 v[14:15], v[14:15], v[20:21]
	v_fract_f64_e32 v[20:21], v[24:25]
	s_delay_alu instid0(VALU_DEP_1) | instskip(NEXT) | instid1(VALU_DEP_1)
	v_ldexp_f64 v[20:21], v[20:21], 2
	v_dual_add_f64 v[18:19], v[30:31], -v[18:19] :: v_dual_cndmask_b32 v20, 0, v20, vcc_lo
	s_delay_alu instid0(VALU_DEP_1) | instskip(SKIP_1) | instid1(VALU_DEP_1)
	v_dual_add_f64 v[18:19], v[22:23], -v[18:19] :: v_dual_cndmask_b32 v21, 0, v21, vcc_lo
	v_add_f64_e32 v[22:23], v[28:29], v[14:15]
	v_add_f64_e32 v[24:25], v[18:19], v[22:23]
	v_add_f64_e64 v[36:37], v[22:23], -v[28:29]
	s_delay_alu instid0(VALU_DEP_2) | instskip(NEXT) | instid1(VALU_DEP_2)
	v_add_f64_e32 v[30:31], v[24:25], v[20:21]
	v_add_f64_e64 v[42:43], v[22:23], -v[36:37]
	v_add_f64_e64 v[14:15], v[14:15], -v[36:37]
	v_add_f64_e64 v[18:19], v[24:25], -v[18:19]
	s_delay_alu instid0(VALU_DEP_4) | instskip(SKIP_1) | instid1(VALU_DEP_3)
	v_cmp_gt_f64_e32 vcc_lo, 0, v[30:31]
	v_add_f64_e64 v[30:31], v[28:29], -v[32:33]
	v_add_f64_e64 v[18:19], v[22:23], -v[18:19]
	v_cndmask_b32_e64 v35, 0, 0x40100000, vcc_lo
	s_delay_alu instid0(VALU_DEP_3) | instskip(SKIP_2) | instid1(VALU_DEP_4)
	v_add_f64_e64 v[40:41], v[28:29], -v[30:31]
	v_add_f64_e64 v[16:17], v[16:17], -v[30:31]
	;; [unrolled: 1-line block ×3, first 2 shown]
	v_add_f64_e32 v[20:21], v[20:21], v[34:35]
	s_delay_alu instid0(VALU_DEP_4) | instskip(NEXT) | instid1(VALU_DEP_3)
	v_add_f64_e64 v[30:31], v[32:33], -v[40:41]
	v_add_f64_e32 v[14:15], v[14:15], v[28:29]
	s_delay_alu instid0(VALU_DEP_3) | instskip(NEXT) | instid1(VALU_DEP_3)
	v_add_f64_e32 v[38:39], v[24:25], v[20:21]
	v_add_f64_e32 v[16:17], v[16:17], v[30:31]
	s_delay_alu instid0(VALU_DEP_2) | instskip(NEXT) | instid1(VALU_DEP_2)
	v_cvt_i32_f64_e32 v5, v[38:39]
	v_add_f64_e32 v[14:15], v[16:17], v[14:15]
	s_delay_alu instid0(VALU_DEP_2) | instskip(NEXT) | instid1(VALU_DEP_2)
	v_cvt_f64_i32_e32 v[36:37], v5
	v_add_f64_e32 v[12:13], v[12:13], v[14:15]
	s_delay_alu instid0(VALU_DEP_2) | instskip(NEXT) | instid1(VALU_DEP_2)
	v_add_f64_e64 v[20:21], v[20:21], -v[36:37]
	v_add_f64_e32 v[12:13], v[18:19], v[12:13]
	s_delay_alu instid0(VALU_DEP_2) | instskip(NEXT) | instid1(VALU_DEP_1)
	v_add_f64_e32 v[16:17], v[24:25], v[20:21]
	v_add_f64_e64 v[14:15], v[16:17], -v[20:21]
	v_cmp_le_f64_e32 vcc_lo, 0.5, v[16:17]
	s_delay_alu instid0(VALU_DEP_2) | instskip(SKIP_2) | instid1(VALU_DEP_3)
	v_add_f64_e64 v[14:15], v[24:25], -v[14:15]
	v_cndmask_b32_e64 v35, 0, 0x3ff00000, vcc_lo
	v_add_co_ci_u32_e64 v5, null, 0, v5, vcc_lo
	v_add_f64_e32 v[12:13], v[12:13], v[14:15]
	s_delay_alu instid0(VALU_DEP_3) | instskip(NEXT) | instid1(VALU_DEP_1)
	v_add_f64_e64 v[14:15], v[16:17], -v[34:35]
	v_add_f64_e32 v[16:17], v[14:15], v[12:13]
	s_delay_alu instid0(VALU_DEP_1) | instskip(SKIP_1) | instid1(VALU_DEP_2)
	v_mul_f64_e32 v[18:19], 0x3ff921fb54442d18, v[16:17]
	v_add_f64_e64 v[14:15], v[16:17], -v[14:15]
	v_fma_f64 v[20:21], v[16:17], s[26:27], -v[18:19]
	s_delay_alu instid0(VALU_DEP_2) | instskip(NEXT) | instid1(VALU_DEP_2)
	v_add_f64_e64 v[12:13], v[12:13], -v[14:15]
	v_fmamk_f64 v[14:15], v[16:17], 0x3c91a62633145c07, v[20:21]
	s_delay_alu instid0(VALU_DEP_1) | instskip(NEXT) | instid1(VALU_DEP_1)
	v_fmac_f64_e32 v[14:15], 0x3ff921fb54442d18, v[12:13]
	v_add_f64_e32 v[12:13], v[18:19], v[14:15]
	s_delay_alu instid0(VALU_DEP_1) | instskip(NEXT) | instid1(VALU_DEP_1)
	v_add_f64_e64 v[16:17], v[12:13], -v[18:19]
	v_add_f64_e64 v[14:15], v[14:15], -v[16:17]
	s_and_not1_saveexec_b32 s0, s0
	s_cbranch_execnz .LBB7_219
	s_branch .LBB7_220
.LBB7_218:
	s_and_not1_saveexec_b32 s0, s0
	s_cbranch_execz .LBB7_220
.LBB7_219:
	s_mov_b64 s[26:27], 0x3fe45f306dc9c883
	s_delay_alu instid0(SALU_CYCLE_1) | instskip(SKIP_1) | instid1(VALU_DEP_1)
	v_mul_f64_e64 v[12:13], |v[6:7]|, s[26:27]
	s_mov_b64 s[26:27], 0xbff921fb54442d18
	v_rndne_f64_e32 v[16:17], v[12:13]
	s_delay_alu instid0(VALU_DEP_1) | instskip(SKIP_2) | instid1(VALU_DEP_3)
	v_fma_f64 v[12:13], v[16:17], s[26:27], |v[6:7]|
	v_mul_f64_e32 v[14:15], 0xbc91a62633145c00, v[16:17]
	v_cvt_i32_f64_e32 v5, v[16:17]
	v_fmamk_f64 v[22:23], v[16:17], 0xbc91a62633145c00, v[12:13]
	s_delay_alu instid0(VALU_DEP_3) | instskip(NEXT) | instid1(VALU_DEP_1)
	v_add_f64_e32 v[18:19], v[12:13], v[14:15]
	v_add_f64_e64 v[20:21], v[12:13], -v[18:19]
	s_delay_alu instid0(VALU_DEP_3) | instskip(NEXT) | instid1(VALU_DEP_2)
	v_add_f64_e64 v[12:13], v[18:19], -v[22:23]
	v_add_f64_e32 v[18:19], v[20:21], v[14:15]
	v_fmamk_f64 v[14:15], v[16:17], 0x3c91a62633145c00, v[14:15]
	s_delay_alu instid0(VALU_DEP_2) | instskip(NEXT) | instid1(VALU_DEP_1)
	v_add_f64_e32 v[12:13], v[12:13], v[18:19]
	v_add_f64_e64 v[12:13], v[12:13], -v[14:15]
	s_delay_alu instid0(VALU_DEP_1) | instskip(NEXT) | instid1(VALU_DEP_1)
	v_fmamk_f64 v[14:15], v[16:17], 0xb97b839a252049c0, v[12:13]
	v_add_f64_e32 v[12:13], v[22:23], v[14:15]
	s_delay_alu instid0(VALU_DEP_1) | instskip(NEXT) | instid1(VALU_DEP_1)
	v_add_f64_e64 v[18:19], v[12:13], -v[22:23]
	v_add_f64_e64 v[14:15], v[14:15], -v[18:19]
.LBB7_220:
	s_or_b32 exec_lo, exec_lo, s0
	v_div_scale_f64 v[16:17], null, v[2:3], v[2:3], 0x40140000
	v_div_scale_f64 v[22:23], vcc_lo, 0x40140000, v[2:3], 0x40140000
	v_cmp_gt_f64_e64 s0, 0x10000000, v[2:3]
	v_mov_b64_e32 v[42:43], 0xbe5ae600b42fdfa7
	v_mul_f64_e32 v[60:61], 0.5, v[10:11]
	v_mov_b64_e32 v[56:57], 0xbf2a01a019e83e5c
	v_mov_b64_e32 v[58:59], 0xbe927e4fa17f65f6
	;; [unrolled: 1-line block ×4, first 2 shown]
	v_rcp_f64_e32 v[18:19], v[16:17]
	v_cndmask_b32_e64 v50, 0, 0x100, s0
	s_delay_alu instid0(TRANS32_DEP_1) | instskip(NEXT) | instid1(VALU_DEP_1)
	v_fma_f64 v[20:21], -v[16:17], v[18:19], 1.0
	v_fmac_f64_e32 v[18:19], v[18:19], v[20:21]
	s_delay_alu instid0(VALU_DEP_1) | instskip(NEXT) | instid1(VALU_DEP_1)
	v_fma_f64 v[20:21], -v[16:17], v[18:19], 1.0
	v_fmac_f64_e32 v[18:19], v[18:19], v[20:21]
	s_delay_alu instid0(VALU_DEP_1) | instskip(NEXT) | instid1(VALU_DEP_1)
	v_mul_f64_e32 v[20:21], v[22:23], v[18:19]
	v_fma_f64 v[16:17], -v[16:17], v[20:21], v[22:23]
	s_delay_alu instid0(VALU_DEP_1) | instskip(NEXT) | instid1(VALU_DEP_1)
	v_div_fmas_f64 v[16:17], v[16:17], v[18:19], v[20:21]
	v_div_fixup_f64 v[16:17], v[16:17], v[2:3], 0x40140000
	v_ldexp_f64 v[2:3], v[2:3], v50
	v_mul_f64_e32 v[34:35], v[8:9], v[8:9]
	v_mul_f64_e32 v[36:37], v[12:13], v[12:13]
	s_delay_alu instid0(VALU_DEP_4) | instskip(NEXT) | instid1(VALU_DEP_3)
	v_mul_f64_e32 v[18:19], v[16:17], v[16:17]
	v_mul_f64_e32 v[46:47], 0.5, v[34:35]
	v_mul_f64_e64 v[62:63], v[8:9], -v[34:35]
	v_fmamk_f64 v[44:45], v[34:35], 0x3de5e0b2f9a43bb8, v[42:43]
	v_fmac_f64_e32 v[42:43], 0x3de5e0b2f9a43bb8, v[36:37]
	v_mul_f64_e64 v[72:73], v[12:13], -v[36:37]
	s_delay_alu instid0(VALU_DEP_3) | instskip(NEXT) | instid1(VALU_DEP_1)
	v_fmaak_f64 v[44:45], v[34:35], v[44:45], 0x3ec71de3796cde01
	v_fmaak_f64 v[44:45], v[34:35], v[44:45], 0xbf2a01a019e83e5c
	s_delay_alu instid0(VALU_DEP_1)
	v_fmaak_f64 v[44:45], v[34:35], v[44:45], 0x3f81111111110bb3
	v_fmaak_f64 v[20:21], 0, v[18:19], 0x3f42b89b13443d69
	;; [unrolled: 1-line block ×5, first 2 shown]
	v_add_f64_e64 v[50:51], -v[46:47], 1.0
	v_fmac_f64_e32 v[60:61], v[62:63], v[44:45]
	v_fmaak_f64 v[20:21], v[18:19], v[20:21], 0x3fb19fdd5948aa83
	v_fmaak_f64 v[22:23], v[18:19], v[22:23], 0x3fb2b948a3fec4b6
	;; [unrolled: 1-line block ×4, first 2 shown]
	s_delay_alu instid0(VALU_DEP_4) | instskip(NEXT) | instid1(VALU_DEP_4)
	v_fmaak_f64 v[20:21], v[18:19], v[20:21], 0x3ff1aea9b850eed6
	v_fmaak_f64 v[22:23], v[18:19], v[22:23], 0x3ff208fec21596d6
	s_delay_alu instid0(VALU_DEP_4) | instskip(NEXT) | instid1(VALU_DEP_4)
	v_fmaak_f64 v[24:25], v[18:19], v[24:25], 0x4052f4b99acf1c67
	v_fmaak_f64 v[26:27], v[18:19], v[26:27], 0x40b37a691bfdfe81
	s_delay_alu instid0(VALU_DEP_4) | instskip(NEXT) | instid1(VALU_DEP_4)
	v_fmaak_f64 v[20:21], v[18:19], v[20:21], 0x40144ba2f7d251a1
	v_fmaak_f64 v[22:23], v[18:19], v[22:23], 0x401472c4f8b13a6a
	s_delay_alu instid0(VALU_DEP_4) | instskip(NEXT) | instid1(VALU_DEP_4)
	v_fmaak_f64 v[24:25], v[18:19], v[24:25], 0x4076ec7947aa180d
	v_fmaak_f64 v[26:27], v[18:19], v[26:27], 0x40c2ad28d280d118
	s_delay_alu instid0(VALU_DEP_4) | instskip(NEXT) | instid1(VALU_DEP_4)
	v_fmaak_f64 v[20:21], v[18:19], v[20:21], 0x4020ccb9dda2fd65
	v_fmaak_f64 v[22:23], v[18:19], v[22:23], 0x4020d91c8b5d2f16
	s_delay_alu instid0(VALU_DEP_4) | instskip(NEXT) | instid1(VALU_DEP_4)
	v_fmaak_f64 v[24:25], v[18:19], v[24:25], 0x408636d9b66f6e50
	v_fmaak_f64 v[26:27], v[18:19], v[26:27], 0x40bf3d0aa6973d14
	s_delay_alu instid0(VALU_DEP_4) | instskip(NEXT) | instid1(VALU_DEP_4)
	v_fmaak_f64 v[20:21], v[18:19], v[20:21], 0x4014d6dd4762b4d9
	v_fmaak_f64 v[22:23], v[18:19], v[22:23], 0x4014dbaa142f81a2
	s_delay_alu instid0(VALU_DEP_4) | instskip(NEXT) | instid1(VALU_DEP_4)
	v_fmaak_f64 v[24:25], v[18:19], v[24:25], 0x4082abeab9e802d0
	v_fmaak_f64 v[26:27], v[18:19], v[26:27], 0x40a61462b4bd1781
	v_add_f64_e64 v[64:65], -v[50:51], 1.0
	v_fma_f64 v[60:61], v[34:35], v[60:61], -v[10:11]
	v_fma_f64 v[20:21], v[18:19], v[20:21], 1.0
	v_fma_f64 v[22:23], v[18:19], v[22:23], 1.0
	v_fmaak_f64 v[24:25], v[18:19], v[24:25], 0x406a760a4c54bb0b
	v_fmaak_f64 v[26:27], v[18:19], v[26:27], 0x4075017f6ae75997
	s_delay_alu instid0(VALU_DEP_2) | instskip(NEXT) | instid1(VALU_DEP_1)
	v_fmaak_f64 v[18:19], v[18:19], v[24:25], 0x403934ff4d159eb5
	v_div_scale_f64 v[28:29], null, v[26:27], v[26:27], v[18:19]
	v_add_f64_e64 v[44:45], v[64:65], -v[46:47]
	v_div_scale_f64 v[24:25], null, v[20:21], v[20:21], v[22:23]
	v_div_scale_f64 v[66:67], vcc_lo, v[22:23], v[20:21], v[22:23]
	s_delay_alu instid0(VALU_DEP_4) | instskip(NEXT) | instid1(VALU_DEP_2)
	v_rcp_f64_e32 v[32:33], v[28:29]
	v_rcp_f64_e32 v[30:31], v[24:25]
	s_delay_alu instid0(TRANS32_DEP_2) | instskip(NEXT) | instid1(TRANS32_DEP_1)
	v_fma_f64 v[40:41], -v[28:29], v[32:33], 1.0
	v_fma_f64 v[38:39], -v[24:25], v[30:31], 1.0
	s_delay_alu instid0(VALU_DEP_2) | instskip(SKIP_1) | instid1(VALU_DEP_3)
	v_fmac_f64_e32 v[32:33], v[32:33], v[40:41]
	v_mov_b64_e32 v[40:41], 0x3e21eeb69037ab78
	v_fmac_f64_e32 v[30:31], v[30:31], v[38:39]
	v_mov_b64_e32 v[38:39], 0x3ec71de3796cde01
	s_delay_alu instid0(VALU_DEP_1) | instskip(NEXT) | instid1(VALU_DEP_4)
	v_fmac_f64_e32 v[38:39], v[36:37], v[42:43]
	v_fmamk_f64 v[42:43], v[34:35], 0xbda907db46cc5e42, v[40:41]
	v_fmac_f64_e32 v[40:41], 0xbda907db46cc5e42, v[36:37]
	v_fma_f64 v[54:55], -v[28:29], v[32:33], 1.0
	s_delay_alu instid0(VALU_DEP_3) | instskip(NEXT) | instid1(VALU_DEP_1)
	v_fmaak_f64 v[42:43], v[34:35], v[42:43], 0xbe927e4fa17f65f6
	v_fmaak_f64 v[42:43], v[34:35], v[42:43], 0x3efa01a019f4ec90
	s_delay_alu instid0(VALU_DEP_1)
	v_fmaak_f64 v[42:43], v[34:35], v[42:43], 0xbf56c16c16c16967
	v_fma_f64 v[52:53], -v[24:25], v[30:31], 1.0
	v_fmac_f64_e32 v[56:57], v[36:37], v[38:39]
	v_fmac_f64_e32 v[58:59], v[36:37], v[40:41]
	v_rsq_f64_e32 v[40:41], v[2:3]
	v_fmac_f64_e32 v[32:33], v[32:33], v[54:55]
	v_mov_b64_e32 v[54:55], 0x3f81111111110bb3
	v_fmac_f64_e32 v[30:31], v[30:31], v[52:53]
	v_div_scale_f64 v[52:53], s1, v[18:19], v[26:27], v[18:19]
	s_delay_alu instid0(VALU_DEP_3) | instskip(SKIP_1) | instid1(VALU_DEP_4)
	v_fmac_f64_e32 v[54:55], v[36:37], v[56:57]
	v_fmac_f64_e32 v[68:69], v[36:37], v[58:59]
	v_mul_f64_e32 v[46:47], v[66:67], v[30:31]
	s_delay_alu instid0(VALU_DEP_4) | instskip(NEXT) | instid1(VALU_DEP_3)
	v_mul_f64_e32 v[64:65], v[52:53], v[32:33]
	v_fmac_f64_e32 v[74:75], v[36:37], v[68:69]
	s_delay_alu instid0(VALU_DEP_3) | instskip(NEXT) | instid1(VALU_DEP_3)
	v_fma_f64 v[24:25], -v[24:25], v[46:47], v[66:67]
	v_fma_f64 v[28:29], -v[28:29], v[64:65], v[52:53]
	v_mul_f64_e32 v[66:67], v[36:37], v[36:37]
	s_delay_alu instid0(VALU_DEP_3)
	v_div_fmas_f64 v[24:25], v[24:25], v[30:31], v[46:47]
	s_mov_b32 vcc_lo, s1
	v_cmp_class_f64_e64 s1, v[6:7], 0x1f8
	v_and_b32_e32 v6, 1, v5
	v_div_fmas_f64 v[28:29], v[28:29], v[32:33], v[64:65]
	v_dual_mul_f64 v[70:71], 0.5, v[14:15] :: v_dual_lshlrev_b32 v5, 30, v5
	v_fmac_f64_e32 v[60:61], 0xbfc5555555555555, v[62:63]
	s_delay_alu instid0(VALU_DEP_4) | instskip(SKIP_3) | instid1(TRANS32_DEP_1)
	v_cmp_eq_u32_e64 s2, 0, v6
	v_mul_f64_e32 v[48:49], 0.5, v[36:37]
	v_div_fixup_f64 v[18:19], v[28:29], v[26:27], v[18:19]
	v_dual_lshlrev_b32 v1, 30, v1 :: v_dual_bitop2_b32 v26, 1, v1 bitop3:0x40
	v_mul_f64_e32 v[58:59], v[2:3], v[40:41]
	v_mul_f64_e32 v[40:41], 0.5, v[40:41]
	v_add_f64_e64 v[38:39], -v[48:49], 1.0
	v_fmac_f64_e32 v[70:71], v[72:73], v[54:55]
	v_xor_b32_e32 v1, v1, v7
	v_fma_f64 v[10:11], v[8:9], -v[10:11], v[44:45]
	v_mov_b64_e32 v[44:45], 0x3fa5555555555555
	v_mul_f64_e32 v[54:55], v[34:35], v[34:35]
	v_fmaak_f64 v[34:35], v[34:35], v[42:43], 0x3fa5555555555555
	v_add_f64_e64 v[8:9], v[8:9], -v[60:61]
	v_cmp_eq_u32_e32 vcc_lo, 0, v26
	v_fmac_f64_e32 v[44:45], v[36:37], v[74:75]
	v_mul_f64_e32 v[16:17], v[16:17], v[18:19]
	v_div_fixup_f64 v[18:19], v[24:25], v[20:21], v[22:23]
	v_add_f64_e64 v[56:57], -v[38:39], 1.0
	v_fma_f64 v[52:53], v[36:37], v[70:71], -v[14:15]
	v_fmac_f64_e32 v[10:11], v[54:55], v[34:35]
	s_delay_alu instid0(VALU_DEP_3) | instskip(SKIP_1) | instid1(VALU_DEP_4)
	v_add_f64_e64 v[48:49], v[56:57], -v[48:49]
	v_fma_f64 v[56:57], -v[40:41], v[58:59], 0.5
	v_fmac_f64_e32 v[52:53], 0xbfc5555555555555, v[72:73]
	s_delay_alu instid0(VALU_DEP_4) | instskip(NEXT) | instid1(VALU_DEP_4)
	v_add_f64_e32 v[10:11], v[50:51], v[10:11]
	v_fma_f64 v[14:15], v[12:13], -v[14:15], v[48:49]
	s_delay_alu instid0(VALU_DEP_4)
	v_fmac_f64_e32 v[58:59], v[58:59], v[56:57]
	v_fmac_f64_e32 v[40:41], v[40:41], v[56:57]
	v_add_f64_e64 v[12:13], v[12:13], -v[52:53]
	v_cndmask_b32_e32 v8, v10, v8, vcc_lo
	v_fmac_f64_e32 v[14:15], v[66:67], v[44:45]
	v_fma_f64 v[30:31], -v[58:59], v[58:59], v[2:3]
	s_delay_alu instid0(VALU_DEP_4) | instskip(NEXT) | instid1(VALU_DEP_3)
	v_xor_b32_e32 v6, 0x80000000, v13
	v_add_f64_e32 v[14:15], v[38:39], v[14:15]
	s_delay_alu instid0(VALU_DEP_3) | instskip(NEXT) | instid1(VALU_DEP_2)
	v_fmac_f64_e32 v[58:59], v[30:31], v[40:41]
	v_dual_cndmask_b32 v6, v6, v15, s2 :: v_dual_cndmask_b32 v10, v12, v14, s2
	s_delay_alu instid0(VALU_DEP_2) | instskip(NEXT) | instid1(VALU_DEP_2)
	v_fma_f64 v[12:13], -v[58:59], v[58:59], v[2:3]
	v_bitop3_b32 v5, v6, v5, 0x80000000 bitop3:0x78
	s_delay_alu instid0(VALU_DEP_3) | instskip(NEXT) | instid1(VALU_DEP_2)
	v_dual_cndmask_b32 v14, 0, v10, s1 :: v_dual_cndmask_b32 v6, 0, v8, s1
	v_cndmask_b32_e64 v15, 0x7ff80000, v5, s1
	v_cndmask_b32_e32 v5, v11, v9, vcc_lo
	v_cmp_class_f64_e64 vcc_lo, v[2:3], 0x260
	s_delay_alu instid0(VALU_DEP_3) | instskip(NEXT) | instid1(VALU_DEP_3)
	v_mul_f64_e32 v[14:15], v[16:17], v[14:15]
	v_bitop3_b32 v1, v5, v1, 0x80000000 bitop3:0x78
	s_delay_alu instid0(VALU_DEP_1) | instskip(SKIP_2) | instid1(VALU_DEP_3)
	v_cndmask_b32_e64 v7, 0x7ff80000, v1, s1
	v_cndmask_b32_e64 v1, 0, 0xffffff80, s0
	v_fmac_f64_e32 v[58:59], v[12:13], v[40:41]
	v_fmac_f64_e32 v[14:15], v[18:19], v[6:7]
	s_delay_alu instid0(VALU_DEP_2) | instskip(NEXT) | instid1(VALU_DEP_2)
	v_ldexp_f64 v[6:7], v[58:59], v1
	v_mul_f64_e32 v[8:9], 0x3fe9884533d43651, v[14:15]
	s_delay_alu instid0(VALU_DEP_2) | instskip(NEXT) | instid1(VALU_DEP_1)
	v_dual_cndmask_b32 v3, v7, v3 :: v_dual_cndmask_b32 v2, v6, v2
	v_div_scale_f64 v[6:7], null, v[2:3], v[2:3], v[8:9]
	s_delay_alu instid0(VALU_DEP_1) | instskip(SKIP_1) | instid1(TRANS32_DEP_1)
	v_rcp_f64_e32 v[10:11], v[6:7]
	v_nop
	v_fma_f64 v[12:13], -v[6:7], v[10:11], 1.0
	s_delay_alu instid0(VALU_DEP_1) | instskip(NEXT) | instid1(VALU_DEP_1)
	v_fmac_f64_e32 v[10:11], v[10:11], v[12:13]
	v_fma_f64 v[12:13], -v[6:7], v[10:11], 1.0
	s_delay_alu instid0(VALU_DEP_1) | instskip(SKIP_1) | instid1(VALU_DEP_1)
	v_fmac_f64_e32 v[10:11], v[10:11], v[12:13]
	v_div_scale_f64 v[12:13], vcc_lo, v[8:9], v[2:3], v[8:9]
	v_mul_f64_e32 v[14:15], v[12:13], v[10:11]
	s_delay_alu instid0(VALU_DEP_1) | instskip(NEXT) | instid1(VALU_DEP_1)
	v_fma_f64 v[6:7], -v[6:7], v[14:15], v[12:13]
	v_div_fmas_f64 v[6:7], v[6:7], v[10:11], v[14:15]
	s_delay_alu instid0(VALU_DEP_1)
	v_div_fixup_f64 v[6:7], v[6:7], v[2:3], v[8:9]
.LBB7_221:
	s_or_b32 exec_lo, exec_lo, s24
	v_add_nc_u32_e32 v4, 0x80, v4
	global_store_b64 v0, v[6:7], s[4:5]
	s_wait_xcnt 0x0
	s_or_b32 exec_lo, exec_lo, s9
	s_delay_alu instid0(SALU_CYCLE_1)
	s_mov_b32 s9, exec_lo
	v_cmpx_gt_i32_e64 s34, v4
	s_cbranch_execz .LBB7_196
.LBB7_222:
	s_and_not1_b32 vcc_lo, exec_lo, s30
	s_cbranch_vccnz .LBB7_227
; %bb.223:
	s_and_not1_b32 vcc_lo, exec_lo, s36
	s_cbranch_vccnz .LBB7_228
; %bb.224:
	s_add_co_i32 s35, s35, 1
	s_cmp_eq_u32 s29, 2
	s_cbranch_scc1 .LBB7_229
; %bb.225:
	v_dual_mov_b32 v0, 0 :: v_dual_mov_b32 v1, 0
	v_mov_b32_e32 v2, v4
	s_and_b32 s0, s35, 28
	s_mov_b32 s1, 0
	s_mov_b64 s[24:25], s[16:17]
.LBB7_226:                              ; =>This Inner Loop Header: Depth=1
	s_clause 0x1
	s_load_b256 s[36:43], s[24:25], 0x4
	s_load_b128 s[52:55], s[24:25], 0x24
	s_load_b256 s[44:51], s[22:23], 0x0
	s_add_co_i32 s1, s1, 4
	s_wait_xcnt 0x0
	s_add_nc_u64 s[24:25], s[24:25], 48
	s_cmp_eq_u32 s0, s1
	s_add_nc_u64 s[22:23], s[22:23], 32
	s_wait_kmcnt 0x0
	v_mul_hi_u32 v3, s37, v2
	s_delay_alu instid0(VALU_DEP_1) | instskip(NEXT) | instid1(VALU_DEP_1)
	v_add_nc_u32_e32 v3, v2, v3
	v_lshrrev_b32_e32 v3, s38, v3
	s_delay_alu instid0(VALU_DEP_1) | instskip(NEXT) | instid1(VALU_DEP_1)
	v_mul_hi_u32 v5, s40, v3
	v_add_nc_u32_e32 v5, v3, v5
	s_delay_alu instid0(VALU_DEP_1) | instskip(NEXT) | instid1(VALU_DEP_1)
	v_lshrrev_b32_e32 v5, s41, v5
	v_mul_hi_u32 v6, s43, v5
	s_delay_alu instid0(VALU_DEP_1) | instskip(SKIP_1) | instid1(VALU_DEP_1)
	v_add_nc_u32_e32 v6, v5, v6
	v_mul_lo_u32 v7, v3, s36
	v_sub_nc_u32_e32 v2, v2, v7
	v_mul_lo_u32 v7, v5, s39
	s_delay_alu instid0(VALU_DEP_4) | instskip(NEXT) | instid1(VALU_DEP_3)
	v_lshrrev_b32_e32 v6, s52, v6
	v_mad_u32 v1, v2, s45, v1
	v_mad_u32 v0, v2, s44, v0
	s_delay_alu instid0(VALU_DEP_4) | instskip(NEXT) | instid1(VALU_DEP_4)
	v_sub_nc_u32_e32 v2, v3, v7
	v_mul_hi_u32 v8, s54, v6
	v_mul_lo_u32 v3, v6, s42
	s_delay_alu instid0(VALU_DEP_3) | instskip(SKIP_1) | instid1(VALU_DEP_3)
	v_mad_u32 v1, v2, s47, v1
	v_mad_u32 v0, v2, s46, v0
	v_dual_add_nc_u32 v7, v6, v8 :: v_dual_sub_nc_u32 v3, v5, v3
	s_delay_alu instid0(VALU_DEP_1) | instskip(NEXT) | instid1(VALU_DEP_2)
	v_lshrrev_b32_e32 v2, s55, v7
	v_mad_u32 v1, v3, s49, v1
	s_delay_alu instid0(VALU_DEP_4) | instskip(NEXT) | instid1(VALU_DEP_3)
	v_mad_u32 v0, v3, s48, v0
	v_mul_lo_u32 v5, v2, s53
	s_delay_alu instid0(VALU_DEP_1) | instskip(NEXT) | instid1(VALU_DEP_1)
	v_sub_nc_u32_e32 v3, v6, v5
	v_mad_u32 v1, v3, s51, v1
	s_delay_alu instid0(VALU_DEP_4)
	v_mad_u32 v0, v3, s50, v0
	s_cbranch_scc0 .LBB7_226
	s_branch .LBB7_230
.LBB7_227:
                                        ; implicit-def: $vgpr1
	s_branch .LBB7_234
.LBB7_228:
	v_dual_mov_b32 v1, 0 :: v_dual_mov_b32 v0, 0
	s_branch .LBB7_233
.LBB7_229:
	v_mov_b64_e32 v[0:1], 0
	v_mov_b32_e32 v2, v4
	s_mov_b32 s0, 0
.LBB7_230:
	s_and_b32 s2, s35, 3
	s_mov_b32 s1, 0
	s_cmp_eq_u32 s2, 0
	s_cbranch_scc1 .LBB7_233
; %bb.231:
	s_lshl_b32 s22, s0, 3
	s_mov_b32 s23, s1
	s_mul_u64 s[24:25], s[0:1], 12
	s_add_nc_u64 s[22:23], s[16:17], s[22:23]
	s_delay_alu instid0(SALU_CYCLE_1)
	s_add_nc_u64 s[0:1], s[22:23], 0xc4
	s_add_nc_u64 s[22:23], s[16:17], s[24:25]
.LBB7_232:                              ; =>This Inner Loop Header: Depth=1
	s_load_b96 s[24:26], s[22:23], 0x4
	s_add_co_i32 s2, s2, -1
	s_wait_xcnt 0x0
	s_add_nc_u64 s[22:23], s[22:23], 12
	s_cmp_lg_u32 s2, 0
	s_wait_kmcnt 0x0
	v_mul_hi_u32 v3, s25, v2
	s_delay_alu instid0(VALU_DEP_1) | instskip(NEXT) | instid1(VALU_DEP_1)
	v_add_nc_u32_e32 v3, v2, v3
	v_lshrrev_b32_e32 v3, s26, v3
	s_load_b64 s[26:27], s[0:1], 0x0
	s_wait_xcnt 0x0
	s_add_nc_u64 s[0:1], s[0:1], 8
	s_delay_alu instid0(VALU_DEP_1) | instskip(NEXT) | instid1(VALU_DEP_1)
	v_mul_lo_u32 v5, v3, s24
	v_sub_nc_u32_e32 v2, v2, v5
	s_wait_kmcnt 0x0
	s_delay_alu instid0(VALU_DEP_1)
	v_mad_u32 v1, v2, s27, v1
	v_mad_u32 v0, v2, s26, v0
	v_mov_b32_e32 v2, v3
	s_cbranch_scc1 .LBB7_232
.LBB7_233:
	s_cbranch_execnz .LBB7_236
.LBB7_234:
	v_mov_b32_e32 v5, 0
	s_and_not1_b32 vcc_lo, exec_lo, s33
	s_delay_alu instid0(VALU_DEP_1) | instskip(NEXT) | instid1(VALU_DEP_1)
	v_mul_u64_e32 v[0:1], s[18:19], v[4:5]
	v_add_nc_u32_e32 v0, v4, v1
	s_delay_alu instid0(VALU_DEP_1) | instskip(NEXT) | instid1(VALU_DEP_1)
	v_lshrrev_b32_e32 v2, s10, v0
	v_mul_lo_u32 v0, v2, s8
	s_delay_alu instid0(VALU_DEP_1) | instskip(NEXT) | instid1(VALU_DEP_1)
	v_sub_nc_u32_e32 v0, v4, v0
	v_mul_lo_u32 v1, v0, s13
	v_mul_lo_u32 v0, v0, s12
	s_cbranch_vccnz .LBB7_236
; %bb.235:
	v_mov_b32_e32 v3, v5
	s_delay_alu instid0(VALU_DEP_1) | instskip(NEXT) | instid1(VALU_DEP_1)
	v_mul_u64_e32 v[4:5], s[20:21], v[2:3]
	v_add_nc_u32_e32 v3, v2, v5
	s_delay_alu instid0(VALU_DEP_1) | instskip(NEXT) | instid1(VALU_DEP_1)
	v_lshrrev_b32_e32 v3, s3, v3
	v_mul_lo_u32 v3, v3, s11
	s_delay_alu instid0(VALU_DEP_1) | instskip(NEXT) | instid1(VALU_DEP_1)
	v_sub_nc_u32_e32 v2, v2, v3
	v_mad_u32 v0, v2, s14, v0
	v_mad_u32 v1, v2, s15, v1
.LBB7_236:
	global_load_b64 v[2:3], v1, s[6:7]
                                        ; implicit-def: $vgpr4_vgpr5
	s_mov_b32 s0, exec_lo
	s_wait_loadcnt 0x0
	v_cmpx_ge_f64_e32 0x40140000, v[2:3]
	s_xor_b32 s1, exec_lo, s0
	s_cbranch_execz .LBB7_242
; %bb.237:
	v_mov_b64_e32 v[4:5], 0xfff0000000000000
	s_mov_b32 s2, exec_lo
	v_cmpx_neq_f64_e32 0, v[2:3]
	s_cbranch_execz .LBB7_241
; %bb.238:
	v_mov_b64_e32 v[4:5], 0x7ff8000000000000
	s_mov_b32 s3, exec_lo
	v_cmpx_nge_f64_e32 0, v[2:3]
	s_cbranch_execz .LBB7_240
; %bb.239:
	v_frexp_mant_f64_e32 v[4:5], v[2:3]
	s_mov_b64 s[6:7], 0x3fe5555555555555
	s_delay_alu instid0(VALU_DEP_1) | instid1(SALU_CYCLE_1)
	v_cmp_gt_f64_e32 vcc_lo, s[6:7], v[4:5]
	s_mov_b64 s[6:7], 0x3fc3ab76bf559e2b
	v_cndmask_b32_e64 v1, 0, 1, vcc_lo
	s_delay_alu instid0(VALU_DEP_1) | instskip(SKIP_1) | instid1(VALU_DEP_2)
	v_ldexp_f64 v[4:5], v[4:5], v1
	v_frexp_exp_i32_f64_e32 v1, v[2:3]
	v_add_f64_e32 v[6:7], 1.0, v[4:5]
	v_add_f64_e32 v[12:13], -1.0, v[4:5]
	s_delay_alu instid0(VALU_DEP_3) | instskip(NEXT) | instid1(VALU_DEP_3)
	v_subrev_co_ci_u32_e64 v1, null, 0, v1, vcc_lo
	v_rcp_f64_e32 v[8:9], v[6:7]
	v_add_f64_e32 v[14:15], -1.0, v[6:7]
	s_delay_alu instid0(VALU_DEP_1) | instskip(NEXT) | instid1(TRANS32_DEP_1)
	v_add_f64_e64 v[4:5], v[4:5], -v[14:15]
	v_fma_f64 v[10:11], -v[6:7], v[8:9], 1.0
	s_delay_alu instid0(VALU_DEP_1) | instskip(NEXT) | instid1(VALU_DEP_1)
	v_fmac_f64_e32 v[8:9], v[10:11], v[8:9]
	v_fma_f64 v[10:11], -v[6:7], v[8:9], 1.0
	s_delay_alu instid0(VALU_DEP_1) | instskip(NEXT) | instid1(VALU_DEP_1)
	v_fmac_f64_e32 v[8:9], v[10:11], v[8:9]
	v_mul_f64_e32 v[10:11], v[12:13], v[8:9]
	s_delay_alu instid0(VALU_DEP_1) | instskip(NEXT) | instid1(VALU_DEP_1)
	v_mul_f64_e32 v[16:17], v[6:7], v[10:11]
	v_fma_f64 v[6:7], v[10:11], v[6:7], -v[16:17]
	s_delay_alu instid0(VALU_DEP_1) | instskip(NEXT) | instid1(VALU_DEP_1)
	v_fmac_f64_e32 v[6:7], v[10:11], v[4:5]
	v_add_f64_e32 v[4:5], v[16:17], v[6:7]
	s_delay_alu instid0(VALU_DEP_1) | instskip(SKIP_1) | instid1(VALU_DEP_2)
	v_add_f64_e64 v[14:15], v[12:13], -v[4:5]
	v_add_f64_e64 v[16:17], v[4:5], -v[16:17]
	;; [unrolled: 1-line block ×3, first 2 shown]
	s_delay_alu instid0(VALU_DEP_2) | instskip(SKIP_1) | instid1(VALU_DEP_3)
	v_add_f64_e64 v[6:7], v[16:17], -v[6:7]
	v_cvt_f64_i32_e32 v[16:17], v1
	v_add_f64_e64 v[4:5], v[12:13], -v[4:5]
	s_delay_alu instid0(VALU_DEP_2) | instskip(NEXT) | instid1(VALU_DEP_2)
	v_mul_f64_e32 v[22:23], 0x3fe62e42fefa39ef, v[16:17]
	v_add_f64_e32 v[4:5], v[6:7], v[4:5]
	s_delay_alu instid0(VALU_DEP_1) | instskip(NEXT) | instid1(VALU_DEP_1)
	v_add_f64_e32 v[4:5], v[14:15], v[4:5]
	v_mul_f64_e32 v[4:5], v[8:9], v[4:5]
	s_delay_alu instid0(VALU_DEP_1) | instskip(NEXT) | instid1(VALU_DEP_1)
	v_add_f64_e32 v[6:7], v[10:11], v[4:5]
	v_mul_f64_e32 v[8:9], v[6:7], v[6:7]
	s_delay_alu instid0(VALU_DEP_1) | instskip(SKIP_2) | instid1(SALU_CYCLE_1)
	v_fmaak_f64 v[12:13], s[6:7], v[8:9], 0x3fc385386b47b09a
	v_mul_f64_e32 v[14:15], v[6:7], v[8:9]
	s_mov_b64 s[6:7], 0x3fe62e42fefa39ef
	v_fma_f64 v[26:27], v[16:17], s[6:7], -v[22:23]
	s_delay_alu instid0(VALU_DEP_3) | instskip(NEXT) | instid1(VALU_DEP_1)
	v_fmaak_f64 v[12:13], v[8:9], v[12:13], 0x3fc7474dd7f4df2e
	v_fmaak_f64 v[12:13], v[8:9], v[12:13], 0x3fcc71c016291751
	s_delay_alu instid0(VALU_DEP_1) | instskip(NEXT) | instid1(VALU_DEP_1)
	v_fmaak_f64 v[12:13], v[8:9], v[12:13], 0x3fd249249b27acf1
	v_fmaak_f64 v[12:13], v[8:9], v[12:13], 0x3fd99999998ef7b6
	s_delay_alu instid0(VALU_DEP_1) | instskip(SKIP_3) | instid1(VALU_DEP_4)
	v_fmaak_f64 v[8:9], v[8:9], v[12:13], 0x3fe5555555555780
	v_ldexp_f64 v[12:13], v[6:7], 1
	v_add_f64_e64 v[6:7], v[6:7], -v[10:11]
	v_fmamk_f64 v[16:17], v[16:17], 0x3c7abc9e3b39803f, v[26:27]
	v_mul_f64_e32 v[8:9], v[14:15], v[8:9]
	v_mul_f64_e32 v[14:15], v[2:3], v[2:3]
	s_delay_alu instid0(VALU_DEP_3) | instskip(SKIP_1) | instid1(VALU_DEP_4)
	v_add_f64_e32 v[26:27], v[22:23], v[16:17]
	v_add_f64_e64 v[4:5], v[4:5], -v[6:7]
	v_add_f64_e32 v[10:11], v[12:13], v[8:9]
	s_delay_alu instid0(VALU_DEP_4)
	v_fmaak_f64 v[18:19], 0, v[14:15], 0x40829269a93f7ac2
	v_fmaak_f64 v[20:21], 0, v[14:15], 0x408366b11b7086e7
	;; [unrolled: 1-line block ×3, first 2 shown]
	v_add_f64_e64 v[22:23], v[26:27], -v[22:23]
	v_ldexp_f64 v[4:5], v[4:5], 1
	v_add_f64_e64 v[6:7], v[10:11], -v[12:13]
	v_fmaak_f64 v[12:13], v[14:15], v[18:19], 0x410cc160be58ef7f
	v_fmaak_f64 v[18:19], v[14:15], v[20:21], 0x410f5eda0dd701b2
	;; [unrolled: 1-line block ×3, first 2 shown]
	v_add_f64_e64 v[16:17], v[16:17], -v[22:23]
	s_delay_alu instid0(VALU_DEP_4) | instskip(NEXT) | instid1(VALU_DEP_4)
	v_fmaak_f64 v[12:13], v[14:15], v[12:13], 0x419184efa9c8acee
	v_fmaak_f64 v[18:19], v[14:15], v[18:19], 0x4193e954dc92a1b1
	s_delay_alu instid0(VALU_DEP_4) | instskip(NEXT) | instid1(VALU_DEP_3)
	v_fmaak_f64 v[20:21], v[14:15], v[20:21], 0xc262d72d58836521
	v_fmaak_f64 v[12:13], v[14:15], v[12:13], 0x421178c3906b7b83
	s_delay_alu instid0(VALU_DEP_3) | instskip(NEXT) | instid1(VALU_DEP_3)
	v_fmaak_f64 v[18:19], v[14:15], v[18:19], 0x4214a13f7befeac1
	v_fmaak_f64 v[20:21], v[14:15], v[20:21], 0x42da0954b0910fef
	s_delay_alu instid0(VALU_DEP_3) | instskip(NEXT) | instid1(VALU_DEP_3)
	;; [unrolled: 3-line block ×4, first 2 shown]
	v_fmaak_f64 v[18:19], v[14:15], v[18:19], 0x43064b0a3eccf45f
	v_fmaak_f64 v[20:21], v[14:15], v[20:21], 0x438679ad0b7366b1
	v_add_f64_e64 v[6:7], v[8:9], -v[6:7]
	v_fmaak_f64 v[8:9], v[14:15], v[24:25], 0x425a52ba0d438c6b
	v_fmaak_f64 v[12:13], v[14:15], v[12:13], 0x436e83e3c547a488
	v_fmaak_f64 v[18:19], v[14:15], v[18:19], 0x4373e0bff4653f81
	v_fmaak_f64 v[20:21], v[14:15], v[20:21], 0xc3a59e415dde2b17
	s_delay_alu instid0(VALU_DEP_4) | instskip(NEXT) | instid1(VALU_DEP_4)
	v_fmaak_f64 v[8:9], v[14:15], v[8:9], 0xc2d08a92e6ccf175
	v_fmaak_f64 v[12:13], v[14:15], v[12:13], 0x43cb90f190f6747f
	s_delay_alu instid0(VALU_DEP_2) | instskip(SKIP_1) | instid1(VALU_DEP_3)
	v_fmaak_f64 v[8:9], v[14:15], v[8:9], 0x432a2b42a697c482
	v_fmaak_f64 v[14:15], v[14:15], v[18:19], 0x43d2779576702939
	v_div_scale_f64 v[18:19], null, v[12:13], v[12:13], v[20:21]
	v_div_scale_f64 v[46:47], vcc_lo, v[20:21], v[12:13], v[20:21]
	s_delay_alu instid0(VALU_DEP_3) | instskip(SKIP_1) | instid1(VALU_DEP_4)
	v_div_scale_f64 v[24:25], null, v[14:15], v[14:15], v[8:9]
	v_add_f64_e32 v[4:5], v[4:5], v[6:7]
	v_rcp_f64_e32 v[6:7], v[18:19]
	s_delay_alu instid0(VALU_DEP_2) | instskip(NEXT) | instid1(VALU_DEP_1)
	v_rcp_f64_e32 v[28:29], v[24:25]
	v_add_f64_e32 v[30:31], v[10:11], v[4:5]
	s_delay_alu instid0(TRANS32_DEP_2) | instskip(NEXT) | instid1(TRANS32_DEP_1)
	v_fma_f64 v[32:33], -v[18:19], v[6:7], 1.0
	v_fma_f64 v[34:35], -v[24:25], v[28:29], 1.0
	s_delay_alu instid0(VALU_DEP_3) | instskip(SKIP_1) | instid1(VALU_DEP_4)
	v_add_f64_e32 v[36:37], v[26:27], v[30:31]
	v_add_f64_e64 v[10:11], v[30:31], -v[10:11]
	v_fmac_f64_e32 v[6:7], v[6:7], v[32:33]
	v_div_scale_f64 v[32:33], null, v[2:3], v[2:3], -1.0
	v_fmac_f64_e32 v[28:29], v[28:29], v[34:35]
	v_add_f64_e64 v[34:35], v[36:37], -v[26:27]
	v_add_f64_e64 v[4:5], v[4:5], -v[10:11]
	v_fma_f64 v[38:39], -v[18:19], v[6:7], 1.0
	v_rcp_f64_e32 v[40:41], v[32:33]
	s_delay_alu instid0(VALU_DEP_4) | instskip(NEXT) | instid1(VALU_DEP_4)
	v_fma_f64 v[42:43], -v[24:25], v[28:29], 1.0
	v_add_f64_e64 v[44:45], v[36:37], -v[34:35]
	v_add_f64_e64 v[10:11], v[30:31], -v[34:35]
	s_delay_alu instid0(VALU_DEP_4) | instskip(SKIP_4) | instid1(TRANS32_DEP_1)
	v_fmac_f64_e32 v[6:7], v[6:7], v[38:39]
	v_div_scale_f64 v[38:39], s0, v[8:9], v[14:15], v[8:9]
	v_fmac_f64_e32 v[28:29], v[28:29], v[42:43]
	v_add_f64_e32 v[42:43], v[16:17], v[4:5]
	v_add_f64_e64 v[22:23], v[26:27], -v[44:45]
	v_fma_f64 v[26:27], -v[32:33], v[40:41], 1.0
	v_mul_f64_e32 v[30:31], v[46:47], v[6:7]
	v_mul_f64_e32 v[34:35], v[38:39], v[28:29]
	s_delay_alu instid0(VALU_DEP_4) | instskip(NEXT) | instid1(VALU_DEP_4)
	v_add_f64_e32 v[10:11], v[10:11], v[22:23]
	v_fmac_f64_e32 v[40:41], v[40:41], v[26:27]
	s_delay_alu instid0(VALU_DEP_4) | instskip(NEXT) | instid1(VALU_DEP_4)
	v_fma_f64 v[18:19], -v[18:19], v[30:31], v[46:47]
	v_fma_f64 v[22:23], -v[24:25], v[34:35], v[38:39]
	v_add_f64_e64 v[24:25], v[42:43], -v[16:17]
	v_add_f64_e32 v[10:11], v[42:43], v[10:11]
	v_fma_f64 v[26:27], -v[32:33], v[40:41], 1.0
	v_div_fmas_f64 v[6:7], v[18:19], v[6:7], v[30:31]
	s_mov_b32 vcc_lo, s0
	v_div_fmas_f64 v[18:19], v[22:23], v[28:29], v[34:35]
	v_add_f64_e64 v[22:23], v[42:43], -v[24:25]
	v_div_scale_f64 v[30:31], vcc_lo, -1.0, v[2:3], -1.0
	v_add_f64_e32 v[28:29], v[36:37], v[10:11]
	v_fmac_f64_e32 v[40:41], v[40:41], v[26:27]
	v_add_f64_e64 v[4:5], v[4:5], -v[24:25]
	v_div_fixup_f64 v[6:7], v[6:7], v[12:13], v[20:21]
	v_div_fixup_f64 v[8:9], v[18:19], v[14:15], v[8:9]
	v_add_f64_e64 v[14:15], v[16:17], -v[22:23]
	v_add_f64_e64 v[16:17], v[28:29], -v[36:37]
	v_mul_f64_e32 v[18:19], v[30:31], v[40:41]
	s_delay_alu instid0(VALU_DEP_4) | instskip(NEXT) | instid1(VALU_DEP_4)
	v_mul_f64_e32 v[8:9], v[2:3], v[8:9]
	v_add_f64_e32 v[4:5], v[4:5], v[14:15]
	s_delay_alu instid0(VALU_DEP_4) | instskip(NEXT) | instid1(VALU_DEP_4)
	v_add_f64_e64 v[10:11], v[10:11], -v[16:17]
	v_fma_f64 v[14:15], -v[32:33], v[18:19], v[30:31]
	v_fmaak_f64 v[16:17], v[2:3], v[2:3], 0xc02d5d2b4189822c
	s_delay_alu instid0(VALU_DEP_1) | instskip(NEXT) | instid1(VALU_DEP_4)
	v_mul_f64_e32 v[8:9], v[16:17], v[8:9]
	v_add_f64_e32 v[4:5], v[4:5], v[10:11]
	s_delay_alu instid0(VALU_DEP_4) | instskip(SKIP_1) | instid1(VALU_DEP_1)
	v_div_fmas_f64 v[10:11], v[14:15], v[40:41], v[18:19]
	v_fmaak_f64 v[14:15], v[2:3], v[2:3], 0xc0489bf66072a432
	v_mul_f64_e32 v[8:9], v[14:15], v[8:9]
	s_delay_alu instid0(VALU_DEP_4) | instskip(NEXT) | instid1(VALU_DEP_4)
	v_add_f64_e32 v[4:5], v[28:29], v[4:5]
	v_div_fixup_f64 v[10:11], v[10:11], v[2:3], -1.0
	s_delay_alu instid0(VALU_DEP_1) | instskip(NEXT) | instid1(VALU_DEP_1)
	v_fmac_f64_e32 v[10:11], v[8:9], v[4:5]
	v_mul_f64_e32 v[4:5], 0x3fe45f306dc9c883, v[10:11]
	s_delay_alu instid0(VALU_DEP_1)
	v_fmac_f64_e32 v[4:5], v[2:3], v[6:7]
.LBB7_240:
	s_or_b32 exec_lo, exec_lo, s3
.LBB7_241:
	s_delay_alu instid0(SALU_CYCLE_1)
	s_or_b32 exec_lo, exec_lo, s2
                                        ; implicit-def: $vgpr2_vgpr3
.LBB7_242:
	s_and_not1_saveexec_b32 s3, s1
	s_cbranch_execz .LBB7_252
; %bb.243:
	v_add_f64_e32 v[4:5], 0xc002d97c7f3321d2, v[2:3]
                                        ; implicit-def: $vgpr1
                                        ; implicit-def: $vgpr6_vgpr7
                                        ; implicit-def: $vgpr8_vgpr9
	s_delay_alu instid0(VALU_DEP_1) | instskip(SKIP_1) | instid1(SALU_CYCLE_1)
	v_cmp_ngt_f64_e64 s0, 0x41d00000, |v[4:5]|
	s_and_saveexec_b32 s1, s0
	s_xor_b32 s1, exec_lo, s1
	s_cbranch_execz .LBB7_245
; %bb.244:
	v_ldexp_f64 v[6:7], |v[4:5]|, 0xffffff80
	v_cmp_le_f64_e64 vcc_lo, 0x7b000000, |v[4:5]|
	v_trig_preop_f64 v[8:9], |v[4:5]|, 0
	v_and_b32_e32 v1, 0x7fffffff, v5
	v_trig_preop_f64 v[10:11], |v[4:5]|, 1
	v_trig_preop_f64 v[20:21], |v[4:5]|, 2
	s_mov_b64 s[6:7], 0x3ff921fb54442d18
	s_delay_alu instid0(VALU_DEP_3) | instskip(SKIP_1) | instid1(VALU_DEP_1)
	v_dual_mov_b32 v28, 0 :: v_dual_cndmask_b32 v7, v1, v7
	v_cndmask_b32_e32 v6, v4, v6, vcc_lo
	v_mul_f64_e32 v[12:13], v[8:9], v[6:7]
	v_mul_f64_e32 v[14:15], v[10:11], v[6:7]
	;; [unrolled: 1-line block ×3, first 2 shown]
	s_delay_alu instid0(VALU_DEP_3) | instskip(NEXT) | instid1(VALU_DEP_3)
	v_fma_f64 v[8:9], v[8:9], v[6:7], -v[12:13]
	v_fma_f64 v[10:11], v[10:11], v[6:7], -v[14:15]
	s_delay_alu instid0(VALU_DEP_3) | instskip(NEXT) | instid1(VALU_DEP_3)
	v_fma_f64 v[6:7], v[20:21], v[6:7], -v[26:27]
	v_add_f64_e32 v[16:17], v[14:15], v[8:9]
	s_delay_alu instid0(VALU_DEP_1) | instskip(SKIP_1) | instid1(VALU_DEP_2)
	v_add_f64_e64 v[18:19], v[16:17], -v[14:15]
	v_add_f64_e32 v[24:25], v[12:13], v[16:17]
	v_add_f64_e64 v[22:23], v[16:17], -v[18:19]
	v_add_f64_e64 v[8:9], v[8:9], -v[18:19]
	s_delay_alu instid0(VALU_DEP_3) | instskip(NEXT) | instid1(VALU_DEP_3)
	v_ldexp_f64 v[18:19], v[24:25], -2
	v_add_f64_e64 v[14:15], v[14:15], -v[22:23]
	v_add_f64_e32 v[22:23], v[26:27], v[10:11]
	s_delay_alu instid0(VALU_DEP_3) | instskip(NEXT) | instid1(VALU_DEP_3)
	v_cmp_neq_f64_e64 vcc_lo, 0x7ff00000, |v[18:19]|
	v_add_f64_e32 v[8:9], v[8:9], v[14:15]
	v_fract_f64_e32 v[14:15], v[18:19]
	s_delay_alu instid0(VALU_DEP_1) | instskip(NEXT) | instid1(VALU_DEP_1)
	v_ldexp_f64 v[14:15], v[14:15], 2
	v_dual_add_f64 v[12:13], v[24:25], -v[12:13] :: v_dual_cndmask_b32 v14, 0, v14, vcc_lo
	s_delay_alu instid0(VALU_DEP_1) | instskip(SKIP_1) | instid1(VALU_DEP_1)
	v_dual_add_f64 v[12:13], v[16:17], -v[12:13] :: v_dual_cndmask_b32 v15, 0, v15, vcc_lo
	v_add_f64_e32 v[16:17], v[22:23], v[8:9]
	v_add_f64_e32 v[18:19], v[12:13], v[16:17]
	v_add_f64_e64 v[30:31], v[16:17], -v[22:23]
	s_delay_alu instid0(VALU_DEP_2) | instskip(NEXT) | instid1(VALU_DEP_2)
	v_add_f64_e32 v[24:25], v[18:19], v[14:15]
	v_add_f64_e64 v[36:37], v[16:17], -v[30:31]
	v_add_f64_e64 v[8:9], v[8:9], -v[30:31]
	;; [unrolled: 1-line block ×3, first 2 shown]
	s_delay_alu instid0(VALU_DEP_4) | instskip(SKIP_1) | instid1(VALU_DEP_3)
	v_cmp_gt_f64_e32 vcc_lo, 0, v[24:25]
	v_add_f64_e64 v[24:25], v[22:23], -v[26:27]
	v_add_f64_e64 v[12:13], v[16:17], -v[12:13]
	v_cndmask_b32_e64 v29, 0, 0x40100000, vcc_lo
	s_delay_alu instid0(VALU_DEP_3) | instskip(SKIP_2) | instid1(VALU_DEP_4)
	v_add_f64_e64 v[34:35], v[22:23], -v[24:25]
	v_add_f64_e64 v[10:11], v[10:11], -v[24:25]
	;; [unrolled: 1-line block ×3, first 2 shown]
	v_add_f64_e32 v[14:15], v[14:15], v[28:29]
	s_delay_alu instid0(VALU_DEP_4) | instskip(NEXT) | instid1(VALU_DEP_3)
	v_add_f64_e64 v[24:25], v[26:27], -v[34:35]
	v_add_f64_e32 v[8:9], v[8:9], v[22:23]
	s_delay_alu instid0(VALU_DEP_3) | instskip(NEXT) | instid1(VALU_DEP_3)
	v_add_f64_e32 v[32:33], v[18:19], v[14:15]
	v_add_f64_e32 v[10:11], v[10:11], v[24:25]
	s_delay_alu instid0(VALU_DEP_2) | instskip(NEXT) | instid1(VALU_DEP_2)
	v_cvt_i32_f64_e32 v1, v[32:33]
	v_add_f64_e32 v[8:9], v[10:11], v[8:9]
	s_delay_alu instid0(VALU_DEP_2) | instskip(NEXT) | instid1(VALU_DEP_2)
	v_cvt_f64_i32_e32 v[30:31], v1
	v_add_f64_e32 v[6:7], v[6:7], v[8:9]
	s_delay_alu instid0(VALU_DEP_2) | instskip(NEXT) | instid1(VALU_DEP_2)
	v_add_f64_e64 v[14:15], v[14:15], -v[30:31]
	v_add_f64_e32 v[6:7], v[12:13], v[6:7]
	s_delay_alu instid0(VALU_DEP_2) | instskip(NEXT) | instid1(VALU_DEP_1)
	v_add_f64_e32 v[10:11], v[18:19], v[14:15]
	v_add_f64_e64 v[8:9], v[10:11], -v[14:15]
	v_cmp_le_f64_e32 vcc_lo, 0.5, v[10:11]
	s_delay_alu instid0(VALU_DEP_2) | instskip(SKIP_2) | instid1(VALU_DEP_3)
	v_add_f64_e64 v[8:9], v[18:19], -v[8:9]
	v_cndmask_b32_e64 v29, 0, 0x3ff00000, vcc_lo
	v_add_co_ci_u32_e64 v1, null, 0, v1, vcc_lo
	v_add_f64_e32 v[6:7], v[6:7], v[8:9]
	s_delay_alu instid0(VALU_DEP_3) | instskip(NEXT) | instid1(VALU_DEP_1)
	v_add_f64_e64 v[8:9], v[10:11], -v[28:29]
	v_add_f64_e32 v[10:11], v[8:9], v[6:7]
	s_delay_alu instid0(VALU_DEP_1) | instskip(SKIP_1) | instid1(VALU_DEP_2)
	v_mul_f64_e32 v[12:13], 0x3ff921fb54442d18, v[10:11]
	v_add_f64_e64 v[8:9], v[10:11], -v[8:9]
	v_fma_f64 v[14:15], v[10:11], s[6:7], -v[12:13]
	s_delay_alu instid0(VALU_DEP_2) | instskip(NEXT) | instid1(VALU_DEP_2)
	v_add_f64_e64 v[6:7], v[6:7], -v[8:9]
	v_fmamk_f64 v[8:9], v[10:11], 0x3c91a62633145c07, v[14:15]
	s_delay_alu instid0(VALU_DEP_1) | instskip(NEXT) | instid1(VALU_DEP_1)
	v_fmac_f64_e32 v[8:9], 0x3ff921fb54442d18, v[6:7]
	v_add_f64_e32 v[6:7], v[12:13], v[8:9]
	s_delay_alu instid0(VALU_DEP_1) | instskip(NEXT) | instid1(VALU_DEP_1)
	v_add_f64_e64 v[10:11], v[6:7], -v[12:13]
	v_add_f64_e64 v[8:9], v[8:9], -v[10:11]
	s_and_not1_saveexec_b32 s1, s1
	s_cbranch_execz .LBB7_247
	s_branch .LBB7_246
.LBB7_245:
	s_and_not1_saveexec_b32 s1, s1
	s_cbranch_execz .LBB7_247
.LBB7_246:
	s_mov_b64 s[6:7], 0x3fe45f306dc9c883
	s_delay_alu instid0(SALU_CYCLE_1) | instskip(SKIP_1) | instid1(VALU_DEP_1)
	v_mul_f64_e64 v[6:7], |v[4:5]|, s[6:7]
	s_mov_b64 s[6:7], 0xbff921fb54442d18
	v_rndne_f64_e32 v[10:11], v[6:7]
	s_delay_alu instid0(VALU_DEP_1) | instskip(SKIP_2) | instid1(VALU_DEP_3)
	v_fma_f64 v[6:7], v[10:11], s[6:7], |v[4:5]|
	v_mul_f64_e32 v[8:9], 0xbc91a62633145c00, v[10:11]
	v_cvt_i32_f64_e32 v1, v[10:11]
	v_fmamk_f64 v[16:17], v[10:11], 0xbc91a62633145c00, v[6:7]
	s_delay_alu instid0(VALU_DEP_3) | instskip(NEXT) | instid1(VALU_DEP_1)
	v_add_f64_e32 v[12:13], v[6:7], v[8:9]
	v_add_f64_e64 v[14:15], v[6:7], -v[12:13]
	s_delay_alu instid0(VALU_DEP_3) | instskip(NEXT) | instid1(VALU_DEP_2)
	v_add_f64_e64 v[6:7], v[12:13], -v[16:17]
	v_add_f64_e32 v[12:13], v[14:15], v[8:9]
	v_fmamk_f64 v[8:9], v[10:11], 0x3c91a62633145c00, v[8:9]
	s_delay_alu instid0(VALU_DEP_2) | instskip(NEXT) | instid1(VALU_DEP_1)
	v_add_f64_e32 v[6:7], v[6:7], v[12:13]
	v_add_f64_e64 v[6:7], v[6:7], -v[8:9]
	s_delay_alu instid0(VALU_DEP_1) | instskip(NEXT) | instid1(VALU_DEP_1)
	v_fmamk_f64 v[8:9], v[10:11], 0xb97b839a252049c0, v[6:7]
	v_add_f64_e32 v[6:7], v[16:17], v[8:9]
	s_delay_alu instid0(VALU_DEP_1) | instskip(NEXT) | instid1(VALU_DEP_1)
	v_add_f64_e64 v[12:13], v[6:7], -v[16:17]
	v_add_f64_e64 v[8:9], v[8:9], -v[12:13]
.LBB7_247:
	s_or_b32 exec_lo, exec_lo, s1
                                        ; implicit-def: $vgpr16
                                        ; implicit-def: $vgpr10_vgpr11
                                        ; implicit-def: $vgpr12_vgpr13
	s_and_saveexec_b32 s1, s0
	s_delay_alu instid0(SALU_CYCLE_1)
	s_xor_b32 s0, exec_lo, s1
	s_cbranch_execz .LBB7_249
; %bb.248:
	v_ldexp_f64 v[10:11], |v[4:5]|, 0xffffff80
	v_cmp_le_f64_e64 vcc_lo, 0x7b000000, |v[4:5]|
	v_trig_preop_f64 v[12:13], |v[4:5]|, 0
	v_and_b32_e32 v14, 0x7fffffff, v5
	v_trig_preop_f64 v[24:25], |v[4:5]|, 2
	s_mov_b64 s[6:7], 0x3ff921fb54442d18
	s_delay_alu instid0(VALU_DEP_2) | instskip(SKIP_2) | instid1(VALU_DEP_2)
	v_dual_mov_b32 v32, 0 :: v_dual_cndmask_b32 v11, v14, v11
	v_cndmask_b32_e32 v10, v4, v10, vcc_lo
	v_trig_preop_f64 v[14:15], |v[4:5]|, 1
	v_mul_f64_e32 v[16:17], v[12:13], v[10:11]
	v_mul_f64_e32 v[30:31], v[24:25], v[10:11]
	s_delay_alu instid0(VALU_DEP_3) | instskip(NEXT) | instid1(VALU_DEP_3)
	v_mul_f64_e32 v[18:19], v[14:15], v[10:11]
	v_fma_f64 v[12:13], v[12:13], v[10:11], -v[16:17]
	s_delay_alu instid0(VALU_DEP_2) | instskip(NEXT) | instid1(VALU_DEP_4)
	v_fma_f64 v[14:15], v[14:15], v[10:11], -v[18:19]
	v_fma_f64 v[10:11], v[24:25], v[10:11], -v[30:31]
	s_delay_alu instid0(VALU_DEP_3) | instskip(NEXT) | instid1(VALU_DEP_1)
	v_add_f64_e32 v[20:21], v[18:19], v[12:13]
	v_add_f64_e64 v[22:23], v[20:21], -v[18:19]
	v_add_f64_e32 v[28:29], v[16:17], v[20:21]
	s_delay_alu instid0(VALU_DEP_2) | instskip(SKIP_1) | instid1(VALU_DEP_3)
	v_add_f64_e64 v[26:27], v[20:21], -v[22:23]
	v_add_f64_e64 v[12:13], v[12:13], -v[22:23]
	v_ldexp_f64 v[22:23], v[28:29], -2
	s_delay_alu instid0(VALU_DEP_3) | instskip(SKIP_1) | instid1(VALU_DEP_3)
	v_add_f64_e64 v[18:19], v[18:19], -v[26:27]
	v_add_f64_e32 v[26:27], v[30:31], v[14:15]
	v_cmp_neq_f64_e64 vcc_lo, 0x7ff00000, |v[22:23]|
	s_delay_alu instid0(VALU_DEP_3) | instskip(SKIP_1) | instid1(VALU_DEP_1)
	v_add_f64_e32 v[12:13], v[12:13], v[18:19]
	v_fract_f64_e32 v[18:19], v[22:23]
	v_ldexp_f64 v[18:19], v[18:19], 2
	s_delay_alu instid0(VALU_DEP_1) | instskip(NEXT) | instid1(VALU_DEP_1)
	v_dual_add_f64 v[16:17], v[28:29], -v[16:17] :: v_dual_cndmask_b32 v18, 0, v18, vcc_lo
	v_dual_add_f64 v[16:17], v[20:21], -v[16:17] :: v_dual_cndmask_b32 v19, 0, v19, vcc_lo
	v_add_f64_e32 v[20:21], v[26:27], v[12:13]
	s_delay_alu instid0(VALU_DEP_1) | instskip(SKIP_1) | instid1(VALU_DEP_2)
	v_add_f64_e32 v[22:23], v[16:17], v[20:21]
	v_add_f64_e64 v[34:35], v[20:21], -v[26:27]
	v_add_f64_e32 v[28:29], v[22:23], v[18:19]
	s_delay_alu instid0(VALU_DEP_2) | instskip(SKIP_2) | instid1(VALU_DEP_4)
	v_add_f64_e64 v[40:41], v[20:21], -v[34:35]
	v_add_f64_e64 v[12:13], v[12:13], -v[34:35]
	;; [unrolled: 1-line block ×3, first 2 shown]
	v_cmp_gt_f64_e32 vcc_lo, 0, v[28:29]
	v_add_f64_e64 v[28:29], v[26:27], -v[30:31]
	s_delay_alu instid0(VALU_DEP_3) | instskip(SKIP_1) | instid1(VALU_DEP_3)
	v_add_f64_e64 v[16:17], v[20:21], -v[16:17]
	v_cndmask_b32_e64 v33, 0, 0x40100000, vcc_lo
	v_add_f64_e64 v[38:39], v[26:27], -v[28:29]
	v_add_f64_e64 v[14:15], v[14:15], -v[28:29]
	;; [unrolled: 1-line block ×3, first 2 shown]
	s_delay_alu instid0(VALU_DEP_4) | instskip(NEXT) | instid1(VALU_DEP_4)
	v_add_f64_e32 v[18:19], v[18:19], v[32:33]
	v_add_f64_e64 v[28:29], v[30:31], -v[38:39]
	s_delay_alu instid0(VALU_DEP_3) | instskip(NEXT) | instid1(VALU_DEP_3)
	v_add_f64_e32 v[12:13], v[12:13], v[26:27]
	v_add_f64_e32 v[36:37], v[22:23], v[18:19]
	s_delay_alu instid0(VALU_DEP_3) | instskip(NEXT) | instid1(VALU_DEP_2)
	v_add_f64_e32 v[14:15], v[14:15], v[28:29]
	v_cvt_i32_f64_e32 v33, v[36:37]
	s_delay_alu instid0(VALU_DEP_2) | instskip(NEXT) | instid1(VALU_DEP_2)
	v_add_f64_e32 v[12:13], v[14:15], v[12:13]
	v_cvt_f64_i32_e32 v[34:35], v33
	s_delay_alu instid0(VALU_DEP_2) | instskip(NEXT) | instid1(VALU_DEP_2)
	v_add_f64_e32 v[10:11], v[10:11], v[12:13]
	v_add_f64_e64 v[18:19], v[18:19], -v[34:35]
	s_delay_alu instid0(VALU_DEP_2) | instskip(NEXT) | instid1(VALU_DEP_2)
	v_add_f64_e32 v[10:11], v[16:17], v[10:11]
	v_add_f64_e32 v[14:15], v[22:23], v[18:19]
	s_delay_alu instid0(VALU_DEP_1) | instskip(SKIP_1) | instid1(VALU_DEP_2)
	v_add_f64_e64 v[12:13], v[14:15], -v[18:19]
	v_cmp_le_f64_e32 vcc_lo, 0.5, v[14:15]
	v_add_f64_e64 v[12:13], v[22:23], -v[12:13]
	v_add_co_ci_u32_e64 v16, null, 0, v33, vcc_lo
	v_cndmask_b32_e64 v33, 0, 0x3ff00000, vcc_lo
	s_delay_alu instid0(VALU_DEP_3) | instskip(NEXT) | instid1(VALU_DEP_2)
	v_add_f64_e32 v[10:11], v[10:11], v[12:13]
	v_add_f64_e64 v[12:13], v[14:15], -v[32:33]
	s_delay_alu instid0(VALU_DEP_1) | instskip(NEXT) | instid1(VALU_DEP_1)
	v_add_f64_e32 v[14:15], v[12:13], v[10:11]
	v_mul_f64_e32 v[18:19], 0x3ff921fb54442d18, v[14:15]
	v_add_f64_e64 v[12:13], v[14:15], -v[12:13]
	s_delay_alu instid0(VALU_DEP_2) | instskip(NEXT) | instid1(VALU_DEP_2)
	v_fma_f64 v[20:21], v[14:15], s[6:7], -v[18:19]
	v_add_f64_e64 v[10:11], v[10:11], -v[12:13]
	s_delay_alu instid0(VALU_DEP_2) | instskip(NEXT) | instid1(VALU_DEP_1)
	v_fmamk_f64 v[12:13], v[14:15], 0x3c91a62633145c07, v[20:21]
	v_fmac_f64_e32 v[12:13], 0x3ff921fb54442d18, v[10:11]
	s_delay_alu instid0(VALU_DEP_1) | instskip(NEXT) | instid1(VALU_DEP_1)
	v_add_f64_e32 v[10:11], v[18:19], v[12:13]
	v_add_f64_e64 v[14:15], v[10:11], -v[18:19]
	s_delay_alu instid0(VALU_DEP_1)
	v_add_f64_e64 v[12:13], v[12:13], -v[14:15]
	s_and_not1_saveexec_b32 s0, s0
	s_cbranch_execnz .LBB7_250
	s_branch .LBB7_251
.LBB7_249:
	s_and_not1_saveexec_b32 s0, s0
	s_cbranch_execz .LBB7_251
.LBB7_250:
	s_mov_b64 s[6:7], 0x3fe45f306dc9c883
	s_delay_alu instid0(SALU_CYCLE_1) | instskip(SKIP_1) | instid1(VALU_DEP_1)
	v_mul_f64_e64 v[10:11], |v[4:5]|, s[6:7]
	s_mov_b64 s[6:7], 0xbff921fb54442d18
	v_rndne_f64_e32 v[14:15], v[10:11]
	s_delay_alu instid0(VALU_DEP_1) | instskip(SKIP_1) | instid1(VALU_DEP_2)
	v_fma_f64 v[10:11], v[14:15], s[6:7], |v[4:5]|
	v_mul_f64_e32 v[12:13], 0xbc91a62633145c00, v[14:15]
	v_fmamk_f64 v[20:21], v[14:15], 0xbc91a62633145c00, v[10:11]
	s_delay_alu instid0(VALU_DEP_2) | instskip(NEXT) | instid1(VALU_DEP_1)
	v_add_f64_e32 v[16:17], v[10:11], v[12:13]
	v_add_f64_e64 v[18:19], v[10:11], -v[16:17]
	s_delay_alu instid0(VALU_DEP_3) | instskip(NEXT) | instid1(VALU_DEP_2)
	v_add_f64_e64 v[10:11], v[16:17], -v[20:21]
	v_add_f64_e32 v[16:17], v[18:19], v[12:13]
	v_fmamk_f64 v[12:13], v[14:15], 0x3c91a62633145c00, v[12:13]
	s_delay_alu instid0(VALU_DEP_2) | instskip(NEXT) | instid1(VALU_DEP_1)
	v_add_f64_e32 v[10:11], v[10:11], v[16:17]
	v_add_f64_e64 v[10:11], v[10:11], -v[12:13]
	s_delay_alu instid0(VALU_DEP_1) | instskip(NEXT) | instid1(VALU_DEP_1)
	v_fmamk_f64 v[12:13], v[14:15], 0xb97b839a252049c0, v[10:11]
	v_add_f64_e32 v[10:11], v[20:21], v[12:13]
	s_delay_alu instid0(VALU_DEP_1) | instskip(NEXT) | instid1(VALU_DEP_1)
	v_add_f64_e64 v[16:17], v[10:11], -v[20:21]
	v_add_f64_e64 v[12:13], v[12:13], -v[16:17]
	v_cvt_i32_f64_e32 v16, v[14:15]
.LBB7_251:
	s_or_b32 exec_lo, exec_lo, s0
	v_div_scale_f64 v[14:15], null, v[2:3], v[2:3], 0x40140000
	v_mul_f64_e32 v[34:35], v[6:7], v[6:7]
	v_mov_b64_e32 v[42:43], 0xbe5ae600b42fdfa7
	s_delay_alu instid0(VALU_DEP_4)
	v_mul_f64_e32 v[60:61], 0.5, v[8:9]
	v_div_scale_f64 v[22:23], vcc_lo, 0x40140000, v[2:3], 0x40140000
	v_cmp_gt_f64_e64 s0, 0x10000000, v[2:3]
	v_mov_b64_e32 v[56:57], 0xbf2a01a019e83e5c
	v_mov_b64_e32 v[58:59], 0xbe927e4fa17f65f6
	;; [unrolled: 1-line block ×4, first 2 shown]
	v_rcp_f64_e32 v[18:19], v[14:15]
	v_mul_f64_e32 v[46:47], 0.5, v[34:35]
	v_mul_f64_e64 v[62:63], v[6:7], -v[34:35]
	v_fmamk_f64 v[44:45], v[34:35], 0x3de5e0b2f9a43bb8, v[42:43]
	v_cndmask_b32_e64 v17, 0, 0x100, s0
	s_delay_alu instid0(VALU_DEP_2) | instskip(NEXT) | instid1(VALU_DEP_1)
	v_fmaak_f64 v[44:45], v[34:35], v[44:45], 0x3ec71de3796cde01
	v_fmaak_f64 v[44:45], v[34:35], v[44:45], 0xbf2a01a019e83e5c
	s_delay_alu instid0(VALU_DEP_1) | instskip(SKIP_1) | instid1(VALU_DEP_2)
	v_fmaak_f64 v[44:45], v[34:35], v[44:45], 0x3f81111111110bb3
	v_add_f64_e64 v[50:51], -v[46:47], 1.0
	v_fmac_f64_e32 v[60:61], v[62:63], v[44:45]
	s_delay_alu instid0(TRANS32_DEP_1) | instskip(NEXT) | instid1(VALU_DEP_3)
	v_fma_f64 v[20:21], -v[14:15], v[18:19], 1.0
	v_add_f64_e64 v[64:65], -v[50:51], 1.0
	s_delay_alu instid0(VALU_DEP_3) | instskip(NEXT) | instid1(VALU_DEP_3)
	v_fma_f64 v[60:61], v[34:35], v[60:61], -v[8:9]
	v_fmac_f64_e32 v[18:19], v[18:19], v[20:21]
	s_delay_alu instid0(VALU_DEP_3) | instskip(NEXT) | instid1(VALU_DEP_3)
	v_add_f64_e64 v[44:45], v[64:65], -v[46:47]
	v_fmac_f64_e32 v[60:61], 0xbfc5555555555555, v[62:63]
	s_delay_alu instid0(VALU_DEP_3) | instskip(NEXT) | instid1(VALU_DEP_3)
	v_fma_f64 v[20:21], -v[14:15], v[18:19], 1.0
	v_fma_f64 v[8:9], v[6:7], -v[8:9], v[44:45]
	s_delay_alu instid0(VALU_DEP_3) | instskip(SKIP_1) | instid1(VALU_DEP_4)
	v_add_f64_e64 v[6:7], v[6:7], -v[60:61]
	v_mov_b64_e32 v[44:45], 0x3fa5555555555555
	v_fmac_f64_e32 v[18:19], v[18:19], v[20:21]
	s_delay_alu instid0(VALU_DEP_1) | instskip(NEXT) | instid1(VALU_DEP_1)
	v_mul_f64_e32 v[20:21], v[22:23], v[18:19]
	v_fma_f64 v[14:15], -v[14:15], v[20:21], v[22:23]
	s_delay_alu instid0(VALU_DEP_1) | instskip(NEXT) | instid1(VALU_DEP_1)
	v_div_fmas_f64 v[14:15], v[14:15], v[18:19], v[20:21]
	v_div_fixup_f64 v[14:15], v[14:15], v[2:3], 0x40140000
	v_ldexp_f64 v[2:3], v[2:3], v17
	v_dual_lshlrev_b32 v1, 30, v1 :: v_dual_bitop2_b32 v17, 1, v1 bitop3:0x40
	v_mul_f64_e32 v[70:71], 0.5, v[12:13]
	s_delay_alu instid0(VALU_DEP_2) | instskip(NEXT) | instid1(VALU_DEP_1)
	v_dual_mul_f64 v[18:19], v[14:15], v[14:15] :: v_dual_bitop2_b32 v1, v1, v5 bitop3:0x14
	v_fmaak_f64 v[20:21], 0, v[18:19], 0x3f42b89b13443d69
	v_fmaak_f64 v[22:23], 0, v[18:19], 0x3f48f92c4c6c651b
	;; [unrolled: 1-line block ×4, first 2 shown]
	s_delay_alu instid0(VALU_DEP_4) | instskip(NEXT) | instid1(VALU_DEP_4)
	v_fmaak_f64 v[20:21], v[18:19], v[20:21], 0x3fb19fdd5948aa83
	v_fmaak_f64 v[22:23], v[18:19], v[22:23], 0x3fb2b948a3fec4b6
	s_delay_alu instid0(VALU_DEP_4) | instskip(NEXT) | instid1(VALU_DEP_4)
	v_fmaak_f64 v[24:25], v[18:19], v[24:25], 0x4013edb5c66d8fd6
	v_fmaak_f64 v[26:27], v[18:19], v[26:27], 0x409081cba20e5f6f
	;; [unrolled: 3-line block ×10, first 2 shown]
	s_delay_alu instid0(VALU_DEP_4) | instskip(NEXT) | instid1(VALU_DEP_4)
	v_fma_f64 v[20:21], v[18:19], v[20:21], 1.0
	v_fma_f64 v[22:23], v[18:19], v[22:23], 1.0
	s_delay_alu instid0(VALU_DEP_4) | instskip(NEXT) | instid1(VALU_DEP_4)
	v_fmaak_f64 v[24:25], v[18:19], v[24:25], 0x406a760a4c54bb0b
	v_fmaak_f64 v[26:27], v[18:19], v[26:27], 0x4075017f6ae75997
	s_delay_alu instid0(VALU_DEP_2) | instskip(NEXT) | instid1(VALU_DEP_1)
	v_fmaak_f64 v[18:19], v[18:19], v[24:25], 0x403934ff4d159eb5
	v_div_scale_f64 v[28:29], null, v[26:27], v[26:27], v[18:19]
	v_div_scale_f64 v[24:25], null, v[20:21], v[20:21], v[22:23]
	v_div_scale_f64 v[66:67], vcc_lo, v[22:23], v[20:21], v[22:23]
	s_delay_alu instid0(VALU_DEP_3) | instskip(NEXT) | instid1(VALU_DEP_2)
	v_rcp_f64_e32 v[32:33], v[28:29]
	v_rcp_f64_e32 v[30:31], v[24:25]
	s_delay_alu instid0(TRANS32_DEP_2) | instskip(NEXT) | instid1(TRANS32_DEP_1)
	v_fma_f64 v[40:41], -v[28:29], v[32:33], 1.0
	v_fma_f64 v[38:39], -v[24:25], v[30:31], 1.0
	s_delay_alu instid0(VALU_DEP_2) | instskip(SKIP_1) | instid1(VALU_DEP_3)
	v_fmac_f64_e32 v[32:33], v[32:33], v[40:41]
	v_mov_b64_e32 v[40:41], 0x3e21eeb69037ab78
	v_fmac_f64_e32 v[30:31], v[30:31], v[38:39]
	v_mov_b64_e32 v[38:39], 0x3ec71de3796cde01
	s_delay_alu instid0(VALU_DEP_4) | instskip(NEXT) | instid1(VALU_DEP_3)
	v_fma_f64 v[54:55], -v[28:29], v[32:33], 1.0
	v_fma_f64 v[52:53], -v[24:25], v[30:31], 1.0
	s_delay_alu instid0(VALU_DEP_2) | instskip(SKIP_1) | instid1(VALU_DEP_3)
	v_fmac_f64_e32 v[32:33], v[32:33], v[54:55]
	v_mov_b64_e32 v[54:55], 0x3f81111111110bb3
	v_fmac_f64_e32 v[30:31], v[30:31], v[52:53]
	v_div_scale_f64 v[52:53], s1, v[18:19], v[26:27], v[18:19]
	s_delay_alu instid0(VALU_DEP_2) | instskip(NEXT) | instid1(VALU_DEP_2)
	v_mul_f64_e32 v[46:47], v[66:67], v[30:31]
	v_mul_f64_e32 v[64:65], v[52:53], v[32:33]
	s_delay_alu instid0(VALU_DEP_2) | instskip(NEXT) | instid1(VALU_DEP_2)
	v_fma_f64 v[24:25], -v[24:25], v[46:47], v[66:67]
	v_fma_f64 v[28:29], -v[28:29], v[64:65], v[52:53]
	s_delay_alu instid0(VALU_DEP_2) | instskip(SKIP_3) | instid1(VALU_DEP_4)
	v_div_fmas_f64 v[24:25], v[24:25], v[30:31], v[46:47]
	s_mov_b32 vcc_lo, s1
	v_cmp_class_f64_e64 s1, v[4:5], 0x1f8
	v_and_b32_e32 v4, 1, v16
	v_div_fmas_f64 v[28:29], v[28:29], v[32:33], v[64:65]
	v_cmp_eq_u32_e32 vcc_lo, 0, v17
	s_delay_alu instid0(VALU_DEP_3) | instskip(SKIP_1) | instid1(VALU_DEP_4)
	v_cmp_eq_u32_e64 s2, 0, v4
	v_mul_f64_e32 v[36:37], v[10:11], v[10:11]
	v_div_fixup_f64 v[18:19], v[28:29], v[26:27], v[18:19]
	s_delay_alu instid0(VALU_DEP_2) | instskip(SKIP_2) | instid1(VALU_DEP_4)
	v_fmac_f64_e32 v[42:43], 0x3de5e0b2f9a43bb8, v[36:37]
	v_mul_f64_e64 v[72:73], v[10:11], -v[36:37]
	v_mul_f64_e32 v[66:67], v[36:37], v[36:37]
	v_mul_f64_e32 v[14:15], v[14:15], v[18:19]
	s_delay_alu instid0(VALU_DEP_4) | instskip(SKIP_2) | instid1(VALU_DEP_2)
	v_fmac_f64_e32 v[38:39], v[36:37], v[42:43]
	v_fmamk_f64 v[42:43], v[34:35], 0xbda907db46cc5e42, v[40:41]
	v_fmac_f64_e32 v[40:41], 0xbda907db46cc5e42, v[36:37]
	v_fmaak_f64 v[42:43], v[34:35], v[42:43], 0xbe927e4fa17f65f6
	s_delay_alu instid0(VALU_DEP_1) | instskip(NEXT) | instid1(VALU_DEP_1)
	v_fmaak_f64 v[42:43], v[34:35], v[42:43], 0x3efa01a019f4ec90
	v_fmaak_f64 v[42:43], v[34:35], v[42:43], 0xbf56c16c16c16967
	v_fmac_f64_e32 v[56:57], v[36:37], v[38:39]
	v_fmac_f64_e32 v[58:59], v[36:37], v[40:41]
	v_rsq_f64_e32 v[40:41], v[2:3]
	s_delay_alu instid0(VALU_DEP_2) | instskip(NEXT) | instid1(VALU_DEP_2)
	v_fmac_f64_e32 v[54:55], v[36:37], v[56:57]
	v_fmac_f64_e32 v[68:69], v[36:37], v[58:59]
	s_delay_alu instid0(TRANS32_DEP_1) | instskip(SKIP_1) | instid1(VALU_DEP_4)
	v_mul_f64_e32 v[58:59], v[2:3], v[40:41]
	v_mul_f64_e32 v[40:41], 0.5, v[40:41]
	v_fmac_f64_e32 v[70:71], v[72:73], v[54:55]
	v_mul_f64_e32 v[54:55], v[34:35], v[34:35]
	v_fmaak_f64 v[34:35], v[34:35], v[42:43], 0x3fa5555555555555
	v_fmac_f64_e32 v[74:75], v[36:37], v[68:69]
	s_delay_alu instid0(VALU_DEP_4) | instskip(NEXT) | instid1(VALU_DEP_3)
	v_fma_f64 v[52:53], v[36:37], v[70:71], -v[12:13]
	v_fmac_f64_e32 v[8:9], v[54:55], v[34:35]
	s_delay_alu instid0(VALU_DEP_3) | instskip(NEXT) | instid1(VALU_DEP_3)
	v_fmac_f64_e32 v[44:45], v[36:37], v[74:75]
	v_fmac_f64_e32 v[52:53], 0xbfc5555555555555, v[72:73]
	s_delay_alu instid0(VALU_DEP_3) | instskip(NEXT) | instid1(VALU_DEP_1)
	v_add_f64_e32 v[8:9], v[50:51], v[8:9]
	v_dual_mul_f64 v[48:49], 0.5, v[36:37] :: v_dual_cndmask_b32 v6, v8, v6, vcc_lo
	v_lshlrev_b32_e32 v8, 30, v16
	v_div_fixup_f64 v[16:17], v[24:25], v[20:21], v[22:23]
	s_delay_alu instid0(VALU_DEP_4) | instskip(SKIP_1) | instid1(VALU_DEP_2)
	v_cndmask_b32_e32 v5, v9, v7, vcc_lo
	v_cmp_class_f64_e64 vcc_lo, v[2:3], 0x260
	v_bitop3_b32 v1, v5, v1, 0x80000000 bitop3:0x78
	s_delay_alu instid0(VALU_DEP_1) | instskip(SKIP_2) | instid1(VALU_DEP_1)
	v_cndmask_b32_e64 v5, 0x7ff80000, v1, s1
	v_cndmask_b32_e64 v1, 0, 0xffffff80, s0
	v_add_f64_e64 v[38:39], -v[48:49], 1.0
	v_add_f64_e64 v[56:57], -v[38:39], 1.0
	s_delay_alu instid0(VALU_DEP_1) | instskip(SKIP_1) | instid1(VALU_DEP_2)
	v_add_f64_e64 v[48:49], v[56:57], -v[48:49]
	v_fma_f64 v[56:57], -v[40:41], v[58:59], 0.5
	v_fma_f64 v[12:13], v[10:11], -v[12:13], v[48:49]
	s_delay_alu instid0(VALU_DEP_2) | instskip(SKIP_2) | instid1(VALU_DEP_4)
	v_fmac_f64_e32 v[58:59], v[58:59], v[56:57]
	v_fmac_f64_e32 v[40:41], v[40:41], v[56:57]
	v_add_f64_e64 v[10:11], v[10:11], -v[52:53]
	v_fmac_f64_e32 v[12:13], v[66:67], v[44:45]
	s_delay_alu instid0(VALU_DEP_4) | instskip(NEXT) | instid1(VALU_DEP_3)
	v_fma_f64 v[30:31], -v[58:59], v[58:59], v[2:3]
	v_xor_b32_e32 v4, 0x80000000, v11
	s_delay_alu instid0(VALU_DEP_3) | instskip(NEXT) | instid1(VALU_DEP_3)
	v_add_f64_e32 v[12:13], v[38:39], v[12:13]
	v_fmac_f64_e32 v[58:59], v[30:31], v[40:41]
	s_delay_alu instid0(VALU_DEP_2) | instskip(NEXT) | instid1(VALU_DEP_2)
	v_dual_cndmask_b32 v4, v4, v13, s2 :: v_dual_cndmask_b32 v12, v10, v12, s2
	v_fma_f64 v[10:11], -v[58:59], v[58:59], v[2:3]
	s_delay_alu instid0(VALU_DEP_2) | instskip(NEXT) | instid1(VALU_DEP_3)
	v_bitop3_b32 v8, v4, v8, 0x80000000 bitop3:0x78
	v_dual_cndmask_b32 v12, 0, v12, s1 :: v_dual_cndmask_b32 v4, 0, v6, s1
	s_delay_alu instid0(VALU_DEP_2) | instskip(NEXT) | instid1(VALU_DEP_1)
	v_cndmask_b32_e64 v13, 0x7ff80000, v8, s1
	v_mul_f64_e32 v[12:13], v[14:15], v[12:13]
	v_fmac_f64_e32 v[58:59], v[10:11], v[40:41]
	s_delay_alu instid0(VALU_DEP_2) | instskip(NEXT) | instid1(VALU_DEP_2)
	v_fmac_f64_e32 v[12:13], v[16:17], v[4:5]
	v_ldexp_f64 v[4:5], v[58:59], v1
	s_delay_alu instid0(VALU_DEP_2) | instskip(NEXT) | instid1(VALU_DEP_2)
	v_mul_f64_e32 v[6:7], 0x3fe9884533d43651, v[12:13]
	v_dual_cndmask_b32 v3, v5, v3 :: v_dual_cndmask_b32 v2, v4, v2
	s_delay_alu instid0(VALU_DEP_1) | instskip(NEXT) | instid1(VALU_DEP_1)
	v_div_scale_f64 v[4:5], null, v[2:3], v[2:3], v[6:7]
	v_rcp_f64_e32 v[8:9], v[4:5]
	v_nop
	s_delay_alu instid0(TRANS32_DEP_1) | instskip(NEXT) | instid1(VALU_DEP_1)
	v_fma_f64 v[10:11], -v[4:5], v[8:9], 1.0
	v_fmac_f64_e32 v[8:9], v[8:9], v[10:11]
	s_delay_alu instid0(VALU_DEP_1) | instskip(NEXT) | instid1(VALU_DEP_1)
	v_fma_f64 v[10:11], -v[4:5], v[8:9], 1.0
	v_fmac_f64_e32 v[8:9], v[8:9], v[10:11]
	v_div_scale_f64 v[10:11], vcc_lo, v[6:7], v[2:3], v[6:7]
	s_delay_alu instid0(VALU_DEP_1) | instskip(NEXT) | instid1(VALU_DEP_1)
	v_mul_f64_e32 v[12:13], v[10:11], v[8:9]
	v_fma_f64 v[4:5], -v[4:5], v[12:13], v[10:11]
	s_delay_alu instid0(VALU_DEP_1) | instskip(NEXT) | instid1(VALU_DEP_1)
	v_div_fmas_f64 v[4:5], v[4:5], v[8:9], v[12:13]
	v_div_fixup_f64 v[4:5], v[4:5], v[2:3], v[6:7]
.LBB7_252:
	s_or_b32 exec_lo, exec_lo, s3
	global_store_b64 v0, v[4:5], s[4:5]
	s_wait_xcnt 0x0
	s_or_b32 exec_lo, exec_lo, s9
                                        ; implicit-def: $vgpr8
                                        ; implicit-def: $vgpr4
	s_and_not1_saveexec_b32 s0, s31
	s_cbranch_execz .LBB7_197
	s_branch .LBB7_8
	.section	.rodata,"a",@progbits
	.p2align	6, 0x0
	.amdhsa_kernel _ZN2at6native32elementwise_kernel_manual_unrollILi128ELi4EZNS0_22gpu_kernel_impl_nocastIZZZNS0_12_GLOBAL__N_121bessel_y1_kernel_cudaERNS_18TensorIteratorBaseEENKUlvE_clEvENKUlvE_clEvEUldE_EEvS5_RKT_EUlibE_EEviT1_
		.amdhsa_group_segment_fixed_size 0
		.amdhsa_private_segment_fixed_size 0
		.amdhsa_kernarg_size 360
		.amdhsa_user_sgpr_count 2
		.amdhsa_user_sgpr_dispatch_ptr 0
		.amdhsa_user_sgpr_queue_ptr 0
		.amdhsa_user_sgpr_kernarg_segment_ptr 1
		.amdhsa_user_sgpr_dispatch_id 0
		.amdhsa_user_sgpr_kernarg_preload_length 0
		.amdhsa_user_sgpr_kernarg_preload_offset 0
		.amdhsa_user_sgpr_private_segment_size 0
		.amdhsa_wavefront_size32 1
		.amdhsa_uses_dynamic_stack 0
		.amdhsa_enable_private_segment 0
		.amdhsa_system_sgpr_workgroup_id_x 1
		.amdhsa_system_sgpr_workgroup_id_y 0
		.amdhsa_system_sgpr_workgroup_id_z 0
		.amdhsa_system_sgpr_workgroup_info 0
		.amdhsa_system_vgpr_workitem_id 0
		.amdhsa_next_free_vgpr 90
		.amdhsa_next_free_sgpr 60
		.amdhsa_named_barrier_count 0
		.amdhsa_reserve_vcc 1
		.amdhsa_float_round_mode_32 0
		.amdhsa_float_round_mode_16_64 0
		.amdhsa_float_denorm_mode_32 3
		.amdhsa_float_denorm_mode_16_64 3
		.amdhsa_fp16_overflow 0
		.amdhsa_memory_ordered 1
		.amdhsa_forward_progress 1
		.amdhsa_inst_pref_size 255
		.amdhsa_round_robin_scheduling 0
		.amdhsa_exception_fp_ieee_invalid_op 0
		.amdhsa_exception_fp_denorm_src 0
		.amdhsa_exception_fp_ieee_div_zero 0
		.amdhsa_exception_fp_ieee_overflow 0
		.amdhsa_exception_fp_ieee_underflow 0
		.amdhsa_exception_fp_ieee_inexact 0
		.amdhsa_exception_int_div_zero 0
	.end_amdhsa_kernel
	.section	.text._ZN2at6native32elementwise_kernel_manual_unrollILi128ELi4EZNS0_22gpu_kernel_impl_nocastIZZZNS0_12_GLOBAL__N_121bessel_y1_kernel_cudaERNS_18TensorIteratorBaseEENKUlvE_clEvENKUlvE_clEvEUldE_EEvS5_RKT_EUlibE_EEviT1_,"axG",@progbits,_ZN2at6native32elementwise_kernel_manual_unrollILi128ELi4EZNS0_22gpu_kernel_impl_nocastIZZZNS0_12_GLOBAL__N_121bessel_y1_kernel_cudaERNS_18TensorIteratorBaseEENKUlvE_clEvENKUlvE_clEvEUldE_EEvS5_RKT_EUlibE_EEviT1_,comdat
.Lfunc_end7:
	.size	_ZN2at6native32elementwise_kernel_manual_unrollILi128ELi4EZNS0_22gpu_kernel_impl_nocastIZZZNS0_12_GLOBAL__N_121bessel_y1_kernel_cudaERNS_18TensorIteratorBaseEENKUlvE_clEvENKUlvE_clEvEUldE_EEvS5_RKT_EUlibE_EEviT1_, .Lfunc_end7-_ZN2at6native32elementwise_kernel_manual_unrollILi128ELi4EZNS0_22gpu_kernel_impl_nocastIZZZNS0_12_GLOBAL__N_121bessel_y1_kernel_cudaERNS_18TensorIteratorBaseEENKUlvE_clEvENKUlvE_clEvEUldE_EEvS5_RKT_EUlibE_EEviT1_
                                        ; -- End function
	.set _ZN2at6native32elementwise_kernel_manual_unrollILi128ELi4EZNS0_22gpu_kernel_impl_nocastIZZZNS0_12_GLOBAL__N_121bessel_y1_kernel_cudaERNS_18TensorIteratorBaseEENKUlvE_clEvENKUlvE_clEvEUldE_EEvS5_RKT_EUlibE_EEviT1_.num_vgpr, 90
	.set _ZN2at6native32elementwise_kernel_manual_unrollILi128ELi4EZNS0_22gpu_kernel_impl_nocastIZZZNS0_12_GLOBAL__N_121bessel_y1_kernel_cudaERNS_18TensorIteratorBaseEENKUlvE_clEvENKUlvE_clEvEUldE_EEvS5_RKT_EUlibE_EEviT1_.num_agpr, 0
	.set _ZN2at6native32elementwise_kernel_manual_unrollILi128ELi4EZNS0_22gpu_kernel_impl_nocastIZZZNS0_12_GLOBAL__N_121bessel_y1_kernel_cudaERNS_18TensorIteratorBaseEENKUlvE_clEvENKUlvE_clEvEUldE_EEvS5_RKT_EUlibE_EEviT1_.numbered_sgpr, 60
	.set _ZN2at6native32elementwise_kernel_manual_unrollILi128ELi4EZNS0_22gpu_kernel_impl_nocastIZZZNS0_12_GLOBAL__N_121bessel_y1_kernel_cudaERNS_18TensorIteratorBaseEENKUlvE_clEvENKUlvE_clEvEUldE_EEvS5_RKT_EUlibE_EEviT1_.num_named_barrier, 0
	.set _ZN2at6native32elementwise_kernel_manual_unrollILi128ELi4EZNS0_22gpu_kernel_impl_nocastIZZZNS0_12_GLOBAL__N_121bessel_y1_kernel_cudaERNS_18TensorIteratorBaseEENKUlvE_clEvENKUlvE_clEvEUldE_EEvS5_RKT_EUlibE_EEviT1_.private_seg_size, 0
	.set _ZN2at6native32elementwise_kernel_manual_unrollILi128ELi4EZNS0_22gpu_kernel_impl_nocastIZZZNS0_12_GLOBAL__N_121bessel_y1_kernel_cudaERNS_18TensorIteratorBaseEENKUlvE_clEvENKUlvE_clEvEUldE_EEvS5_RKT_EUlibE_EEviT1_.uses_vcc, 1
	.set _ZN2at6native32elementwise_kernel_manual_unrollILi128ELi4EZNS0_22gpu_kernel_impl_nocastIZZZNS0_12_GLOBAL__N_121bessel_y1_kernel_cudaERNS_18TensorIteratorBaseEENKUlvE_clEvENKUlvE_clEvEUldE_EEvS5_RKT_EUlibE_EEviT1_.uses_flat_scratch, 0
	.set _ZN2at6native32elementwise_kernel_manual_unrollILi128ELi4EZNS0_22gpu_kernel_impl_nocastIZZZNS0_12_GLOBAL__N_121bessel_y1_kernel_cudaERNS_18TensorIteratorBaseEENKUlvE_clEvENKUlvE_clEvEUldE_EEvS5_RKT_EUlibE_EEviT1_.has_dyn_sized_stack, 0
	.set _ZN2at6native32elementwise_kernel_manual_unrollILi128ELi4EZNS0_22gpu_kernel_impl_nocastIZZZNS0_12_GLOBAL__N_121bessel_y1_kernel_cudaERNS_18TensorIteratorBaseEENKUlvE_clEvENKUlvE_clEvEUldE_EEvS5_RKT_EUlibE_EEviT1_.has_recursion, 0
	.set _ZN2at6native32elementwise_kernel_manual_unrollILi128ELi4EZNS0_22gpu_kernel_impl_nocastIZZZNS0_12_GLOBAL__N_121bessel_y1_kernel_cudaERNS_18TensorIteratorBaseEENKUlvE_clEvENKUlvE_clEvEUldE_EEvS5_RKT_EUlibE_EEviT1_.has_indirect_call, 0
	.section	.AMDGPU.csdata,"",@progbits
; Kernel info:
; codeLenInByte = 43220
; TotalNumSgprs: 62
; NumVgprs: 90
; ScratchSize: 0
; MemoryBound: 0
; FloatMode: 240
; IeeeMode: 1
; LDSByteSize: 0 bytes/workgroup (compile time only)
; SGPRBlocks: 0
; VGPRBlocks: 5
; NumSGPRsForWavesPerEU: 62
; NumVGPRsForWavesPerEU: 90
; NamedBarCnt: 0
; Occupancy: 10
; WaveLimiterHint : 1
; COMPUTE_PGM_RSRC2:SCRATCH_EN: 0
; COMPUTE_PGM_RSRC2:USER_SGPR: 2
; COMPUTE_PGM_RSRC2:TRAP_HANDLER: 0
; COMPUTE_PGM_RSRC2:TGID_X_EN: 1
; COMPUTE_PGM_RSRC2:TGID_Y_EN: 0
; COMPUTE_PGM_RSRC2:TGID_Z_EN: 0
; COMPUTE_PGM_RSRC2:TIDIG_COMP_CNT: 0
	.text
	.p2align	2                               ; -- Begin function _ZN2at6native6invokeIZZZNS0_12_GLOBAL__N_121bessel_y1_kernel_cudaERNS_18TensorIteratorBaseEENKUlvE_clEvENKUlvE_clEvEUldE_i15function_traitsIS7_EEENT1_11result_typeERKT_PrKPcPKT0_PKN3c1010ScalarTypeEi
	.type	_ZN2at6native6invokeIZZZNS0_12_GLOBAL__N_121bessel_y1_kernel_cudaERNS_18TensorIteratorBaseEENKUlvE_clEvENKUlvE_clEvEUldE_i15function_traitsIS7_EEENT1_11result_typeERKT_PrKPcPKT0_PKN3c1010ScalarTypeEi,@function
_ZN2at6native6invokeIZZZNS0_12_GLOBAL__N_121bessel_y1_kernel_cudaERNS_18TensorIteratorBaseEENKUlvE_clEvENKUlvE_clEvEUldE_i15function_traitsIS7_EEENT1_11result_typeERKT_PrKPcPKT0_PKN3c1010ScalarTypeEi: ; @_ZN2at6native6invokeIZZZNS0_12_GLOBAL__N_121bessel_y1_kernel_cudaERNS_18TensorIteratorBaseEENKUlvE_clEvENKUlvE_clEvEUldE_i15function_traitsIS7_EEENT1_11result_typeERKT_PrKPcPKT0_PKN3c1010ScalarTypeEi
; %bb.0:
	s_wait_loadcnt_dscnt 0x0
	s_wait_kmcnt 0x0
	v_mul_lo_u32 v6, v4, v2
	v_and_b32_e32 v4, 0xff, v3
	s_mov_b32 s1, 0
	s_mov_b32 s0, exec_lo
                                        ; implicit-def: $vgpr2_vgpr3
	s_delay_alu instid0(VALU_DEP_2) | instskip(NEXT) | instid1(VALU_DEP_1)
	v_ashrrev_i32_e32 v7, 31, v6
	v_add_nc_u64_e32 v[0:1], v[0:1], v[6:7]
	v_cmpx_lt_i16_e32 10, v4
	s_xor_b32 s0, exec_lo, s0
	s_cbranch_execz .LBB8_49
; %bb.1:
	s_mov_b32 s4, 0
	s_mov_b32 s3, 0
	s_mov_b32 s2, exec_lo
                                        ; implicit-def: $vgpr2_vgpr3
	v_cmpx_lt_i16_e32 25, v4
	s_xor_b32 s2, exec_lo, s2
	s_cbranch_execz .LBB8_92
; %bb.2:
	s_mov_b32 s5, 0
	s_mov_b32 s3, exec_lo
                                        ; implicit-def: $vgpr2_vgpr3
	v_cmpx_lt_i16_e32 28, v4
	s_xor_b32 s3, exec_lo, s3
	s_cbranch_execz .LBB8_18
; %bb.3:
	s_mov_b32 s6, 0
	s_mov_b32 s7, 0
	s_mov_b32 s4, exec_lo
                                        ; implicit-def: $vgpr2_vgpr3
	v_cmpx_lt_i16_e32 43, v4
	s_xor_b32 s4, exec_lo, s4
	s_cbranch_execz .LBB8_13
; %bb.4:
	s_mov_b32 s7, exec_lo
                                        ; implicit-def: $vgpr2_vgpr3
	v_cmpx_lt_i16_e32 45, v4
	s_xor_b32 s7, exec_lo, s7
	s_cbranch_execz .LBB8_8
; %bb.5:
	s_mov_b32 s8, -1
	s_mov_b32 s6, exec_lo
                                        ; implicit-def: $vgpr2_vgpr3
	v_cmpx_eq_u16_e32 46, v4
	s_cbranch_execz .LBB8_7
; %bb.6:
	flat_load_b32 v2, v[0:1]
	s_mov_b32 s5, exec_lo
	s_xor_b32 s8, exec_lo, -1
	s_wait_loadcnt_dscnt 0x0
	v_lshlrev_b32_e32 v2, 16, v2
	s_delay_alu instid0(VALU_DEP_1)
	v_cvt_f64_f32_e32 v[2:3], v2
.LBB8_7:
	s_wait_xcnt 0x0
	s_or_b32 exec_lo, exec_lo, s6
	s_delay_alu instid0(SALU_CYCLE_1)
	s_and_b32 s6, s5, exec_lo
	s_and_b32 s5, s8, exec_lo
                                        ; implicit-def: $vgpr4
.LBB8_8:
	s_and_not1_saveexec_b32 s7, s7
	s_cbranch_execz .LBB8_12
; %bb.9:
	s_mov_b32 s9, -1
	s_mov_b32 s10, s6
	s_mov_b32 s8, exec_lo
                                        ; implicit-def: $vgpr2_vgpr3
	v_cmpx_eq_u16_e32 44, v4
	s_cbranch_execz .LBB8_11
; %bb.10:
	flat_load_u8 v4, v[0:1]
	s_or_b32 s10, s6, exec_lo
	s_xor_b32 s9, exec_lo, -1
	s_wait_loadcnt_dscnt 0x0
	v_cmp_ne_u32_e32 vcc_lo, 0xff, v4
	v_lshlrev_b32_e32 v2, 23, v4
	s_delay_alu instid0(VALU_DEP_1) | instskip(NEXT) | instid1(VALU_DEP_1)
	v_cvt_f64_f32_e32 v[2:3], v2
	v_cndmask_b32_e32 v2, 0x20000000, v2, vcc_lo
	s_delay_alu instid0(VALU_DEP_2) | instskip(SKIP_1) | instid1(VALU_DEP_2)
	v_cndmask_b32_e32 v3, 0x7ff80000, v3, vcc_lo
	v_cmp_ne_u32_e32 vcc_lo, 0, v4
	v_cndmask_b32_e32 v3, 0x38000000, v3, vcc_lo
	s_delay_alu instid0(VALU_DEP_4)
	v_cndmask_b32_e32 v2, 0, v2, vcc_lo
.LBB8_11:
	s_wait_xcnt 0x0
	s_or_b32 exec_lo, exec_lo, s8
	s_delay_alu instid0(SALU_CYCLE_1)
	s_and_not1_b32 s6, s6, exec_lo
	s_and_b32 s8, s10, exec_lo
	s_and_not1_b32 s5, s5, exec_lo
	s_and_b32 s9, s9, exec_lo
	s_or_b32 s6, s6, s8
	s_or_b32 s5, s5, s9
.LBB8_12:
	s_or_b32 exec_lo, exec_lo, s7
	s_delay_alu instid0(SALU_CYCLE_1)
	s_and_b32 s7, s6, exec_lo
	s_and_b32 s6, s5, exec_lo
                                        ; implicit-def: $vgpr4
.LBB8_13:
	s_and_not1_saveexec_b32 s4, s4
	s_cbranch_execz .LBB8_17
; %bb.14:
	s_mov_b32 s5, -1
	s_mov_b32 s8, s7
	s_mov_b32 s9, exec_lo
                                        ; implicit-def: $vgpr2_vgpr3
	v_cmpx_eq_u16_e32 29, v4
	s_cbranch_execz .LBB8_16
; %bb.15:
	flat_load_b64 v[2:3], v[0:1]
	s_or_b32 s8, s7, exec_lo
	s_xor_b32 s5, exec_lo, -1
	s_wait_loadcnt_dscnt 0x0
	v_cvt_f64_u32_e32 v[4:5], v3
	v_cvt_f64_u32_e32 v[2:3], v2
	s_delay_alu instid0(VALU_DEP_2) | instskip(NEXT) | instid1(VALU_DEP_1)
	v_ldexp_f64 v[4:5], v[4:5], 32
	v_add_f64_e32 v[2:3], v[4:5], v[2:3]
.LBB8_16:
	s_wait_xcnt 0x0
	s_or_b32 exec_lo, exec_lo, s9
	s_delay_alu instid0(SALU_CYCLE_1)
	s_and_not1_b32 s7, s7, exec_lo
	s_and_b32 s8, s8, exec_lo
	s_and_not1_b32 s6, s6, exec_lo
	s_and_b32 s5, s5, exec_lo
	s_or_b32 s7, s7, s8
	s_or_b32 s6, s6, s5
.LBB8_17:
	s_or_b32 exec_lo, exec_lo, s4
	s_delay_alu instid0(SALU_CYCLE_1)
	s_and_b32 s5, s7, exec_lo
	s_and_b32 s4, s6, exec_lo
                                        ; implicit-def: $vgpr4
.LBB8_18:
	s_and_not1_saveexec_b32 s3, s3
	s_cbranch_execz .LBB8_34
; %bb.19:
	s_mov_b32 s6, exec_lo
                                        ; implicit-def: $vgpr2_vgpr3
	v_cmpx_lt_i16_e32 26, v4
	s_xor_b32 s6, exec_lo, s6
	s_cbranch_execz .LBB8_25
; %bb.20:
	s_mov_b32 s7, exec_lo
                                        ; implicit-def: $vgpr2_vgpr3
	v_cmpx_lt_i16_e32 27, v4
	s_xor_b32 s7, exec_lo, s7
	s_cbranch_execz .LBB8_22
; %bb.21:
	flat_load_b32 v2, v[0:1]
	s_wait_loadcnt_dscnt 0x0
	v_cvt_f64_u32_e32 v[2:3], v2
.LBB8_22:
	s_wait_xcnt 0x0
	s_and_not1_saveexec_b32 s7, s7
	s_cbranch_execz .LBB8_24
; %bb.23:
	flat_load_u16 v2, v[0:1]
	s_wait_loadcnt_dscnt 0x0
	v_cvt_f64_u32_e32 v[2:3], v2
.LBB8_24:
	s_wait_xcnt 0x0
	s_or_b32 exec_lo, exec_lo, s7
.LBB8_25:
	s_and_not1_saveexec_b32 s6, s6
	s_cbranch_execz .LBB8_33
; %bb.26:
	flat_load_u8 v4, v[0:1]
	s_mov_b32 s7, 0
	s_mov_b32 s8, exec_lo
	s_wait_loadcnt_dscnt 0x0
	v_cmpx_lt_i16_e32 0x7f, v4
	s_xor_b32 s8, exec_lo, s8
	s_cbranch_execz .LBB8_127
; %bb.27:
	s_mov_b32 s7, -1
	s_mov_b32 s9, exec_lo
	v_cmpx_eq_u16_e32 0x80, v4
; %bb.28:
	s_xor_b32 s7, exec_lo, -1
; %bb.29:
	s_or_b32 exec_lo, exec_lo, s9
	s_delay_alu instid0(SALU_CYCLE_1)
	s_and_b32 s7, s7, exec_lo
	s_or_saveexec_b32 s8, s8
	v_mov_b64_e32 v[2:3], 0x7ff8000020000000
	s_xor_b32 exec_lo, exec_lo, s8
	s_cbranch_execnz .LBB8_128
.LBB8_30:
	s_or_b32 exec_lo, exec_lo, s8
	s_and_saveexec_b32 s8, s7
	s_cbranch_execz .LBB8_32
.LBB8_31:
	v_and_b32_e32 v2, 0xffff, v4
	s_delay_alu instid0(VALU_DEP_1) | instskip(SKIP_1) | instid1(VALU_DEP_2)
	v_and_b32_e32 v3, 7, v2
	v_bfe_u32 v7, v2, 3, 4
	v_clz_i32_u32_e32 v5, v3
	s_delay_alu instid0(VALU_DEP_2) | instskip(NEXT) | instid1(VALU_DEP_2)
	v_cmp_eq_u32_e32 vcc_lo, 0, v7
	v_min_u32_e32 v5, 32, v5
	s_delay_alu instid0(VALU_DEP_1) | instskip(NEXT) | instid1(VALU_DEP_1)
	v_subrev_nc_u32_e32 v6, 28, v5
	v_dual_lshlrev_b32 v2, v6, v2 :: v_dual_sub_nc_u32 v5, 29, v5
	s_delay_alu instid0(VALU_DEP_1) | instskip(NEXT) | instid1(VALU_DEP_2)
	v_dual_lshlrev_b32 v4, 24, v4 :: v_dual_bitop2_b32 v2, 7, v2 bitop3:0x40
	v_cndmask_b32_e32 v5, v7, v5, vcc_lo
	s_delay_alu instid0(VALU_DEP_2) | instskip(NEXT) | instid1(VALU_DEP_3)
	v_cndmask_b32_e32 v2, v3, v2, vcc_lo
	v_and_b32_e32 v3, 0x80000000, v4
	s_delay_alu instid0(VALU_DEP_3) | instskip(NEXT) | instid1(VALU_DEP_3)
	v_lshl_add_u32 v4, v5, 23, 0x3b800000
	v_lshlrev_b32_e32 v2, 20, v2
	s_delay_alu instid0(VALU_DEP_1) | instskip(NEXT) | instid1(VALU_DEP_1)
	v_or3_b32 v2, v3, v4, v2
	v_cvt_f64_f32_e32 v[2:3], v2
.LBB8_32:
	s_or_b32 exec_lo, exec_lo, s8
.LBB8_33:
	s_delay_alu instid0(SALU_CYCLE_1) | instskip(NEXT) | instid1(SALU_CYCLE_1)
	s_or_b32 exec_lo, exec_lo, s6
	s_or_b32 s5, s5, exec_lo
.LBB8_34:
	s_or_b32 exec_lo, exec_lo, s3
	s_delay_alu instid0(SALU_CYCLE_1)
	s_and_b32 s3, s5, exec_lo
	s_and_b32 s4, s4, exec_lo
                                        ; implicit-def: $vgpr4
	s_and_not1_saveexec_b32 s2, s2
	s_cbranch_execnz .LBB8_93
.LBB8_35:
	s_or_b32 exec_lo, exec_lo, s2
	s_and_saveexec_b32 s2, s4
	s_cbranch_execnz .LBB8_118
.LBB8_36:
	s_or_b32 exec_lo, exec_lo, s2
	s_and_saveexec_b32 s2, s1
	s_delay_alu instid0(SALU_CYCLE_1)
	s_xor_b32 s1, exec_lo, s2
	s_cbranch_execz .LBB8_38
.LBB8_37:
	flat_load_u8 v0, v[0:1]
	v_mov_b32_e32 v2, 0
	s_or_b32 s3, s3, exec_lo
	s_wait_loadcnt_dscnt 0x0
	v_cmp_ne_u16_e32 vcc_lo, 0, v0
	v_cndmask_b32_e64 v3, 0, 0x3ff00000, vcc_lo
.LBB8_38:
	s_wait_xcnt 0x0
	s_or_b32 exec_lo, exec_lo, s1
	s_delay_alu instid0(SALU_CYCLE_1)
	s_and_b32 s1, s3, exec_lo
                                        ; implicit-def: $vgpr4
                                        ; implicit-def: $vgpr0_vgpr1
	s_and_not1_saveexec_b32 s0, s0
	s_cbranch_execnz .LBB8_50
.LBB8_39:
	s_or_b32 exec_lo, exec_lo, s0
                                        ; implicit-def: $vgpr0_vgpr1
	s_and_saveexec_b32 s3, s1
	s_cbranch_execz .LBB8_91
.LBB8_40:
                                        ; implicit-def: $vgpr0_vgpr1
	s_mov_b32 s0, exec_lo
	s_wait_loadcnt_dscnt 0x0
	s_delay_alu instid0(VALU_DEP_1)
	v_cmpx_ge_f64_e32 0x40140000, v[2:3]
	s_xor_b32 s1, exec_lo, s0
	s_cbranch_execz .LBB8_46
; %bb.41:
	v_mov_b64_e32 v[0:1], 0xfff0000000000000
	s_mov_b32 s2, exec_lo
	v_cmpx_neq_f64_e32 0, v[2:3]
	s_cbranch_execz .LBB8_45
; %bb.42:
	v_mov_b64_e32 v[0:1], 0x7ff8000000000000
	s_mov_b32 s4, exec_lo
	v_cmpx_nge_f64_e32 0, v[2:3]
	s_cbranch_execz .LBB8_44
; %bb.43:
	v_frexp_mant_f64_e32 v[0:1], v[2:3]
	s_mov_b64 s[6:7], 0x3fe5555555555555
	s_delay_alu instid0(VALU_DEP_1) | instid1(SALU_CYCLE_1)
	v_cmp_gt_f64_e32 vcc_lo, s[6:7], v[0:1]
	s_mov_b64 s[6:7], 0x3fc3ab76bf559e2b
	v_cndmask_b32_e64 v4, 0, 1, vcc_lo
	s_delay_alu instid0(VALU_DEP_1) | instskip(NEXT) | instid1(VALU_DEP_1)
	v_ldexp_f64 v[0:1], v[0:1], v4
	v_add_f64_e32 v[4:5], 1.0, v[0:1]
	v_add_f64_e32 v[10:11], -1.0, v[0:1]
	s_delay_alu instid0(VALU_DEP_2) | instskip(SKIP_1) | instid1(VALU_DEP_1)
	v_rcp_f64_e32 v[6:7], v[4:5]
	v_add_f64_e32 v[12:13], -1.0, v[4:5]
	v_add_f64_e64 v[0:1], v[0:1], -v[12:13]
	s_delay_alu instid0(TRANS32_DEP_1) | instskip(NEXT) | instid1(VALU_DEP_1)
	v_fma_f64 v[8:9], -v[4:5], v[6:7], 1.0
	v_fmac_f64_e32 v[6:7], v[8:9], v[6:7]
	s_delay_alu instid0(VALU_DEP_1) | instskip(NEXT) | instid1(VALU_DEP_1)
	v_fma_f64 v[8:9], -v[4:5], v[6:7], 1.0
	v_fmac_f64_e32 v[6:7], v[8:9], v[6:7]
	s_delay_alu instid0(VALU_DEP_1) | instskip(NEXT) | instid1(VALU_DEP_1)
	v_mul_f64_e32 v[8:9], v[10:11], v[6:7]
	v_mul_f64_e32 v[14:15], v[4:5], v[8:9]
	s_delay_alu instid0(VALU_DEP_1) | instskip(NEXT) | instid1(VALU_DEP_1)
	v_fma_f64 v[4:5], v[8:9], v[4:5], -v[14:15]
	v_fmac_f64_e32 v[4:5], v[8:9], v[0:1]
	s_delay_alu instid0(VALU_DEP_1) | instskip(NEXT) | instid1(VALU_DEP_1)
	v_add_f64_e32 v[0:1], v[14:15], v[4:5]
	v_add_f64_e64 v[12:13], v[10:11], -v[0:1]
	v_add_f64_e64 v[14:15], v[0:1], -v[14:15]
	s_delay_alu instid0(VALU_DEP_2) | instskip(NEXT) | instid1(VALU_DEP_2)
	v_add_f64_e64 v[10:11], v[10:11], -v[12:13]
	v_add_f64_e64 v[4:5], v[14:15], -v[4:5]
	v_frexp_exp_i32_f64_e32 v14, v[2:3]
	s_delay_alu instid0(VALU_DEP_3) | instskip(NEXT) | instid1(VALU_DEP_2)
	v_add_f64_e64 v[0:1], v[10:11], -v[0:1]
	v_subrev_co_ci_u32_e64 v14, null, 0, v14, vcc_lo
	s_delay_alu instid0(VALU_DEP_1) | instskip(NEXT) | instid1(VALU_DEP_3)
	v_cvt_f64_i32_e32 v[14:15], v14
	v_add_f64_e32 v[0:1], v[4:5], v[0:1]
	s_delay_alu instid0(VALU_DEP_2) | instskip(NEXT) | instid1(VALU_DEP_2)
	v_mul_f64_e32 v[20:21], 0x3fe62e42fefa39ef, v[14:15]
	v_add_f64_e32 v[0:1], v[12:13], v[0:1]
	s_delay_alu instid0(VALU_DEP_1) | instskip(NEXT) | instid1(VALU_DEP_1)
	v_mul_f64_e32 v[0:1], v[6:7], v[0:1]
	v_add_f64_e32 v[4:5], v[8:9], v[0:1]
	s_delay_alu instid0(VALU_DEP_1) | instskip(NEXT) | instid1(VALU_DEP_1)
	v_mul_f64_e32 v[6:7], v[4:5], v[4:5]
	v_fmaak_f64 v[10:11], s[6:7], v[6:7], 0x3fc385386b47b09a
	v_mul_f64_e32 v[12:13], v[4:5], v[6:7]
	s_mov_b64 s[6:7], 0x3fe62e42fefa39ef
	s_delay_alu instid0(SALU_CYCLE_1) | instskip(NEXT) | instid1(VALU_DEP_3)
	v_fma_f64 v[24:25], v[14:15], s[6:7], -v[20:21]
	v_fmaak_f64 v[10:11], v[6:7], v[10:11], 0x3fc7474dd7f4df2e
	s_delay_alu instid0(VALU_DEP_1) | instskip(NEXT) | instid1(VALU_DEP_1)
	v_fmaak_f64 v[10:11], v[6:7], v[10:11], 0x3fcc71c016291751
	v_fmaak_f64 v[10:11], v[6:7], v[10:11], 0x3fd249249b27acf1
	s_delay_alu instid0(VALU_DEP_1) | instskip(NEXT) | instid1(VALU_DEP_1)
	v_fmaak_f64 v[10:11], v[6:7], v[10:11], 0x3fd99999998ef7b6
	v_fmaak_f64 v[6:7], v[6:7], v[10:11], 0x3fe5555555555780
	v_ldexp_f64 v[10:11], v[4:5], 1
	v_add_f64_e64 v[4:5], v[4:5], -v[8:9]
	v_fmamk_f64 v[14:15], v[14:15], 0x3c7abc9e3b39803f, v[24:25]
	s_delay_alu instid0(VALU_DEP_4) | instskip(SKIP_1) | instid1(VALU_DEP_3)
	v_mul_f64_e32 v[6:7], v[12:13], v[6:7]
	v_mul_f64_e32 v[12:13], v[2:3], v[2:3]
	v_add_f64_e32 v[24:25], v[20:21], v[14:15]
	v_add_f64_e64 v[0:1], v[0:1], -v[4:5]
	s_delay_alu instid0(VALU_DEP_4) | instskip(NEXT) | instid1(VALU_DEP_4)
	v_add_f64_e32 v[8:9], v[10:11], v[6:7]
	v_fmaak_f64 v[16:17], 0, v[12:13], 0x40829269a93f7ac2
	v_fmaak_f64 v[18:19], 0, v[12:13], 0x408366b11b7086e7
	;; [unrolled: 1-line block ×3, first 2 shown]
	v_add_f64_e64 v[20:21], v[24:25], -v[20:21]
	v_ldexp_f64 v[0:1], v[0:1], 1
	v_add_f64_e64 v[4:5], v[8:9], -v[10:11]
	v_fmaak_f64 v[10:11], v[12:13], v[16:17], 0x410cc160be58ef7f
	v_fmaak_f64 v[16:17], v[12:13], v[18:19], 0x410f5eda0dd701b2
	;; [unrolled: 1-line block ×3, first 2 shown]
	v_add_f64_e64 v[14:15], v[14:15], -v[20:21]
	s_delay_alu instid0(VALU_DEP_4) | instskip(NEXT) | instid1(VALU_DEP_4)
	v_fmaak_f64 v[10:11], v[12:13], v[10:11], 0x419184efa9c8acee
	v_fmaak_f64 v[16:17], v[12:13], v[16:17], 0x4193e954dc92a1b1
	s_delay_alu instid0(VALU_DEP_4) | instskip(NEXT) | instid1(VALU_DEP_3)
	v_fmaak_f64 v[18:19], v[12:13], v[18:19], 0xc262d72d58836521
	v_fmaak_f64 v[10:11], v[12:13], v[10:11], 0x421178c3906b7b83
	s_delay_alu instid0(VALU_DEP_3) | instskip(NEXT) | instid1(VALU_DEP_3)
	v_fmaak_f64 v[16:17], v[12:13], v[16:17], 0x4214a13f7befeac1
	v_fmaak_f64 v[18:19], v[12:13], v[18:19], 0x42da0954b0910fef
	s_delay_alu instid0(VALU_DEP_3) | instskip(NEXT) | instid1(VALU_DEP_3)
	;; [unrolled: 3-line block ×4, first 2 shown]
	v_fmaak_f64 v[16:17], v[12:13], v[16:17], 0x43064b0a3eccf45f
	v_fmaak_f64 v[18:19], v[12:13], v[18:19], 0x438679ad0b7366b1
	v_add_f64_e64 v[4:5], v[6:7], -v[4:5]
	v_fmaak_f64 v[6:7], v[12:13], v[22:23], 0x425a52ba0d438c6b
	v_fmaak_f64 v[10:11], v[12:13], v[10:11], 0x436e83e3c547a488
	;; [unrolled: 1-line block ×4, first 2 shown]
	s_delay_alu instid0(VALU_DEP_4) | instskip(NEXT) | instid1(VALU_DEP_4)
	v_fmaak_f64 v[6:7], v[12:13], v[6:7], 0xc2d08a92e6ccf175
	v_fmaak_f64 v[10:11], v[12:13], v[10:11], 0x43cb90f190f6747f
	s_delay_alu instid0(VALU_DEP_2) | instskip(SKIP_1) | instid1(VALU_DEP_3)
	v_fmaak_f64 v[6:7], v[12:13], v[6:7], 0x432a2b42a697c482
	v_fmaak_f64 v[12:13], v[12:13], v[16:17], 0x43d2779576702939
	v_div_scale_f64 v[16:17], null, v[10:11], v[10:11], v[18:19]
	v_div_scale_f64 v[52:53], vcc_lo, v[18:19], v[10:11], v[18:19]
	s_delay_alu instid0(VALU_DEP_3) | instskip(SKIP_1) | instid1(VALU_DEP_4)
	v_div_scale_f64 v[22:23], null, v[12:13], v[12:13], v[6:7]
	v_add_f64_e32 v[0:1], v[0:1], v[4:5]
	v_rcp_f64_e32 v[4:5], v[16:17]
	s_delay_alu instid0(VALU_DEP_2) | instskip(NEXT) | instid1(VALU_DEP_1)
	v_rcp_f64_e32 v[26:27], v[22:23]
	v_add_f64_e32 v[28:29], v[8:9], v[0:1]
	s_delay_alu instid0(TRANS32_DEP_2) | instskip(NEXT) | instid1(TRANS32_DEP_1)
	v_fma_f64 v[30:31], -v[16:17], v[4:5], 1.0
	v_fma_f64 v[32:33], -v[22:23], v[26:27], 1.0
	s_delay_alu instid0(VALU_DEP_3) | instskip(SKIP_1) | instid1(VALU_DEP_4)
	v_add_f64_e32 v[34:35], v[24:25], v[28:29]
	v_add_f64_e64 v[8:9], v[28:29], -v[8:9]
	v_fmac_f64_e32 v[4:5], v[4:5], v[30:31]
	v_div_scale_f64 v[30:31], null, v[2:3], v[2:3], -1.0
	v_fmac_f64_e32 v[26:27], v[26:27], v[32:33]
	v_add_f64_e64 v[32:33], v[34:35], -v[24:25]
	v_add_f64_e64 v[0:1], v[0:1], -v[8:9]
	v_fma_f64 v[36:37], -v[16:17], v[4:5], 1.0
	v_rcp_f64_e32 v[38:39], v[30:31]
	s_delay_alu instid0(VALU_DEP_4) | instskip(NEXT) | instid1(VALU_DEP_4)
	v_fma_f64 v[48:49], -v[22:23], v[26:27], 1.0
	v_add_f64_e64 v[50:51], v[34:35], -v[32:33]
	v_add_f64_e64 v[8:9], v[28:29], -v[32:33]
	s_delay_alu instid0(VALU_DEP_4) | instskip(SKIP_4) | instid1(TRANS32_DEP_1)
	v_fmac_f64_e32 v[4:5], v[4:5], v[36:37]
	v_div_scale_f64 v[36:37], s0, v[6:7], v[12:13], v[6:7]
	v_fmac_f64_e32 v[26:27], v[26:27], v[48:49]
	v_add_f64_e32 v[48:49], v[14:15], v[0:1]
	v_add_f64_e64 v[20:21], v[24:25], -v[50:51]
	v_fma_f64 v[24:25], -v[30:31], v[38:39], 1.0
	v_mul_f64_e32 v[28:29], v[52:53], v[4:5]
	v_mul_f64_e32 v[32:33], v[36:37], v[26:27]
	s_delay_alu instid0(VALU_DEP_4) | instskip(NEXT) | instid1(VALU_DEP_4)
	v_add_f64_e32 v[8:9], v[8:9], v[20:21]
	v_fmac_f64_e32 v[38:39], v[38:39], v[24:25]
	s_delay_alu instid0(VALU_DEP_4) | instskip(NEXT) | instid1(VALU_DEP_4)
	v_fma_f64 v[16:17], -v[16:17], v[28:29], v[52:53]
	v_fma_f64 v[20:21], -v[22:23], v[32:33], v[36:37]
	v_add_f64_e64 v[22:23], v[48:49], -v[14:15]
	v_add_f64_e32 v[8:9], v[48:49], v[8:9]
	v_fma_f64 v[24:25], -v[30:31], v[38:39], 1.0
	v_div_fmas_f64 v[4:5], v[16:17], v[4:5], v[28:29]
	s_mov_b32 vcc_lo, s0
	v_div_fmas_f64 v[16:17], v[20:21], v[26:27], v[32:33]
	v_add_f64_e64 v[20:21], v[48:49], -v[22:23]
	v_div_scale_f64 v[28:29], vcc_lo, -1.0, v[2:3], -1.0
	v_add_f64_e32 v[26:27], v[34:35], v[8:9]
	v_fmac_f64_e32 v[38:39], v[38:39], v[24:25]
	v_add_f64_e64 v[0:1], v[0:1], -v[22:23]
	v_div_fixup_f64 v[4:5], v[4:5], v[10:11], v[18:19]
	v_div_fixup_f64 v[6:7], v[16:17], v[12:13], v[6:7]
	v_add_f64_e64 v[12:13], v[14:15], -v[20:21]
	v_add_f64_e64 v[14:15], v[26:27], -v[34:35]
	v_mul_f64_e32 v[16:17], v[28:29], v[38:39]
	s_delay_alu instid0(VALU_DEP_4) | instskip(NEXT) | instid1(VALU_DEP_4)
	v_mul_f64_e32 v[6:7], v[2:3], v[6:7]
	v_add_f64_e32 v[0:1], v[0:1], v[12:13]
	s_delay_alu instid0(VALU_DEP_4) | instskip(NEXT) | instid1(VALU_DEP_4)
	v_add_f64_e64 v[8:9], v[8:9], -v[14:15]
	v_fma_f64 v[12:13], -v[30:31], v[16:17], v[28:29]
	v_fmaak_f64 v[14:15], v[2:3], v[2:3], 0xc02d5d2b4189822c
	s_delay_alu instid0(VALU_DEP_1) | instskip(NEXT) | instid1(VALU_DEP_4)
	v_mul_f64_e32 v[6:7], v[14:15], v[6:7]
	v_add_f64_e32 v[0:1], v[0:1], v[8:9]
	s_delay_alu instid0(VALU_DEP_4) | instskip(SKIP_1) | instid1(VALU_DEP_1)
	v_div_fmas_f64 v[8:9], v[12:13], v[38:39], v[16:17]
	v_fmaak_f64 v[12:13], v[2:3], v[2:3], 0xc0489bf66072a432
	v_mul_f64_e32 v[6:7], v[12:13], v[6:7]
	s_delay_alu instid0(VALU_DEP_4) | instskip(NEXT) | instid1(VALU_DEP_4)
	v_add_f64_e32 v[0:1], v[26:27], v[0:1]
	v_div_fixup_f64 v[8:9], v[8:9], v[2:3], -1.0
	s_delay_alu instid0(VALU_DEP_1) | instskip(NEXT) | instid1(VALU_DEP_1)
	v_fmac_f64_e32 v[8:9], v[6:7], v[0:1]
	v_mul_f64_e32 v[0:1], 0x3fe45f306dc9c883, v[8:9]
	s_delay_alu instid0(VALU_DEP_1)
	v_fmac_f64_e32 v[0:1], v[2:3], v[4:5]
.LBB8_44:
	s_or_b32 exec_lo, exec_lo, s4
.LBB8_45:
	s_delay_alu instid0(SALU_CYCLE_1)
	s_or_b32 exec_lo, exec_lo, s2
                                        ; implicit-def: $vgpr2_vgpr3
.LBB8_46:
	s_and_not1_saveexec_b32 s4, s1
	s_cbranch_execz .LBB8_126
; %bb.47:
	v_add_f64_e32 v[0:1], 0xc002d97c7f3321d2, v[2:3]
                                        ; implicit-def: $vgpr20
                                        ; implicit-def: $vgpr4_vgpr5
                                        ; implicit-def: $vgpr6_vgpr7
	s_delay_alu instid0(VALU_DEP_1)
	v_cmp_ngt_f64_e64 s0, 0x41d00000, |v[0:1]|
	v_trig_preop_f64 v[16:17], |v[0:1]|, 0
	v_trig_preop_f64 v[14:15], |v[0:1]|, 1
	v_ldexp_f64 v[18:19], |v[0:1]|, 0xffffff80
	v_trig_preop_f64 v[12:13], |v[0:1]|, 2
	v_and_b32_e32 v22, 0x7fffffff, v1
	s_and_saveexec_b32 s1, s0
	s_delay_alu instid0(SALU_CYCLE_1)
	s_xor_b32 s1, exec_lo, s1
	s_cbranch_execz .LBB8_119
; %bb.48:
	v_cmp_le_f64_e64 vcc_lo, 0x7b000000, |v[0:1]|
	s_mov_b64 s[6:7], 0x3ff921fb54442d18
	v_dual_mov_b32 v34, 0 :: v_dual_cndmask_b32 v5, v22, v19
	v_cndmask_b32_e32 v4, v0, v18, vcc_lo
	s_delay_alu instid0(VALU_DEP_1) | instskip(SKIP_2) | instid1(VALU_DEP_3)
	v_mul_f64_e32 v[6:7], v[16:17], v[4:5]
	v_mul_f64_e32 v[8:9], v[14:15], v[4:5]
	;; [unrolled: 1-line block ×3, first 2 shown]
	v_fma_f64 v[10:11], v[16:17], v[4:5], -v[6:7]
	s_delay_alu instid0(VALU_DEP_3) | instskip(NEXT) | instid1(VALU_DEP_3)
	v_fma_f64 v[32:33], v[14:15], v[4:5], -v[8:9]
	v_fma_f64 v[4:5], v[12:13], v[4:5], -v[30:31]
	s_delay_alu instid0(VALU_DEP_3) | instskip(NEXT) | instid1(VALU_DEP_1)
	v_add_f64_e32 v[20:21], v[8:9], v[10:11]
	v_add_f64_e64 v[24:25], v[20:21], -v[8:9]
	v_add_f64_e32 v[28:29], v[6:7], v[20:21]
	s_delay_alu instid0(VALU_DEP_2) | instskip(SKIP_1) | instid1(VALU_DEP_3)
	v_add_f64_e64 v[26:27], v[20:21], -v[24:25]
	v_add_f64_e64 v[10:11], v[10:11], -v[24:25]
	v_ldexp_f64 v[24:25], v[28:29], -2
	s_delay_alu instid0(VALU_DEP_3) | instskip(SKIP_1) | instid1(VALU_DEP_3)
	v_add_f64_e64 v[8:9], v[8:9], -v[26:27]
	v_add_f64_e32 v[26:27], v[30:31], v[32:33]
	v_cmp_neq_f64_e64 vcc_lo, 0x7ff00000, |v[24:25]|
	s_delay_alu instid0(VALU_DEP_3) | instskip(SKIP_1) | instid1(VALU_DEP_1)
	v_add_f64_e32 v[8:9], v[10:11], v[8:9]
	v_fract_f64_e32 v[10:11], v[24:25]
	v_ldexp_f64 v[10:11], v[10:11], 2
	s_delay_alu instid0(VALU_DEP_1) | instskip(SKIP_1) | instid1(VALU_DEP_3)
	v_cndmask_b32_e32 v11, 0, v11, vcc_lo
	v_add_f64_e64 v[6:7], v[28:29], -v[6:7]
	v_cndmask_b32_e32 v10, 0, v10, vcc_lo
	s_delay_alu instid0(VALU_DEP_2) | instskip(SKIP_1) | instid1(VALU_DEP_1)
	v_add_f64_e64 v[6:7], v[20:21], -v[6:7]
	v_add_f64_e32 v[20:21], v[26:27], v[8:9]
	v_add_f64_e32 v[24:25], v[6:7], v[20:21]
	v_add_f64_e64 v[36:37], v[20:21], -v[26:27]
	s_delay_alu instid0(VALU_DEP_2) | instskip(NEXT) | instid1(VALU_DEP_2)
	v_add_f64_e32 v[28:29], v[24:25], v[10:11]
	v_add_f64_e64 v[50:51], v[20:21], -v[36:37]
	v_add_f64_e64 v[8:9], v[8:9], -v[36:37]
	;; [unrolled: 1-line block ×3, first 2 shown]
	s_delay_alu instid0(VALU_DEP_4) | instskip(SKIP_1) | instid1(VALU_DEP_3)
	v_cmp_gt_f64_e32 vcc_lo, 0, v[28:29]
	v_add_f64_e64 v[28:29], v[26:27], -v[30:31]
	v_add_f64_e64 v[6:7], v[20:21], -v[6:7]
	v_cndmask_b32_e64 v35, 0, 0x40100000, vcc_lo
	s_delay_alu instid0(VALU_DEP_3) | instskip(SKIP_2) | instid1(VALU_DEP_4)
	v_add_f64_e64 v[48:49], v[26:27], -v[28:29]
	v_add_f64_e64 v[28:29], v[32:33], -v[28:29]
	v_add_f64_e64 v[26:27], v[26:27], -v[50:51]
	v_add_f64_e32 v[10:11], v[10:11], v[34:35]
	s_delay_alu instid0(VALU_DEP_4) | instskip(NEXT) | instid1(VALU_DEP_3)
	v_add_f64_e64 v[32:33], v[30:31], -v[48:49]
	v_add_f64_e32 v[8:9], v[8:9], v[26:27]
	s_delay_alu instid0(VALU_DEP_3) | instskip(NEXT) | instid1(VALU_DEP_3)
	v_add_f64_e32 v[38:39], v[24:25], v[10:11]
	v_add_f64_e32 v[28:29], v[28:29], v[32:33]
	s_delay_alu instid0(VALU_DEP_2) | instskip(NEXT) | instid1(VALU_DEP_2)
	v_cvt_i32_f64_e32 v23, v[38:39]
	v_add_f64_e32 v[8:9], v[28:29], v[8:9]
	s_delay_alu instid0(VALU_DEP_2) | instskip(NEXT) | instid1(VALU_DEP_2)
	v_cvt_f64_i32_e32 v[36:37], v23
	v_add_f64_e32 v[4:5], v[4:5], v[8:9]
	s_delay_alu instid0(VALU_DEP_2) | instskip(NEXT) | instid1(VALU_DEP_2)
	v_add_f64_e64 v[10:11], v[10:11], -v[36:37]
	v_add_f64_e32 v[4:5], v[6:7], v[4:5]
	s_delay_alu instid0(VALU_DEP_2) | instskip(NEXT) | instid1(VALU_DEP_1)
	v_add_f64_e32 v[26:27], v[24:25], v[10:11]
	v_add_f64_e64 v[8:9], v[26:27], -v[10:11]
	v_cmp_le_f64_e32 vcc_lo, 0.5, v[26:27]
	s_delay_alu instid0(VALU_DEP_2) | instskip(SKIP_2) | instid1(VALU_DEP_3)
	v_add_f64_e64 v[6:7], v[24:25], -v[8:9]
	v_cndmask_b32_e64 v35, 0, 0x3ff00000, vcc_lo
	v_add_co_ci_u32_e64 v20, null, 0, v23, vcc_lo
	v_add_f64_e32 v[4:5], v[4:5], v[6:7]
	s_delay_alu instid0(VALU_DEP_3) | instskip(NEXT) | instid1(VALU_DEP_1)
	v_add_f64_e64 v[6:7], v[26:27], -v[34:35]
	v_add_f64_e32 v[8:9], v[6:7], v[4:5]
	s_delay_alu instid0(VALU_DEP_1) | instskip(SKIP_1) | instid1(VALU_DEP_2)
	v_mul_f64_e32 v[10:11], 0x3ff921fb54442d18, v[8:9]
	v_add_f64_e64 v[6:7], v[8:9], -v[6:7]
	v_fma_f64 v[24:25], v[8:9], s[6:7], -v[10:11]
	s_delay_alu instid0(VALU_DEP_2) | instskip(NEXT) | instid1(VALU_DEP_2)
	v_add_f64_e64 v[4:5], v[4:5], -v[6:7]
	v_fmamk_f64 v[6:7], v[8:9], 0x3c91a62633145c07, v[24:25]
	s_delay_alu instid0(VALU_DEP_1) | instskip(NEXT) | instid1(VALU_DEP_1)
	v_fmac_f64_e32 v[6:7], 0x3ff921fb54442d18, v[4:5]
	v_add_f64_e32 v[4:5], v[10:11], v[6:7]
	s_delay_alu instid0(VALU_DEP_1) | instskip(NEXT) | instid1(VALU_DEP_1)
	v_add_f64_e64 v[8:9], v[4:5], -v[10:11]
	v_add_f64_e64 v[6:7], v[6:7], -v[8:9]
	s_and_not1_saveexec_b32 s1, s1
	s_cbranch_execz .LBB8_121
	s_branch .LBB8_120
.LBB8_49:
	s_and_not1_saveexec_b32 s0, s0
	s_cbranch_execz .LBB8_39
.LBB8_50:
	s_mov_b32 s2, exec_lo
                                        ; implicit-def: $vgpr2_vgpr3
	v_cmpx_lt_i16_e32 4, v4
	s_xor_b32 s2, exec_lo, s2
	s_cbranch_execz .LBB8_72
; %bb.51:
	s_mov_b32 s3, exec_lo
                                        ; implicit-def: $vgpr2_vgpr3
	v_cmpx_lt_i16_e32 7, v4
	s_xor_b32 s3, exec_lo, s3
	s_cbranch_execz .LBB8_61
; %bb.52:
	s_mov_b32 s4, exec_lo
                                        ; implicit-def: $vgpr2_vgpr3
	v_cmpx_lt_i16_e32 8, v4
	s_xor_b32 s4, exec_lo, s4
	s_cbranch_execz .LBB8_58
; %bb.53:
	s_mov_b32 s5, exec_lo
                                        ; implicit-def: $vgpr2_vgpr3
	v_cmpx_lt_i16_e32 9, v4
	s_xor_b32 s5, exec_lo, s5
	s_cbranch_execz .LBB8_55
; %bb.54:
	flat_load_b64 v[2:3], v[0:1]
                                        ; implicit-def: $vgpr0_vgpr1
.LBB8_55:
	s_wait_xcnt 0x0
	s_and_not1_saveexec_b32 s5, s5
	s_cbranch_execz .LBB8_57
; %bb.56:
	flat_load_b32 v0, v[0:1]
	s_wait_loadcnt_dscnt 0x0
	v_cvt_f64_f32_e32 v[2:3], v0
.LBB8_57:
	s_wait_xcnt 0x0
	s_or_b32 exec_lo, exec_lo, s5
                                        ; implicit-def: $vgpr0_vgpr1
.LBB8_58:
	s_and_not1_saveexec_b32 s4, s4
	s_cbranch_execz .LBB8_60
; %bb.59:
	flat_load_b32 v0, v[0:1]
	s_wait_loadcnt_dscnt 0x0
	v_cvt_f32_f16_e32 v0, v0
	s_delay_alu instid0(VALU_DEP_1)
	v_cvt_f64_f32_e32 v[2:3], v0
.LBB8_60:
	s_or_b32 exec_lo, exec_lo, s4
                                        ; implicit-def: $vgpr0_vgpr1
                                        ; implicit-def: $vgpr4
.LBB8_61:
	s_and_not1_saveexec_b32 s3, s3
	s_cbranch_execz .LBB8_71
; %bb.62:
	s_mov_b32 s4, exec_lo
                                        ; implicit-def: $vgpr2_vgpr3
	v_cmpx_lt_i16_e32 5, v4
	s_xor_b32 s4, exec_lo, s4
	s_cbranch_execz .LBB8_68
; %bb.63:
	s_mov_b32 s5, exec_lo
                                        ; implicit-def: $vgpr2_vgpr3
	v_cmpx_lt_i16_e32 6, v4
	s_xor_b32 s5, exec_lo, s5
	s_cbranch_execz .LBB8_65
; %bb.64:
	s_wait_loadcnt_dscnt 0x0
	flat_load_b64 v[2:3], v[0:1]
                                        ; implicit-def: $vgpr0_vgpr1
.LBB8_65:
	s_wait_xcnt 0x0
	s_and_not1_saveexec_b32 s5, s5
	s_cbranch_execz .LBB8_67
; %bb.66:
	flat_load_b32 v0, v[0:1]
	s_wait_loadcnt_dscnt 0x0
	v_cvt_f64_f32_e32 v[2:3], v0
.LBB8_67:
	s_wait_xcnt 0x0
	s_or_b32 exec_lo, exec_lo, s5
                                        ; implicit-def: $vgpr0_vgpr1
.LBB8_68:
	s_and_not1_saveexec_b32 s4, s4
	s_cbranch_execz .LBB8_70
; %bb.69:
	flat_load_u16 v0, v[0:1]
	s_wait_loadcnt_dscnt 0x0
	v_cvt_f32_f16_e32 v0, v0
	s_delay_alu instid0(VALU_DEP_1)
	v_cvt_f64_f32_e32 v[2:3], v0
.LBB8_70:
	s_or_b32 exec_lo, exec_lo, s4
.LBB8_71:
	s_delay_alu instid0(SALU_CYCLE_1)
	s_or_b32 exec_lo, exec_lo, s3
                                        ; implicit-def: $vgpr4
                                        ; implicit-def: $vgpr0_vgpr1
.LBB8_72:
	s_and_not1_saveexec_b32 s2, s2
	s_cbranch_execz .LBB8_90
; %bb.73:
	s_mov_b32 s3, exec_lo
                                        ; implicit-def: $vgpr2_vgpr3
	v_cmpx_lt_i16_e32 1, v4
	s_xor_b32 s3, exec_lo, s3
	s_cbranch_execz .LBB8_83
; %bb.74:
	s_mov_b32 s4, exec_lo
                                        ; implicit-def: $vgpr2_vgpr3
	v_cmpx_lt_i16_e32 2, v4
	s_xor_b32 s4, exec_lo, s4
	;; [unrolled: 6-line block ×3, first 2 shown]
	s_cbranch_execz .LBB8_77
; %bb.76:
	flat_load_b64 v[0:1], v[0:1]
	s_wait_loadcnt_dscnt 0x0
	v_cvt_f64_i32_e32 v[2:3], v1
	s_wait_xcnt 0x0
	v_cvt_f64_u32_e32 v[0:1], v0
	s_delay_alu instid0(VALU_DEP_2) | instskip(NEXT) | instid1(VALU_DEP_1)
	v_ldexp_f64 v[2:3], v[2:3], 32
	v_add_f64_e32 v[2:3], v[2:3], v[0:1]
                                        ; implicit-def: $vgpr0_vgpr1
.LBB8_77:
	s_and_not1_saveexec_b32 s5, s5
	s_cbranch_execz .LBB8_79
; %bb.78:
	flat_load_b32 v0, v[0:1]
	s_wait_loadcnt_dscnt 0x0
	v_cvt_f64_i32_e32 v[2:3], v0
.LBB8_79:
	s_wait_xcnt 0x0
	s_or_b32 exec_lo, exec_lo, s5
                                        ; implicit-def: $vgpr0_vgpr1
.LBB8_80:
	s_and_not1_saveexec_b32 s4, s4
	s_cbranch_execz .LBB8_82
; %bb.81:
	flat_load_i16 v0, v[0:1]
	s_wait_loadcnt_dscnt 0x0
	v_cvt_f64_i32_e32 v[2:3], v0
.LBB8_82:
	s_wait_xcnt 0x0
	s_or_b32 exec_lo, exec_lo, s4
                                        ; implicit-def: $vgpr0_vgpr1
                                        ; implicit-def: $vgpr4
.LBB8_83:
	s_and_not1_saveexec_b32 s3, s3
	s_cbranch_execz .LBB8_89
; %bb.84:
	s_mov_b32 s4, exec_lo
                                        ; implicit-def: $vgpr2_vgpr3
	v_cmpx_lt_i16_e32 0, v4
	s_xor_b32 s4, exec_lo, s4
	s_cbranch_execz .LBB8_86
; %bb.85:
	flat_load_i8 v0, v[0:1]
	s_wait_loadcnt_dscnt 0x0
	v_cvt_f64_i32_e32 v[2:3], v0
                                        ; implicit-def: $vgpr0_vgpr1
.LBB8_86:
	s_wait_xcnt 0x0
	s_and_not1_saveexec_b32 s4, s4
	s_cbranch_execz .LBB8_88
; %bb.87:
	flat_load_u8 v0, v[0:1]
	s_wait_loadcnt_dscnt 0x0
	v_cvt_f64_u32_e32 v[2:3], v0
.LBB8_88:
	s_wait_xcnt 0x0
	s_or_b32 exec_lo, exec_lo, s4
.LBB8_89:
	s_delay_alu instid0(SALU_CYCLE_1)
	s_or_b32 exec_lo, exec_lo, s3
.LBB8_90:
	s_delay_alu instid0(SALU_CYCLE_1) | instskip(NEXT) | instid1(SALU_CYCLE_1)
	s_or_b32 exec_lo, exec_lo, s2
	s_or_b32 s1, s1, exec_lo
	s_or_b32 exec_lo, exec_lo, s0
                                        ; implicit-def: $vgpr0_vgpr1
	s_and_saveexec_b32 s3, s1
	s_cbranch_execnz .LBB8_40
.LBB8_91:
	s_or_b32 exec_lo, exec_lo, s3
	s_wait_loadcnt_dscnt 0x0
	s_set_pc_i64 s[30:31]
.LBB8_92:
	s_and_not1_saveexec_b32 s2, s2
	s_cbranch_execz .LBB8_35
.LBB8_93:
	s_mov_b32 s5, s3
	s_mov_b32 s1, exec_lo
                                        ; implicit-def: $vgpr2_vgpr3
	v_cmpx_lt_i16_e32 22, v4
	s_xor_b32 s1, exec_lo, s1
	s_cbranch_execz .LBB8_109
; %bb.94:
	s_mov_b32 s5, exec_lo
                                        ; implicit-def: $vgpr2_vgpr3
	v_cmpx_lt_i16_e32 23, v4
	s_xor_b32 s5, exec_lo, s5
	s_cbranch_execz .LBB8_106
; %bb.95:
	;; [unrolled: 6-line block ×3, first 2 shown]
	flat_load_u8 v4, v[0:1]
	s_mov_b32 s7, 0
	s_mov_b32 s8, exec_lo
	s_wait_loadcnt_dscnt 0x0
	v_cmpx_lt_i16_e32 0x7f, v4
	s_xor_b32 s8, exec_lo, s8
	s_cbranch_execz .LBB8_129
; %bb.97:
	s_mov_b32 s7, -1
	s_mov_b32 s9, exec_lo
	v_cmpx_eq_u16_e32 0x80, v4
; %bb.98:
	s_xor_b32 s7, exec_lo, -1
; %bb.99:
	s_or_b32 exec_lo, exec_lo, s9
	s_delay_alu instid0(SALU_CYCLE_1)
	s_and_b32 s7, s7, exec_lo
	s_or_saveexec_b32 s8, s8
	v_mov_b64_e32 v[2:3], 0x7ff8000020000000
	s_xor_b32 exec_lo, exec_lo, s8
	s_cbranch_execnz .LBB8_130
.LBB8_100:
	s_or_b32 exec_lo, exec_lo, s8
	s_and_saveexec_b32 s8, s7
	s_cbranch_execz .LBB8_102
.LBB8_101:
	v_and_b32_e32 v2, 0xffff, v4
	s_delay_alu instid0(VALU_DEP_1) | instskip(SKIP_1) | instid1(VALU_DEP_2)
	v_and_b32_e32 v3, 3, v2
	v_bfe_u32 v7, v2, 2, 5
	v_clz_i32_u32_e32 v5, v3
	s_delay_alu instid0(VALU_DEP_2) | instskip(NEXT) | instid1(VALU_DEP_2)
	v_cmp_eq_u32_e32 vcc_lo, 0, v7
	v_min_u32_e32 v5, 32, v5
	s_delay_alu instid0(VALU_DEP_1) | instskip(NEXT) | instid1(VALU_DEP_1)
	v_subrev_nc_u32_e32 v6, 29, v5
	v_dual_lshlrev_b32 v2, v6, v2 :: v_dual_sub_nc_u32 v5, 30, v5
	s_delay_alu instid0(VALU_DEP_1) | instskip(NEXT) | instid1(VALU_DEP_2)
	v_dual_lshlrev_b32 v4, 24, v4 :: v_dual_bitop2_b32 v2, 3, v2 bitop3:0x40
	v_cndmask_b32_e32 v5, v7, v5, vcc_lo
	s_delay_alu instid0(VALU_DEP_2) | instskip(NEXT) | instid1(VALU_DEP_3)
	v_cndmask_b32_e32 v2, v3, v2, vcc_lo
	v_and_b32_e32 v3, 0x80000000, v4
	s_delay_alu instid0(VALU_DEP_3) | instskip(NEXT) | instid1(VALU_DEP_3)
	v_lshl_add_u32 v4, v5, 23, 0x37800000
	v_lshlrev_b32_e32 v2, 21, v2
	s_delay_alu instid0(VALU_DEP_1) | instskip(NEXT) | instid1(VALU_DEP_1)
	v_or3_b32 v2, v3, v4, v2
	v_cvt_f64_f32_e32 v[2:3], v2
.LBB8_102:
	s_or_b32 exec_lo, exec_lo, s8
.LBB8_103:
	s_and_not1_saveexec_b32 s6, s6
	s_cbranch_execz .LBB8_105
; %bb.104:
	flat_load_u8 v2, v[0:1]
	s_wait_loadcnt_dscnt 0x0
	v_lshlrev_b32_e32 v2, 24, v2
	s_delay_alu instid0(VALU_DEP_1) | instskip(NEXT) | instid1(VALU_DEP_1)
	v_and_b32_e32 v3, 0x7f000000, v2
	v_clz_i32_u32_e32 v4, v3
	v_cmp_ne_u32_e32 vcc_lo, 0, v3
	v_add_nc_u32_e32 v6, 0x1000000, v3
	s_delay_alu instid0(VALU_DEP_3) | instskip(NEXT) | instid1(VALU_DEP_1)
	v_min_u32_e32 v4, 32, v4
	v_sub_nc_u32_e64 v4, v4, 4 clamp
	s_delay_alu instid0(VALU_DEP_1) | instskip(NEXT) | instid1(VALU_DEP_1)
	v_dual_lshlrev_b32 v5, v4, v3 :: v_dual_lshlrev_b32 v4, 23, v4
	v_lshrrev_b32_e32 v5, 4, v5
	s_delay_alu instid0(VALU_DEP_1) | instskip(NEXT) | instid1(VALU_DEP_1)
	v_dual_sub_nc_u32 v4, v5, v4 :: v_dual_ashrrev_i32 v5, 8, v6
	v_add_nc_u32_e32 v4, 0x3c000000, v4
	s_delay_alu instid0(VALU_DEP_1) | instskip(NEXT) | instid1(VALU_DEP_1)
	v_and_or_b32 v4, 0x7f800000, v5, v4
	v_cndmask_b32_e32 v3, 0, v4, vcc_lo
	s_delay_alu instid0(VALU_DEP_1) | instskip(NEXT) | instid1(VALU_DEP_1)
	v_and_or_b32 v2, 0x80000000, v2, v3
	v_cvt_f64_f32_e32 v[2:3], v2
.LBB8_105:
	s_wait_xcnt 0x0
	s_or_b32 exec_lo, exec_lo, s6
.LBB8_106:
	s_and_not1_saveexec_b32 s5, s5
	s_cbranch_execz .LBB8_108
; %bb.107:
	flat_load_u8 v2, v[0:1]
	s_wait_loadcnt_dscnt 0x0
	v_lshlrev_b32_e32 v3, 25, v2
	v_lshlrev_b16 v2, 8, v2
	s_delay_alu instid0(VALU_DEP_1) | instskip(SKIP_1) | instid1(VALU_DEP_2)
	v_and_or_b32 v5, 0x7f00, v2, 0.5
	v_bfe_i32 v2, v2, 0, 16
	v_dual_add_f32 v5, -0.5, v5 :: v_dual_lshrrev_b32 v4, 4, v3
	v_cmp_gt_u32_e32 vcc_lo, 0x8000000, v3
	s_delay_alu instid0(VALU_DEP_2) | instskip(NEXT) | instid1(VALU_DEP_1)
	v_or_b32_e32 v4, 0x70000000, v4
	v_mul_f32_e32 v4, 0x7800000, v4
	s_delay_alu instid0(VALU_DEP_1) | instskip(NEXT) | instid1(VALU_DEP_1)
	v_cndmask_b32_e32 v3, v4, v5, vcc_lo
	v_and_or_b32 v2, 0x80000000, v2, v3
	s_delay_alu instid0(VALU_DEP_1)
	v_cvt_f64_f32_e32 v[2:3], v2
.LBB8_108:
	s_wait_xcnt 0x0
	s_or_b32 exec_lo, exec_lo, s5
	s_delay_alu instid0(SALU_CYCLE_1)
	s_or_b32 s5, s3, exec_lo
                                        ; implicit-def: $vgpr4
.LBB8_109:
	s_or_saveexec_b32 s1, s1
	s_mov_b32 s6, 0
	s_mov_b32 s7, s4
	s_xor_b32 exec_lo, exec_lo, s1
	s_cbranch_execz .LBB8_117
; %bb.110:
	s_mov_b32 s6, s4
	s_mov_b32 s7, s5
	s_mov_b32 s8, exec_lo
                                        ; implicit-def: $vgpr2_vgpr3
	v_cmpx_lt_i16_e32 14, v4
	s_xor_b32 s8, exec_lo, s8
	s_cbranch_execz .LBB8_114
; %bb.111:
	s_mov_b32 s6, -1
	s_mov_b32 s7, s5
	s_mov_b32 s9, exec_lo
                                        ; implicit-def: $vgpr2_vgpr3
	v_cmpx_eq_u16_e32 15, v4
	s_cbranch_execz .LBB8_113
; %bb.112:
	flat_load_u16 v2, v[0:1]
	s_or_b32 s7, s5, exec_lo
	s_xor_b32 s6, exec_lo, -1
	s_wait_loadcnt_dscnt 0x0
	v_lshlrev_b32_e32 v2, 16, v2
	s_delay_alu instid0(VALU_DEP_1)
	v_cvt_f64_f32_e32 v[2:3], v2
.LBB8_113:
	s_wait_xcnt 0x0
	s_or_b32 exec_lo, exec_lo, s9
	s_delay_alu instid0(SALU_CYCLE_1)
	s_and_not1_b32 s9, s5, exec_lo
	s_and_b32 s7, s7, exec_lo
	s_and_not1_b32 s10, s4, exec_lo
	s_and_b32 s6, s6, exec_lo
	s_or_b32 s7, s9, s7
	s_or_b32 s6, s10, s6
                                        ; implicit-def: $vgpr4
.LBB8_114:
	s_or_saveexec_b32 s8, s8
	s_mov_b32 s9, 0
	s_xor_b32 exec_lo, exec_lo, s8
; %bb.115:
	v_cmp_ne_u16_e32 vcc_lo, 11, v4
	s_and_not1_b32 s6, s6, exec_lo
	s_mov_b32 s9, exec_lo
	s_and_b32 s10, vcc_lo, exec_lo
	s_delay_alu instid0(SALU_CYCLE_1)
	s_or_b32 s6, s6, s10
; %bb.116:
	s_or_b32 exec_lo, exec_lo, s8
	s_delay_alu instid0(SALU_CYCLE_1)
	s_and_not1_b32 s5, s5, exec_lo
	s_and_b32 s7, s7, exec_lo
	s_and_b32 s8, s6, exec_lo
	s_or_b32 s5, s5, s7
	s_and_not1_b32 s7, s4, exec_lo
	s_and_b32 s6, s9, exec_lo
	s_or_b32 s7, s7, s8
.LBB8_117:
	s_or_b32 exec_lo, exec_lo, s1
	s_delay_alu instid0(SALU_CYCLE_1)
	s_and_not1_b32 s1, s3, exec_lo
	s_and_b32 s3, s5, exec_lo
	s_and_not1_b32 s4, s4, exec_lo
	s_and_b32 s5, s7, exec_lo
	s_or_b32 s3, s1, s3
	s_and_b32 s1, s6, exec_lo
	s_or_b32 s4, s4, s5
	s_or_b32 exec_lo, exec_lo, s2
	s_and_saveexec_b32 s2, s4
	s_cbranch_execz .LBB8_36
.LBB8_118:
	s_trap 2
	; divergent unreachable
	s_and_not1_b32 s1, s1, exec_lo
	s_or_b32 exec_lo, exec_lo, s2
	s_and_saveexec_b32 s2, s1
	s_delay_alu instid0(SALU_CYCLE_1)
	s_xor_b32 s1, exec_lo, s2
	s_cbranch_execnz .LBB8_37
	s_branch .LBB8_38
.LBB8_119:
	s_and_not1_saveexec_b32 s1, s1
	s_cbranch_execz .LBB8_121
.LBB8_120:
	s_mov_b64 s[6:7], 0x3fe45f306dc9c883
	s_delay_alu instid0(SALU_CYCLE_1) | instskip(SKIP_1) | instid1(VALU_DEP_1)
	v_mul_f64_e64 v[4:5], |v[0:1]|, s[6:7]
	s_mov_b64 s[6:7], 0xbff921fb54442d18
	v_rndne_f64_e32 v[8:9], v[4:5]
	s_delay_alu instid0(VALU_DEP_1) | instskip(SKIP_1) | instid1(VALU_DEP_2)
	v_fma_f64 v[4:5], v[8:9], s[6:7], |v[0:1]|
	v_mul_f64_e32 v[6:7], 0xbc91a62633145c00, v[8:9]
	v_fmamk_f64 v[24:25], v[8:9], 0xbc91a62633145c00, v[4:5]
	s_delay_alu instid0(VALU_DEP_2) | instskip(NEXT) | instid1(VALU_DEP_1)
	v_add_f64_e32 v[10:11], v[4:5], v[6:7]
	v_add_f64_e64 v[20:21], v[4:5], -v[10:11]
	s_delay_alu instid0(VALU_DEP_3) | instskip(NEXT) | instid1(VALU_DEP_2)
	v_add_f64_e64 v[4:5], v[10:11], -v[24:25]
	v_add_f64_e32 v[10:11], v[20:21], v[6:7]
	v_fmamk_f64 v[6:7], v[8:9], 0x3c91a62633145c00, v[6:7]
	v_cvt_i32_f64_e32 v20, v[8:9]
	s_delay_alu instid0(VALU_DEP_3) | instskip(NEXT) | instid1(VALU_DEP_1)
	v_add_f64_e32 v[4:5], v[4:5], v[10:11]
	v_add_f64_e64 v[4:5], v[4:5], -v[6:7]
	s_delay_alu instid0(VALU_DEP_1) | instskip(NEXT) | instid1(VALU_DEP_1)
	v_fmamk_f64 v[6:7], v[8:9], 0xb97b839a252049c0, v[4:5]
	v_add_f64_e32 v[4:5], v[24:25], v[6:7]
	s_delay_alu instid0(VALU_DEP_1) | instskip(NEXT) | instid1(VALU_DEP_1)
	v_add_f64_e64 v[10:11], v[4:5], -v[24:25]
	v_add_f64_e64 v[6:7], v[6:7], -v[10:11]
.LBB8_121:
	s_or_b32 exec_lo, exec_lo, s1
                                        ; implicit-def: $vgpr21
                                        ; implicit-def: $vgpr8_vgpr9
                                        ; implicit-def: $vgpr10_vgpr11
	s_and_saveexec_b32 s1, s0
	s_delay_alu instid0(SALU_CYCLE_1)
	s_xor_b32 s0, exec_lo, s1
	s_cbranch_execz .LBB8_123
; %bb.122:
	v_cmp_le_f64_e64 vcc_lo, 0x7b000000, |v[0:1]|
	s_mov_b64 s[6:7], 0x3ff921fb54442d18
	v_dual_mov_b32 v32, 0 :: v_dual_cndmask_b32 v9, v22, v19
	v_cndmask_b32_e32 v8, v0, v18, vcc_lo
	s_delay_alu instid0(VALU_DEP_1) | instskip(SKIP_2) | instid1(VALU_DEP_3)
	v_mul_f64_e32 v[10:11], v[16:17], v[8:9]
	v_mul_f64_e32 v[18:19], v[14:15], v[8:9]
	;; [unrolled: 1-line block ×3, first 2 shown]
	v_fma_f64 v[16:17], v[16:17], v[8:9], -v[10:11]
	s_delay_alu instid0(VALU_DEP_3) | instskip(NEXT) | instid1(VALU_DEP_3)
	v_fma_f64 v[14:15], v[14:15], v[8:9], -v[18:19]
	v_fma_f64 v[8:9], v[12:13], v[8:9], -v[30:31]
	s_delay_alu instid0(VALU_DEP_3) | instskip(NEXT) | instid1(VALU_DEP_1)
	v_add_f64_e32 v[22:23], v[18:19], v[16:17]
	v_add_f64_e64 v[24:25], v[22:23], -v[18:19]
	v_add_f64_e32 v[28:29], v[10:11], v[22:23]
	s_delay_alu instid0(VALU_DEP_2) | instskip(SKIP_1) | instid1(VALU_DEP_3)
	v_add_f64_e64 v[26:27], v[22:23], -v[24:25]
	v_add_f64_e64 v[16:17], v[16:17], -v[24:25]
	v_ldexp_f64 v[24:25], v[28:29], -2
	s_delay_alu instid0(VALU_DEP_3) | instskip(SKIP_1) | instid1(VALU_DEP_3)
	v_add_f64_e64 v[18:19], v[18:19], -v[26:27]
	v_add_f64_e32 v[26:27], v[30:31], v[14:15]
	v_cmp_neq_f64_e64 vcc_lo, 0x7ff00000, |v[24:25]|
	s_delay_alu instid0(VALU_DEP_3) | instskip(SKIP_1) | instid1(VALU_DEP_1)
	v_add_f64_e32 v[16:17], v[16:17], v[18:19]
	v_fract_f64_e32 v[18:19], v[24:25]
	v_ldexp_f64 v[18:19], v[18:19], 2
	s_delay_alu instid0(VALU_DEP_1) | instskip(SKIP_1) | instid1(VALU_DEP_3)
	v_cndmask_b32_e32 v19, 0, v19, vcc_lo
	v_add_f64_e64 v[10:11], v[28:29], -v[10:11]
	v_cndmask_b32_e32 v18, 0, v18, vcc_lo
	s_delay_alu instid0(VALU_DEP_2) | instskip(SKIP_1) | instid1(VALU_DEP_1)
	v_add_f64_e64 v[10:11], v[22:23], -v[10:11]
	v_add_f64_e32 v[22:23], v[26:27], v[16:17]
	v_add_f64_e32 v[24:25], v[10:11], v[22:23]
	v_add_f64_e64 v[34:35], v[22:23], -v[26:27]
	s_delay_alu instid0(VALU_DEP_2) | instskip(NEXT) | instid1(VALU_DEP_2)
	v_add_f64_e32 v[28:29], v[24:25], v[18:19]
	v_add_f64_e64 v[48:49], v[22:23], -v[34:35]
	v_add_f64_e64 v[16:17], v[16:17], -v[34:35]
	;; [unrolled: 1-line block ×3, first 2 shown]
	s_delay_alu instid0(VALU_DEP_4) | instskip(SKIP_1) | instid1(VALU_DEP_3)
	v_cmp_gt_f64_e32 vcc_lo, 0, v[28:29]
	v_add_f64_e64 v[28:29], v[26:27], -v[30:31]
	v_add_f64_e64 v[10:11], v[22:23], -v[10:11]
	v_cndmask_b32_e64 v33, 0, 0x40100000, vcc_lo
	s_delay_alu instid0(VALU_DEP_3) | instskip(SKIP_2) | instid1(VALU_DEP_4)
	v_add_f64_e64 v[38:39], v[26:27], -v[28:29]
	v_add_f64_e64 v[14:15], v[14:15], -v[28:29]
	;; [unrolled: 1-line block ×3, first 2 shown]
	v_add_f64_e32 v[18:19], v[18:19], v[32:33]
	s_delay_alu instid0(VALU_DEP_4) | instskip(NEXT) | instid1(VALU_DEP_3)
	v_add_f64_e64 v[28:29], v[30:31], -v[38:39]
	v_add_f64_e32 v[16:17], v[16:17], v[26:27]
	s_delay_alu instid0(VALU_DEP_3) | instskip(NEXT) | instid1(VALU_DEP_3)
	v_add_f64_e32 v[36:37], v[24:25], v[18:19]
	v_add_f64_e32 v[14:15], v[14:15], v[28:29]
	s_delay_alu instid0(VALU_DEP_2) | instskip(NEXT) | instid1(VALU_DEP_2)
	v_cvt_i32_f64_e32 v21, v[36:37]
	v_add_f64_e32 v[12:13], v[14:15], v[16:17]
	s_delay_alu instid0(VALU_DEP_2) | instskip(NEXT) | instid1(VALU_DEP_2)
	v_cvt_f64_i32_e32 v[34:35], v21
	v_add_f64_e32 v[8:9], v[8:9], v[12:13]
	s_delay_alu instid0(VALU_DEP_2) | instskip(NEXT) | instid1(VALU_DEP_2)
	v_add_f64_e64 v[18:19], v[18:19], -v[34:35]
	v_add_f64_e32 v[8:9], v[10:11], v[8:9]
	s_delay_alu instid0(VALU_DEP_2) | instskip(NEXT) | instid1(VALU_DEP_1)
	v_add_f64_e32 v[14:15], v[24:25], v[18:19]
	v_add_f64_e64 v[12:13], v[14:15], -v[18:19]
	v_cmp_le_f64_e32 vcc_lo, 0.5, v[14:15]
	s_delay_alu instid0(VALU_DEP_2) | instskip(SKIP_2) | instid1(VALU_DEP_3)
	v_add_f64_e64 v[10:11], v[24:25], -v[12:13]
	v_cndmask_b32_e64 v33, 0, 0x3ff00000, vcc_lo
	v_add_co_ci_u32_e64 v21, null, 0, v21, vcc_lo
	v_add_f64_e32 v[8:9], v[8:9], v[10:11]
	s_delay_alu instid0(VALU_DEP_3) | instskip(NEXT) | instid1(VALU_DEP_1)
	v_add_f64_e64 v[10:11], v[14:15], -v[32:33]
	v_add_f64_e32 v[12:13], v[10:11], v[8:9]
	s_delay_alu instid0(VALU_DEP_1) | instskip(SKIP_1) | instid1(VALU_DEP_2)
	v_mul_f64_e32 v[14:15], 0x3ff921fb54442d18, v[12:13]
	v_add_f64_e64 v[10:11], v[12:13], -v[10:11]
	v_fma_f64 v[16:17], v[12:13], s[6:7], -v[14:15]
	s_delay_alu instid0(VALU_DEP_2) | instskip(NEXT) | instid1(VALU_DEP_2)
	v_add_f64_e64 v[8:9], v[8:9], -v[10:11]
	v_fmamk_f64 v[10:11], v[12:13], 0x3c91a62633145c07, v[16:17]
	s_delay_alu instid0(VALU_DEP_1) | instskip(NEXT) | instid1(VALU_DEP_1)
	v_fmac_f64_e32 v[10:11], 0x3ff921fb54442d18, v[8:9]
	v_add_f64_e32 v[8:9], v[14:15], v[10:11]
	s_delay_alu instid0(VALU_DEP_1) | instskip(NEXT) | instid1(VALU_DEP_1)
	v_add_f64_e64 v[12:13], v[8:9], -v[14:15]
	v_add_f64_e64 v[10:11], v[10:11], -v[12:13]
	s_and_not1_saveexec_b32 s0, s0
	s_cbranch_execnz .LBB8_124
	s_branch .LBB8_125
.LBB8_123:
	s_and_not1_saveexec_b32 s0, s0
	s_cbranch_execz .LBB8_125
.LBB8_124:
	s_mov_b64 s[6:7], 0x3fe45f306dc9c883
	s_delay_alu instid0(SALU_CYCLE_1) | instskip(SKIP_1) | instid1(VALU_DEP_1)
	v_mul_f64_e64 v[8:9], |v[0:1]|, s[6:7]
	s_mov_b64 s[6:7], 0xbff921fb54442d18
	v_rndne_f64_e32 v[12:13], v[8:9]
	s_delay_alu instid0(VALU_DEP_1) | instskip(SKIP_2) | instid1(VALU_DEP_3)
	v_fma_f64 v[8:9], v[12:13], s[6:7], |v[0:1]|
	v_mul_f64_e32 v[10:11], 0xbc91a62633145c00, v[12:13]
	v_cvt_i32_f64_e32 v21, v[12:13]
	v_fmamk_f64 v[18:19], v[12:13], 0xbc91a62633145c00, v[8:9]
	s_delay_alu instid0(VALU_DEP_3) | instskip(NEXT) | instid1(VALU_DEP_1)
	v_add_f64_e32 v[14:15], v[8:9], v[10:11]
	v_add_f64_e64 v[16:17], v[8:9], -v[14:15]
	s_delay_alu instid0(VALU_DEP_3) | instskip(NEXT) | instid1(VALU_DEP_2)
	v_add_f64_e64 v[8:9], v[14:15], -v[18:19]
	v_add_f64_e32 v[14:15], v[16:17], v[10:11]
	v_fmamk_f64 v[10:11], v[12:13], 0x3c91a62633145c00, v[10:11]
	s_delay_alu instid0(VALU_DEP_2) | instskip(NEXT) | instid1(VALU_DEP_1)
	v_add_f64_e32 v[8:9], v[8:9], v[14:15]
	v_add_f64_e64 v[8:9], v[8:9], -v[10:11]
	s_delay_alu instid0(VALU_DEP_1) | instskip(NEXT) | instid1(VALU_DEP_1)
	v_fmamk_f64 v[10:11], v[12:13], 0xb97b839a252049c0, v[8:9]
	v_add_f64_e32 v[8:9], v[18:19], v[10:11]
	s_delay_alu instid0(VALU_DEP_1) | instskip(NEXT) | instid1(VALU_DEP_1)
	v_add_f64_e64 v[14:15], v[8:9], -v[18:19]
	v_add_f64_e64 v[10:11], v[10:11], -v[14:15]
.LBB8_125:
	s_or_b32 exec_lo, exec_lo, s0
	v_div_scale_f64 v[12:13], null, v[2:3], v[2:3], 0x40140000
	v_div_scale_f64 v[18:19], vcc_lo, 0x40140000, v[2:3], 0x40140000
	v_mul_f64_e32 v[26:27], v[4:5], v[4:5]
	v_mul_f64_e32 v[28:29], v[8:9], v[8:9]
	v_mov_b64_e32 v[34:35], 0x3e21eeb69037ab78
	v_mov_b64_e32 v[36:37], 0xbe5ae600b42fdfa7
	v_mul_f64_e32 v[50:51], 0.5, v[6:7]
	v_mov_b64_e32 v[70:71], 0xbe927e4fa17f65f6
	v_cmp_gt_f64_e64 s0, 0x10000000, v[2:3]
	v_rcp_f64_e32 v[14:15], v[12:13]
	v_mul_f64_e32 v[38:39], 0.5, v[26:27]
	v_fmamk_f64 v[48:49], v[26:27], 0xbda907db46cc5e42, v[34:35]
	v_fmac_f64_e32 v[34:35], 0xbda907db46cc5e42, v[28:29]
	v_mul_f64_e64 v[52:53], v[4:5], -v[26:27]
	v_fmamk_f64 v[64:65], v[26:27], 0x3de5e0b2f9a43bb8, v[36:37]
	v_fmac_f64_e32 v[36:37], 0x3de5e0b2f9a43bb8, v[28:29]
	v_mul_f64_e32 v[66:67], 0.5, v[28:29]
	v_cndmask_b32_e64 v82, 0, 0x100, s0
	v_fmaak_f64 v[48:49], v[26:27], v[48:49], 0xbe927e4fa17f65f6
	v_fmaak_f64 v[64:65], v[26:27], v[64:65], 0x3ec71de3796cde01
	s_delay_alu instid0(VALU_DEP_2) | instskip(NEXT) | instid1(VALU_DEP_2)
	v_fmaak_f64 v[48:49], v[26:27], v[48:49], 0x3efa01a019f4ec90
	v_fmaak_f64 v[64:65], v[26:27], v[64:65], 0xbf2a01a019e83e5c
	s_delay_alu instid0(VALU_DEP_2) | instskip(NEXT) | instid1(VALU_DEP_2)
	v_fmaak_f64 v[48:49], v[26:27], v[48:49], 0xbf56c16c16c16967
	v_fmaak_f64 v[64:65], v[26:27], v[64:65], 0x3f81111111110bb3
	s_delay_alu instid0(VALU_DEP_2) | instskip(SKIP_2) | instid1(TRANS32_DEP_1)
	v_fmaak_f64 v[48:49], v[26:27], v[48:49], 0x3fa5555555555555
	v_add_f64_e64 v[80:81], -v[38:39], 1.0
	v_fmac_f64_e32 v[70:71], v[28:29], v[34:35]
	v_fma_f64 v[16:17], -v[12:13], v[14:15], 1.0
	v_mov_b64_e32 v[34:35], 0x3ec71de3796cde01
	v_fmac_f64_e32 v[50:51], v[52:53], v[64:65]
	s_delay_alu instid0(VALU_DEP_2) | instskip(SKIP_2) | instid1(VALU_DEP_4)
	v_fmac_f64_e32 v[34:35], v[28:29], v[36:37]
	v_add_f64_e64 v[36:37], -v[66:67], 1.0
	v_fmac_f64_e32 v[14:15], v[14:15], v[16:17]
	v_fma_f64 v[50:51], v[26:27], v[50:51], -v[6:7]
	v_mul_f64_e32 v[26:27], v[26:27], v[26:27]
	s_delay_alu instid0(VALU_DEP_3) | instskip(NEXT) | instid1(VALU_DEP_3)
	v_fma_f64 v[16:17], -v[12:13], v[14:15], 1.0
	v_fmac_f64_e32 v[50:51], 0xbfc5555555555555, v[52:53]
	v_mov_b64_e32 v[52:53], 0x3f81111111110bb3
	s_delay_alu instid0(VALU_DEP_3) | instskip(NEXT) | instid1(VALU_DEP_1)
	v_fmac_f64_e32 v[14:15], v[14:15], v[16:17]
	v_mul_f64_e32 v[16:17], v[18:19], v[14:15]
	s_delay_alu instid0(VALU_DEP_1) | instskip(NEXT) | instid1(VALU_DEP_1)
	v_fma_f64 v[12:13], -v[12:13], v[16:17], v[18:19]
	v_div_fmas_f64 v[12:13], v[12:13], v[14:15], v[16:17]
	s_delay_alu instid0(VALU_DEP_1) | instskip(SKIP_2) | instid1(VALU_DEP_3)
	v_div_fixup_f64 v[12:13], v[12:13], v[2:3], 0x40140000
	v_ldexp_f64 v[2:3], v[2:3], v82
	v_add_f64_e64 v[82:83], -v[80:81], 1.0
	v_mul_f64_e32 v[14:15], v[12:13], v[12:13]
	s_delay_alu instid0(VALU_DEP_2) | instskip(SKIP_1) | instid1(VALU_DEP_3)
	v_add_f64_e64 v[38:39], v[82:83], -v[38:39]
	v_mov_b64_e32 v[82:83], 0xbf56c16c16c16967
	v_fmaak_f64 v[16:17], 0, v[14:15], 0x3faa27fa6b70ba40
	v_fmaak_f64 v[18:19], 0, v[14:15], 0x40528f3060895077
	;; [unrolled: 1-line block ×4, first 2 shown]
	v_fma_f64 v[6:7], v[4:5], -v[6:7], v[38:39]
	v_mov_b64_e32 v[38:39], 0x3fa5555555555555
	v_add_f64_e64 v[4:5], v[4:5], -v[50:51]
	v_fmaak_f64 v[16:17], v[14:15], v[16:17], 0x4013edb5c66d8fd6
	v_fmaak_f64 v[18:19], v[14:15], v[18:19], 0x409081cba20e5f6f
	;; [unrolled: 1-line block ×4, first 2 shown]
	s_delay_alu instid0(VALU_DEP_4) | instskip(NEXT) | instid1(VALU_DEP_4)
	v_fmaak_f64 v[16:17], v[14:15], v[16:17], 0x4052f4b99acf1c67
	v_fmaak_f64 v[18:19], v[14:15], v[18:19], 0x40b37a691bfdfe81
	s_delay_alu instid0(VALU_DEP_4) | instskip(NEXT) | instid1(VALU_DEP_4)
	v_fmaak_f64 v[22:23], v[14:15], v[22:23], 0x3ff1aea9b850eed6
	v_fmaak_f64 v[24:25], v[14:15], v[24:25], 0x3ff208fec21596d6
	;; [unrolled: 3-line block ×8, first 2 shown]
	v_fmac_f64_e32 v[6:7], v[26:27], v[48:49]
	v_fmaak_f64 v[16:17], v[14:15], v[16:17], 0x406a760a4c54bb0b
	v_fmaak_f64 v[18:19], v[14:15], v[18:19], 0x4075017f6ae75997
	v_fma_f64 v[22:23], v[14:15], v[22:23], 1.0
	s_delay_alu instid0(VALU_DEP_3) | instskip(SKIP_1) | instid1(VALU_DEP_2)
	v_fmaak_f64 v[16:17], v[14:15], v[16:17], 0x403934ff4d159eb5
	v_fma_f64 v[14:15], v[14:15], v[24:25], 1.0
	v_div_scale_f64 v[24:25], null, v[18:19], v[18:19], v[16:17]
	v_add_f64_e32 v[6:7], v[80:81], v[6:7]
	s_delay_alu instid0(VALU_DEP_3) | instskip(NEXT) | instid1(VALU_DEP_3)
	v_div_scale_f64 v[30:31], null, v[22:23], v[22:23], v[14:15]
	v_rcp_f64_e32 v[32:33], v[24:25]
	s_delay_alu instid0(VALU_DEP_1) | instskip(NEXT) | instid1(TRANS32_DEP_2)
	v_rcp_f64_e32 v[54:55], v[30:31]
	v_fma_f64 v[68:69], -v[24:25], v[32:33], 1.0
	s_delay_alu instid0(TRANS32_DEP_1) | instskip(NEXT) | instid1(VALU_DEP_2)
	v_fma_f64 v[64:65], -v[30:31], v[54:55], 1.0
	v_fmac_f64_e32 v[32:33], v[32:33], v[68:69]
	v_mov_b64_e32 v[68:69], 0x3efa01a019f4ec90
	s_delay_alu instid0(VALU_DEP_1) | instskip(SKIP_1) | instid1(VALU_DEP_1)
	v_fmac_f64_e32 v[68:69], v[28:29], v[70:71]
	v_mov_b64_e32 v[70:71], 0xbf2a01a019e83e5c
	v_fmac_f64_e32 v[70:71], v[28:29], v[34:35]
	v_add_f64_e64 v[34:35], -v[36:37], 1.0
	v_fmac_f64_e32 v[54:55], v[54:55], v[64:65]
	v_fma_f64 v[64:65], -v[24:25], v[32:33], 1.0
	v_fmac_f64_e32 v[82:83], v[28:29], v[68:69]
	v_mul_f64_e32 v[68:69], 0.5, v[10:11]
	v_fmac_f64_e32 v[52:53], v[28:29], v[70:71]
	v_add_f64_e64 v[34:35], v[34:35], -v[66:67]
	v_mul_f64_e64 v[66:67], v[8:9], -v[28:29]
	v_fma_f64 v[70:71], -v[30:31], v[54:55], 1.0
	v_fmac_f64_e32 v[32:33], v[32:33], v[64:65]
	v_div_scale_f64 v[64:65], s1, v[16:17], v[18:19], v[16:17]
	v_fmac_f64_e32 v[38:39], v[28:29], v[82:83]
	v_rsq_f64_e32 v[82:83], v[2:3]
	v_fmac_f64_e32 v[68:69], v[66:67], v[52:53]
	v_fmac_f64_e32 v[54:55], v[54:55], v[70:71]
	v_div_scale_f64 v[70:71], vcc_lo, v[14:15], v[22:23], v[14:15]
	v_mul_f64_e32 v[52:53], v[64:65], v[32:33]
	s_delay_alu instid0(VALU_DEP_1) | instskip(NEXT) | instid1(VALU_DEP_3)
	v_fma_f64 v[24:25], -v[24:25], v[52:53], v[64:65]
	v_mul_f64_e32 v[64:65], v[70:71], v[54:55]
	s_delay_alu instid0(VALU_DEP_1) | instskip(NEXT) | instid1(VALU_DEP_1)
	v_fma_f64 v[30:31], -v[30:31], v[64:65], v[70:71]
	v_div_fmas_f64 v[26:27], v[30:31], v[54:55], v[64:65]
	s_mov_b32 vcc_lo, s1
	v_cmp_class_f64_e64 s1, v[0:1], 0x1f8
	v_div_fmas_f64 v[24:25], v[24:25], v[32:33], v[52:53]
	v_and_b32_e32 v0, 1, v21
	s_delay_alu instid0(VALU_DEP_1) | instskip(SKIP_1) | instid1(VALU_DEP_4)
	v_cmp_eq_u32_e64 s2, 0, v0
	v_div_fixup_f64 v[14:15], v[26:27], v[22:23], v[14:15]
	v_div_fixup_f64 v[16:17], v[24:25], v[18:19], v[16:17]
	v_and_b32_e32 v18, 1, v20
	s_delay_alu instid0(VALU_DEP_1) | instskip(SKIP_2) | instid1(TRANS32_DEP_1)
	v_cmp_eq_u32_e32 vcc_lo, 0, v18
	v_fma_f64 v[34:35], v[8:9], -v[10:11], v[34:35]
	v_fma_f64 v[10:11], v[28:29], v[68:69], -v[10:11]
	v_mul_f64_e32 v[68:69], v[2:3], v[82:83]
	v_mul_f64_e32 v[82:83], 0.5, v[82:83]
	v_mul_f64_e32 v[28:29], v[28:29], v[28:29]
	v_dual_cndmask_b32 v4, v6, v4, vcc_lo :: v_dual_lshlrev_b32 v6, 30, v21
	v_mul_f64_e32 v[12:13], v[12:13], v[16:17]
	v_fmac_f64_e32 v[10:11], 0xbfc5555555555555, v[66:67]
	v_fma_f64 v[70:71], -v[82:83], v[68:69], 0.5
	v_fmac_f64_e32 v[34:35], v[28:29], v[38:39]
	s_delay_alu instid0(VALU_DEP_3) | instskip(NEXT) | instid1(VALU_DEP_3)
	v_add_f64_e64 v[8:9], v[8:9], -v[10:11]
	v_fmac_f64_e32 v[68:69], v[68:69], v[70:71]
	v_fmac_f64_e32 v[82:83], v[82:83], v[70:71]
	s_delay_alu instid0(VALU_DEP_4) | instskip(NEXT) | instid1(VALU_DEP_4)
	v_add_f64_e32 v[10:11], v[36:37], v[34:35]
	v_xor_b32_e32 v0, 0x80000000, v9
	s_delay_alu instid0(VALU_DEP_4) | instskip(NEXT) | instid1(VALU_DEP_3)
	v_fma_f64 v[28:29], -v[68:69], v[68:69], v[2:3]
	v_cndmask_b32_e64 v10, v8, v10, s2
	s_delay_alu instid0(VALU_DEP_1) | instskip(NEXT) | instid1(VALU_DEP_1)
	v_dual_cndmask_b32 v0, v0, v11, s2 :: v_dual_cndmask_b32 v10, 0, v10, s1
	v_bitop3_b32 v6, v0, v6, 0x80000000 bitop3:0x78
	v_cndmask_b32_e64 v0, 0, v4, s1
	v_lshlrev_b32_e32 v4, 30, v20
	s_delay_alu instid0(VALU_DEP_3) | instskip(NEXT) | instid1(VALU_DEP_2)
	v_cndmask_b32_e64 v11, 0x7ff80000, v6, s1
	v_xor_b32_e32 v1, v4, v1
	v_cndmask_b32_e32 v4, v7, v5, vcc_lo
	v_cmp_class_f64_e64 vcc_lo, v[2:3], 0x260
	s_delay_alu instid0(VALU_DEP_4) | instskip(NEXT) | instid1(VALU_DEP_3)
	v_mul_f64_e32 v[10:11], v[12:13], v[10:11]
	v_bitop3_b32 v1, v4, v1, 0x80000000 bitop3:0x78
	s_delay_alu instid0(VALU_DEP_1) | instskip(SKIP_1) | instid1(VALU_DEP_2)
	v_cndmask_b32_e64 v1, 0x7ff80000, v1, s1
	v_fmac_f64_e32 v[68:69], v[28:29], v[82:83]
	v_fmac_f64_e32 v[10:11], v[14:15], v[0:1]
	v_cndmask_b32_e64 v0, 0, 0xffffff80, s0
	s_delay_alu instid0(VALU_DEP_3) | instskip(NEXT) | instid1(VALU_DEP_3)
	v_fma_f64 v[8:9], -v[68:69], v[68:69], v[2:3]
	v_mul_f64_e32 v[4:5], 0x3fe9884533d43651, v[10:11]
	s_delay_alu instid0(VALU_DEP_2) | instskip(NEXT) | instid1(VALU_DEP_1)
	v_fmac_f64_e32 v[68:69], v[8:9], v[82:83]
	v_ldexp_f64 v[0:1], v[68:69], v0
	s_delay_alu instid0(VALU_DEP_1) | instskip(NEXT) | instid1(VALU_DEP_1)
	v_dual_cndmask_b32 v1, v1, v3 :: v_dual_cndmask_b32 v0, v0, v2
	v_div_scale_f64 v[2:3], null, v[0:1], v[0:1], v[4:5]
	s_delay_alu instid0(VALU_DEP_1) | instskip(SKIP_1) | instid1(TRANS32_DEP_1)
	v_rcp_f64_e32 v[6:7], v[2:3]
	v_nop
	v_fma_f64 v[8:9], -v[2:3], v[6:7], 1.0
	s_delay_alu instid0(VALU_DEP_1) | instskip(NEXT) | instid1(VALU_DEP_1)
	v_fmac_f64_e32 v[6:7], v[6:7], v[8:9]
	v_fma_f64 v[8:9], -v[2:3], v[6:7], 1.0
	s_delay_alu instid0(VALU_DEP_1) | instskip(SKIP_1) | instid1(VALU_DEP_1)
	v_fmac_f64_e32 v[6:7], v[6:7], v[8:9]
	v_div_scale_f64 v[8:9], vcc_lo, v[4:5], v[0:1], v[4:5]
	v_mul_f64_e32 v[10:11], v[8:9], v[6:7]
	s_delay_alu instid0(VALU_DEP_1) | instskip(NEXT) | instid1(VALU_DEP_1)
	v_fma_f64 v[2:3], -v[2:3], v[10:11], v[8:9]
	v_div_fmas_f64 v[2:3], v[2:3], v[6:7], v[10:11]
	s_delay_alu instid0(VALU_DEP_1)
	v_div_fixup_f64 v[0:1], v[2:3], v[0:1], v[4:5]
.LBB8_126:
	s_or_b32 exec_lo, exec_lo, s4
	s_delay_alu instid0(SALU_CYCLE_1)
	s_or_b32 exec_lo, exec_lo, s3
	s_set_pc_i64 s[30:31]
.LBB8_127:
	s_or_saveexec_b32 s8, s8
	v_mov_b64_e32 v[2:3], 0x7ff8000020000000
	s_xor_b32 exec_lo, exec_lo, s8
	s_cbranch_execz .LBB8_30
.LBB8_128:
	v_cmp_ne_u16_e32 vcc_lo, 0, v4
	v_mov_b64_e32 v[2:3], 0
	s_and_not1_b32 s7, s7, exec_lo
	s_and_b32 s9, vcc_lo, exec_lo
	s_delay_alu instid0(SALU_CYCLE_1)
	s_or_b32 s7, s7, s9
	s_or_b32 exec_lo, exec_lo, s8
	s_and_saveexec_b32 s8, s7
	s_cbranch_execnz .LBB8_31
	s_branch .LBB8_32
.LBB8_129:
	s_or_saveexec_b32 s8, s8
	v_mov_b64_e32 v[2:3], 0x7ff8000020000000
	s_xor_b32 exec_lo, exec_lo, s8
	s_cbranch_execz .LBB8_100
.LBB8_130:
	v_cmp_ne_u16_e32 vcc_lo, 0, v4
	v_mov_b64_e32 v[2:3], 0
	s_and_not1_b32 s7, s7, exec_lo
	s_and_b32 s9, vcc_lo, exec_lo
	s_delay_alu instid0(SALU_CYCLE_1)
	s_or_b32 s7, s7, s9
	s_or_b32 exec_lo, exec_lo, s8
	s_and_saveexec_b32 s8, s7
	s_cbranch_execnz .LBB8_101
	s_branch .LBB8_102
.Lfunc_end8:
	.size	_ZN2at6native6invokeIZZZNS0_12_GLOBAL__N_121bessel_y1_kernel_cudaERNS_18TensorIteratorBaseEENKUlvE_clEvENKUlvE_clEvEUldE_i15function_traitsIS7_EEENT1_11result_typeERKT_PrKPcPKT0_PKN3c1010ScalarTypeEi, .Lfunc_end8-_ZN2at6native6invokeIZZZNS0_12_GLOBAL__N_121bessel_y1_kernel_cudaERNS_18TensorIteratorBaseEENKUlvE_clEvENKUlvE_clEvEUldE_i15function_traitsIS7_EEENT1_11result_typeERKT_PrKPcPKT0_PKN3c1010ScalarTypeEi
                                        ; -- End function
	.set .L_ZN2at6native6invokeIZZZNS0_12_GLOBAL__N_121bessel_y1_kernel_cudaERNS_18TensorIteratorBaseEENKUlvE_clEvENKUlvE_clEvEUldE_i15function_traitsIS7_EEENT1_11result_typeERKT_PrKPcPKT0_PKN3c1010ScalarTypeEi.num_vgpr, 84
	.set .L_ZN2at6native6invokeIZZZNS0_12_GLOBAL__N_121bessel_y1_kernel_cudaERNS_18TensorIteratorBaseEENKUlvE_clEvENKUlvE_clEvEUldE_i15function_traitsIS7_EEENT1_11result_typeERKT_PrKPcPKT0_PKN3c1010ScalarTypeEi.num_agpr, 0
	.set .L_ZN2at6native6invokeIZZZNS0_12_GLOBAL__N_121bessel_y1_kernel_cudaERNS_18TensorIteratorBaseEENKUlvE_clEvENKUlvE_clEvEUldE_i15function_traitsIS7_EEENT1_11result_typeERKT_PrKPcPKT0_PKN3c1010ScalarTypeEi.numbered_sgpr, 32
	.set .L_ZN2at6native6invokeIZZZNS0_12_GLOBAL__N_121bessel_y1_kernel_cudaERNS_18TensorIteratorBaseEENKUlvE_clEvENKUlvE_clEvEUldE_i15function_traitsIS7_EEENT1_11result_typeERKT_PrKPcPKT0_PKN3c1010ScalarTypeEi.num_named_barrier, 0
	.set .L_ZN2at6native6invokeIZZZNS0_12_GLOBAL__N_121bessel_y1_kernel_cudaERNS_18TensorIteratorBaseEENKUlvE_clEvENKUlvE_clEvEUldE_i15function_traitsIS7_EEENT1_11result_typeERKT_PrKPcPKT0_PKN3c1010ScalarTypeEi.private_seg_size, 0
	.set .L_ZN2at6native6invokeIZZZNS0_12_GLOBAL__N_121bessel_y1_kernel_cudaERNS_18TensorIteratorBaseEENKUlvE_clEvENKUlvE_clEvEUldE_i15function_traitsIS7_EEENT1_11result_typeERKT_PrKPcPKT0_PKN3c1010ScalarTypeEi.uses_vcc, 1
	.set .L_ZN2at6native6invokeIZZZNS0_12_GLOBAL__N_121bessel_y1_kernel_cudaERNS_18TensorIteratorBaseEENKUlvE_clEvENKUlvE_clEvEUldE_i15function_traitsIS7_EEENT1_11result_typeERKT_PrKPcPKT0_PKN3c1010ScalarTypeEi.uses_flat_scratch, 0
	.set .L_ZN2at6native6invokeIZZZNS0_12_GLOBAL__N_121bessel_y1_kernel_cudaERNS_18TensorIteratorBaseEENKUlvE_clEvENKUlvE_clEvEUldE_i15function_traitsIS7_EEENT1_11result_typeERKT_PrKPcPKT0_PKN3c1010ScalarTypeEi.has_dyn_sized_stack, 0
	.set .L_ZN2at6native6invokeIZZZNS0_12_GLOBAL__N_121bessel_y1_kernel_cudaERNS_18TensorIteratorBaseEENKUlvE_clEvENKUlvE_clEvEUldE_i15function_traitsIS7_EEENT1_11result_typeERKT_PrKPcPKT0_PKN3c1010ScalarTypeEi.has_recursion, 0
	.set .L_ZN2at6native6invokeIZZZNS0_12_GLOBAL__N_121bessel_y1_kernel_cudaERNS_18TensorIteratorBaseEENKUlvE_clEvENKUlvE_clEvEUldE_i15function_traitsIS7_EEENT1_11result_typeERKT_PrKPcPKT0_PKN3c1010ScalarTypeEi.has_indirect_call, 0
	.section	.AMDGPU.csdata,"",@progbits
; Function info:
; codeLenInByte = 7228
; TotalNumSgprs: 34
; NumVgprs: 84
; ScratchSize: 0
; MemoryBound: 1
	.section	.text._ZN2at6native32elementwise_kernel_manual_unrollILi128ELi4EZNS0_15gpu_kernel_implIZZZNS0_12_GLOBAL__N_121bessel_y1_kernel_cudaERNS_18TensorIteratorBaseEENKUlvE_clEvENKUlvE_clEvEUldE_EEvS5_RKT_EUlibE_EEviT1_,"axG",@progbits,_ZN2at6native32elementwise_kernel_manual_unrollILi128ELi4EZNS0_15gpu_kernel_implIZZZNS0_12_GLOBAL__N_121bessel_y1_kernel_cudaERNS_18TensorIteratorBaseEENKUlvE_clEvENKUlvE_clEvEUldE_EEvS5_RKT_EUlibE_EEviT1_,comdat
	.globl	_ZN2at6native32elementwise_kernel_manual_unrollILi128ELi4EZNS0_15gpu_kernel_implIZZZNS0_12_GLOBAL__N_121bessel_y1_kernel_cudaERNS_18TensorIteratorBaseEENKUlvE_clEvENKUlvE_clEvEUldE_EEvS5_RKT_EUlibE_EEviT1_ ; -- Begin function _ZN2at6native32elementwise_kernel_manual_unrollILi128ELi4EZNS0_15gpu_kernel_implIZZZNS0_12_GLOBAL__N_121bessel_y1_kernel_cudaERNS_18TensorIteratorBaseEENKUlvE_clEvENKUlvE_clEvEUldE_EEvS5_RKT_EUlibE_EEviT1_
	.p2align	8
	.type	_ZN2at6native32elementwise_kernel_manual_unrollILi128ELi4EZNS0_15gpu_kernel_implIZZZNS0_12_GLOBAL__N_121bessel_y1_kernel_cudaERNS_18TensorIteratorBaseEENKUlvE_clEvENKUlvE_clEvEUldE_EEvS5_RKT_EUlibE_EEviT1_,@function
_ZN2at6native32elementwise_kernel_manual_unrollILi128ELi4EZNS0_15gpu_kernel_implIZZZNS0_12_GLOBAL__N_121bessel_y1_kernel_cudaERNS_18TensorIteratorBaseEENKUlvE_clEvENKUlvE_clEvEUldE_EEvS5_RKT_EUlibE_EEviT1_: ; @_ZN2at6native32elementwise_kernel_manual_unrollILi128ELi4EZNS0_15gpu_kernel_implIZZZNS0_12_GLOBAL__N_121bessel_y1_kernel_cudaERNS_18TensorIteratorBaseEENKUlvE_clEvENKUlvE_clEvEUldE_EEvS5_RKT_EUlibE_EEviT1_
; %bb.0:
	v_mov_b32_e32 v1, 0
	s_bfe_u32 s3, ttmp6, 0x4000c
	s_clause 0x2
	s_load_b64 s[16:17], s[0:1], 0x18
	s_load_b32 s21, s[0:1], 0x0
	s_load_b128 s[12:15], s[0:1], 0x8
	global_load_u16 v1, v1, s[0:1] offset:33
	s_add_co_i32 s3, s3, 1
	s_and_b32 s2, ttmp6, 15
	s_mul_i32 s3, ttmp9, s3
	s_getreg_b32 s4, hwreg(HW_REG_IB_STS2, 6, 4)
	s_add_co_i32 s2, s2, s3
	s_cmp_eq_u32 s4, 0
	s_mov_b32 s18, 0
	s_wait_xcnt 0x0
	s_cselect_b32 s0, ttmp9, s2
	s_mov_b32 s20, 0
	v_lshl_or_b32 v46, s0, 9, v0
	s_mov_b32 s32, 0
	s_mov_b32 s0, exec_lo
	s_delay_alu instid0(VALU_DEP_1) | instskip(SKIP_3) | instid1(VALU_DEP_2)
	v_or_b32_e32 v56, 0x180, v46
	s_wait_loadcnt 0x0
	v_and_b32_e32 v0, 0xffff, v1
	v_readfirstlane_b32 s11, v1
	v_lshrrev_b32_e32 v47, 8, v0
	s_wait_kmcnt 0x0
	v_cmpx_le_i32_e64 s21, v56
	s_xor_b32 s19, exec_lo, s0
	s_cbranch_execz .LBB9_512
; %bb.1:
	s_mov_b32 s0, -1
	s_mov_b32 s23, 0
	s_mov_b32 s22, exec_lo
	v_cmpx_gt_i32_e64 s21, v46
                                        ; implicit-def: $vgpr2_vgpr3
	s_cbranch_execz .LBB9_124
; %bb.2:
	v_dual_mov_b32 v0, s14 :: v_dual_mov_b32 v1, s15
	v_dual_mov_b32 v2, s17 :: v_dual_mov_b32 v3, v47
	v_mov_b32_e32 v4, v46
	s_get_pc_i64 s[0:1]
	s_add_nc_u64 s[0:1], s[0:1], _ZN2at6native6invokeIZZZNS0_12_GLOBAL__N_121bessel_y1_kernel_cudaERNS_18TensorIteratorBaseEENKUlvE_clEvENKUlvE_clEvEUldE_i15function_traitsIS7_EEENT1_11result_typeERKT_PrKPcPKT0_PKN3c1010ScalarTypeEi@rel64+4
	s_delay_alu instid0(SALU_CYCLE_1) | instskip(SKIP_2) | instid1(SALU_CYCLE_1)
	s_swap_pc_i64 s[30:31], s[0:1]
	v_mul_lo_u32 v2, v46, s16
	s_and_b32 s1, s11, 0xff
	s_cmp_lt_i32 s1, 11
	s_delay_alu instid0(VALU_DEP_1) | instskip(NEXT) | instid1(VALU_DEP_1)
	v_ashrrev_i32_e32 v3, 31, v2
	v_add_nc_u64_e32 v[4:5], s[12:13], v[2:3]
	s_cbranch_scc1 .LBB9_9
; %bb.3:
	s_and_b32 s2, 0xffff, s1
	s_delay_alu instid0(SALU_CYCLE_1)
	s_cmp_gt_i32 s2, 25
	s_cbranch_scc0 .LBB9_12
; %bb.4:
	s_cmp_gt_i32 s2, 28
	s_cbranch_scc0 .LBB9_13
; %bb.5:
	;; [unrolled: 3-line block ×4, first 2 shown]
	s_mov_b32 s4, 0
	s_mov_b32 s0, -1
	s_cmp_eq_u32 s2, 46
	s_mov_b32 s3, 0
	s_cbranch_scc0 .LBB9_16
; %bb.8:
	v_cvt_f32_f64_e32 v2, v[0:1]
	s_mov_b32 s3, -1
	s_mov_b32 s0, 0
	s_delay_alu instid0(VALU_DEP_1) | instskip(SKIP_1) | instid1(VALU_DEP_2)
	v_bfe_u32 v3, v2, 16, 1
	v_cmp_o_f32_e32 vcc_lo, v2, v2
	v_add3_u32 v3, v2, v3, 0x7fff
	s_delay_alu instid0(VALU_DEP_1) | instskip(NEXT) | instid1(VALU_DEP_1)
	v_lshrrev_b32_e32 v3, 16, v3
	v_cndmask_b32_e32 v2, 0x7fc0, v3, vcc_lo
	global_store_b32 v[4:5], v2, off
	s_branch .LBB9_16
.LBB9_9:
	s_mov_b32 s0, 0
	s_mov_b32 s3, 0
	s_cbranch_execnz .LBB9_84
.LBB9_10:
	s_and_not1_b32 vcc_lo, exec_lo, s3
	s_cbranch_vccnz .LBB9_122
.LBB9_11:
	v_add_nc_u32_e32 v46, 0x80, v46
	s_mov_b32 s1, -1
	s_branch .LBB9_123
.LBB9_12:
	s_mov_b32 s0, 0
	s_mov_b32 s3, 0
	s_cbranch_execnz .LBB9_43
	s_branch .LBB9_83
.LBB9_13:
	s_mov_b32 s4, -1
	s_mov_b32 s0, 0
	s_mov_b32 s3, 0
	s_branch .LBB9_26
.LBB9_14:
	s_mov_b32 s4, -1
	s_mov_b32 s0, 0
	s_mov_b32 s3, 0
	s_branch .LBB9_22
.LBB9_15:
	s_mov_b32 s4, -1
	s_mov_b32 s0, 0
	s_mov_b32 s3, 0
.LBB9_16:
	s_and_b32 vcc_lo, exec_lo, s4
	s_cbranch_vccz .LBB9_21
; %bb.17:
	s_cmp_eq_u32 s2, 44
	s_mov_b32 s0, -1
	s_cbranch_scc0 .LBB9_21
; %bb.18:
	s_wait_xcnt 0x0
	v_cvt_f32_f64_e32 v2, v[0:1]
	v_mov_b32_e32 v3, 0xff
	s_mov_b32 s3, exec_lo
	s_delay_alu instid0(VALU_DEP_2) | instskip(NEXT) | instid1(VALU_DEP_1)
	v_bfe_u32 v6, v2, 23, 8
	v_cmpx_ne_u32_e32 0xff, v6
	s_cbranch_execz .LBB9_20
; %bb.19:
	v_and_b32_e32 v3, 0x400000, v2
	v_and_or_b32 v6, 0x3fffff, v2, v6
	v_lshrrev_b32_e32 v2, 23, v2
	s_delay_alu instid0(VALU_DEP_3) | instskip(NEXT) | instid1(VALU_DEP_3)
	v_cmp_ne_u32_e32 vcc_lo, 0, v3
	v_cmp_ne_u32_e64 s0, 0, v6
	s_and_b32 s0, vcc_lo, s0
	s_delay_alu instid0(SALU_CYCLE_1) | instskip(NEXT) | instid1(VALU_DEP_1)
	v_cndmask_b32_e64 v3, 0, 1, s0
	v_add_nc_u32_e32 v3, v2, v3
.LBB9_20:
	s_or_b32 exec_lo, exec_lo, s3
	s_mov_b32 s3, -1
	s_mov_b32 s0, 0
	global_store_b8 v[4:5], v3, off
.LBB9_21:
	s_mov_b32 s4, 0
.LBB9_22:
	s_delay_alu instid0(SALU_CYCLE_1)
	s_and_b32 vcc_lo, exec_lo, s4
	s_cbranch_vccz .LBB9_25
; %bb.23:
	s_cmp_eq_u32 s2, 29
	s_mov_b32 s0, -1
	s_cbranch_scc0 .LBB9_25
; %bb.24:
	s_wait_xcnt 0x0
	v_trunc_f64_e32 v[2:3], v[0:1]
	s_mov_b32 s3, -1
	s_mov_b32 s0, 0
	s_mov_b32 s4, 0
	s_delay_alu instid0(VALU_DEP_1) | instskip(NEXT) | instid1(VALU_DEP_1)
	v_ldexp_f64 v[6:7], v[2:3], 0xffffffe0
	v_floor_f64_e32 v[6:7], v[6:7]
	s_delay_alu instid0(VALU_DEP_1) | instskip(SKIP_1) | instid1(VALU_DEP_2)
	v_fmamk_f64 v[2:3], v[6:7], 0xc1f00000, v[2:3]
	v_cvt_u32_f64_e32 v7, v[6:7]
	v_cvt_u32_f64_e32 v6, v[2:3]
	global_store_b64 v[4:5], v[6:7], off
	s_branch .LBB9_26
.LBB9_25:
	s_mov_b32 s4, 0
.LBB9_26:
	s_delay_alu instid0(SALU_CYCLE_1)
	s_and_b32 vcc_lo, exec_lo, s4
	s_cbranch_vccz .LBB9_42
; %bb.27:
	s_cmp_lt_i32 s2, 27
	s_mov_b32 s3, -1
	s_cbranch_scc1 .LBB9_33
; %bb.28:
	s_wait_xcnt 0x0
	v_cvt_u32_f64_e32 v2, v[0:1]
	s_cmp_gt_i32 s2, 27
	s_cbranch_scc0 .LBB9_30
; %bb.29:
	s_mov_b32 s3, 0
	global_store_b32 v[4:5], v2, off
.LBB9_30:
	s_and_not1_b32 vcc_lo, exec_lo, s3
	s_cbranch_vccnz .LBB9_32
; %bb.31:
	global_store_b16 v[4:5], v2, off
.LBB9_32:
	s_mov_b32 s3, 0
.LBB9_33:
	s_delay_alu instid0(SALU_CYCLE_1)
	s_and_not1_b32 vcc_lo, exec_lo, s3
	s_cbranch_vccnz .LBB9_41
; %bb.34:
	s_wait_xcnt 0x0
	v_cvt_f32_f64_e32 v2, v[0:1]
	v_mov_b32_e32 v6, 0x80
	s_mov_b32 s3, exec_lo
	s_delay_alu instid0(VALU_DEP_2) | instskip(NEXT) | instid1(VALU_DEP_1)
	v_and_b32_e32 v3, 0x7fffffff, v2
	v_cmpx_gt_u32_e32 0x43800000, v3
	s_cbranch_execz .LBB9_40
; %bb.35:
	v_cmp_lt_u32_e32 vcc_lo, 0x3bffffff, v3
	s_mov_b32 s4, 0
                                        ; implicit-def: $vgpr3
	s_and_saveexec_b32 s5, vcc_lo
	s_delay_alu instid0(SALU_CYCLE_1)
	s_xor_b32 s5, exec_lo, s5
	s_cbranch_execz .LBB9_141
; %bb.36:
	v_bfe_u32 v3, v2, 20, 1
	s_mov_b32 s4, exec_lo
	s_delay_alu instid0(VALU_DEP_1) | instskip(NEXT) | instid1(VALU_DEP_1)
	v_add3_u32 v3, v2, v3, 0x487ffff
	v_lshrrev_b32_e32 v3, 20, v3
	s_and_not1_saveexec_b32 s5, s5
	s_cbranch_execnz .LBB9_142
.LBB9_37:
	s_or_b32 exec_lo, exec_lo, s5
	v_mov_b32_e32 v6, 0
	s_and_saveexec_b32 s5, s4
.LBB9_38:
	v_lshrrev_b32_e32 v2, 24, v2
	s_delay_alu instid0(VALU_DEP_1)
	v_and_or_b32 v6, 0x80, v2, v3
.LBB9_39:
	s_or_b32 exec_lo, exec_lo, s5
.LBB9_40:
	s_delay_alu instid0(SALU_CYCLE_1)
	s_or_b32 exec_lo, exec_lo, s3
	global_store_b8 v[4:5], v6, off
.LBB9_41:
	s_mov_b32 s3, -1
.LBB9_42:
	s_branch .LBB9_83
.LBB9_43:
	s_cmp_gt_i32 s2, 22
	s_mov_b32 s4, -1
	s_cbranch_scc0 .LBB9_75
; %bb.44:
	s_cmp_lt_i32 s2, 24
	s_mov_b32 s3, -1
	s_cbranch_scc1 .LBB9_64
; %bb.45:
	s_cmp_gt_i32 s2, 24
	s_cbranch_scc0 .LBB9_53
; %bb.46:
	s_wait_xcnt 0x0
	v_cvt_f32_f64_e32 v2, v[0:1]
	v_mov_b32_e32 v6, 0x80
	s_mov_b32 s3, exec_lo
	s_delay_alu instid0(VALU_DEP_2) | instskip(NEXT) | instid1(VALU_DEP_1)
	v_and_b32_e32 v3, 0x7fffffff, v2
	v_cmpx_gt_u32_e32 0x47800000, v3
	s_cbranch_execz .LBB9_52
; %bb.47:
	v_cmp_lt_u32_e32 vcc_lo, 0x37ffffff, v3
	s_mov_b32 s4, 0
                                        ; implicit-def: $vgpr3
	s_and_saveexec_b32 s5, vcc_lo
	s_delay_alu instid0(SALU_CYCLE_1)
	s_xor_b32 s5, exec_lo, s5
	s_cbranch_execz .LBB9_144
; %bb.48:
	v_bfe_u32 v3, v2, 21, 1
	s_mov_b32 s4, exec_lo
	s_delay_alu instid0(VALU_DEP_1) | instskip(NEXT) | instid1(VALU_DEP_1)
	v_add3_u32 v3, v2, v3, 0x88fffff
	v_lshrrev_b32_e32 v3, 21, v3
	s_and_not1_saveexec_b32 s5, s5
	s_cbranch_execnz .LBB9_145
.LBB9_49:
	s_or_b32 exec_lo, exec_lo, s5
	v_mov_b32_e32 v6, 0
	s_and_saveexec_b32 s5, s4
.LBB9_50:
	v_lshrrev_b32_e32 v2, 24, v2
	s_delay_alu instid0(VALU_DEP_1)
	v_and_or_b32 v6, 0x80, v2, v3
.LBB9_51:
	s_or_b32 exec_lo, exec_lo, s5
.LBB9_52:
	s_delay_alu instid0(SALU_CYCLE_1)
	s_or_b32 exec_lo, exec_lo, s3
	s_mov_b32 s3, 0
	global_store_b8 v[4:5], v6, off
.LBB9_53:
	s_and_b32 vcc_lo, exec_lo, s3
	s_cbranch_vccz .LBB9_63
; %bb.54:
	s_wait_xcnt 0x0
	v_cvt_f32_f64_e32 v2, v[0:1]
	s_mov_b32 s3, exec_lo
                                        ; implicit-def: $vgpr3
	s_delay_alu instid0(VALU_DEP_1) | instskip(NEXT) | instid1(VALU_DEP_1)
	v_and_b32_e32 v6, 0x7fffffff, v2
	v_cmpx_gt_u32_e32 0x43f00000, v6
	s_xor_b32 s3, exec_lo, s3
	s_cbranch_execz .LBB9_60
; %bb.55:
	s_mov_b32 s4, exec_lo
                                        ; implicit-def: $vgpr3
	v_cmpx_lt_u32_e32 0x3c7fffff, v6
	s_xor_b32 s4, exec_lo, s4
; %bb.56:
	v_bfe_u32 v3, v2, 20, 1
	s_delay_alu instid0(VALU_DEP_1) | instskip(NEXT) | instid1(VALU_DEP_1)
	v_add3_u32 v3, v2, v3, 0x407ffff
	v_and_b32_e32 v6, 0xff00000, v3
	v_lshrrev_b32_e32 v3, 20, v3
	s_delay_alu instid0(VALU_DEP_2) | instskip(NEXT) | instid1(VALU_DEP_2)
	v_cmp_ne_u32_e32 vcc_lo, 0x7f00000, v6
	v_cndmask_b32_e32 v3, 0x7e, v3, vcc_lo
; %bb.57:
	s_and_not1_saveexec_b32 s4, s4
; %bb.58:
	v_add_f32_e64 v3, 0x46800000, |v2|
; %bb.59:
	s_or_b32 exec_lo, exec_lo, s4
                                        ; implicit-def: $vgpr6
.LBB9_60:
	s_and_not1_saveexec_b32 s3, s3
; %bb.61:
	v_mov_b32_e32 v3, 0x7f
	v_cmp_lt_u32_e32 vcc_lo, 0x7f800000, v6
	s_delay_alu instid0(VALU_DEP_2)
	v_cndmask_b32_e32 v3, 0x7e, v3, vcc_lo
; %bb.62:
	s_or_b32 exec_lo, exec_lo, s3
	v_lshrrev_b32_e32 v2, 24, v2
	s_delay_alu instid0(VALU_DEP_1)
	v_and_or_b32 v2, 0x80, v2, v3
	global_store_b8 v[4:5], v2, off
.LBB9_63:
	s_mov_b32 s3, 0
.LBB9_64:
	s_delay_alu instid0(SALU_CYCLE_1)
	s_and_not1_b32 vcc_lo, exec_lo, s3
	s_cbranch_vccnz .LBB9_74
; %bb.65:
	s_wait_xcnt 0x0
	v_cvt_f32_f64_e32 v2, v[0:1]
	s_mov_b32 s3, exec_lo
                                        ; implicit-def: $vgpr3
	s_delay_alu instid0(VALU_DEP_1) | instskip(NEXT) | instid1(VALU_DEP_1)
	v_and_b32_e32 v6, 0x7fffffff, v2
	v_cmpx_gt_u32_e32 0x47800000, v6
	s_xor_b32 s3, exec_lo, s3
	s_cbranch_execz .LBB9_71
; %bb.66:
	s_mov_b32 s4, exec_lo
                                        ; implicit-def: $vgpr3
	v_cmpx_lt_u32_e32 0x387fffff, v6
	s_xor_b32 s4, exec_lo, s4
; %bb.67:
	v_bfe_u32 v3, v2, 21, 1
	s_delay_alu instid0(VALU_DEP_1) | instskip(NEXT) | instid1(VALU_DEP_1)
	v_add3_u32 v3, v2, v3, 0x80fffff
	v_lshrrev_b32_e32 v3, 21, v3
; %bb.68:
	s_and_not1_saveexec_b32 s4, s4
; %bb.69:
	v_add_f32_e64 v3, 0x43000000, |v2|
; %bb.70:
	s_or_b32 exec_lo, exec_lo, s4
                                        ; implicit-def: $vgpr6
.LBB9_71:
	s_and_not1_saveexec_b32 s3, s3
; %bb.72:
	v_mov_b32_e32 v3, 0x7f
	v_cmp_lt_u32_e32 vcc_lo, 0x7f800000, v6
	s_delay_alu instid0(VALU_DEP_2)
	v_cndmask_b32_e32 v3, 0x7c, v3, vcc_lo
; %bb.73:
	s_or_b32 exec_lo, exec_lo, s3
	v_lshrrev_b32_e32 v2, 24, v2
	s_delay_alu instid0(VALU_DEP_1)
	v_and_or_b32 v2, 0x80, v2, v3
	global_store_b8 v[4:5], v2, off
.LBB9_74:
	s_mov_b32 s4, 0
	s_mov_b32 s3, -1
.LBB9_75:
	s_and_not1_b32 vcc_lo, exec_lo, s4
	s_cbranch_vccnz .LBB9_83
; %bb.76:
	s_cmp_gt_i32 s2, 14
	s_mov_b32 s4, -1
	s_cbranch_scc0 .LBB9_80
; %bb.77:
	s_cmp_eq_u32 s2, 15
	s_mov_b32 s0, -1
	s_cbranch_scc0 .LBB9_79
; %bb.78:
	s_wait_xcnt 0x0
	v_cvt_f32_f64_e32 v2, v[0:1]
	s_mov_b32 s3, -1
	s_mov_b32 s0, 0
	s_delay_alu instid0(VALU_DEP_1) | instskip(SKIP_1) | instid1(VALU_DEP_2)
	v_bfe_u32 v3, v2, 16, 1
	v_cmp_o_f32_e32 vcc_lo, v2, v2
	v_add3_u32 v3, v2, v3, 0x7fff
	s_delay_alu instid0(VALU_DEP_1) | instskip(NEXT) | instid1(VALU_DEP_1)
	v_lshrrev_b32_e32 v3, 16, v3
	v_cndmask_b32_e32 v2, 0x7fc0, v3, vcc_lo
	global_store_b16 v[4:5], v2, off
.LBB9_79:
	s_mov_b32 s4, 0
.LBB9_80:
	s_delay_alu instid0(SALU_CYCLE_1)
	s_and_b32 vcc_lo, exec_lo, s4
	s_cbranch_vccz .LBB9_83
; %bb.81:
	s_cmp_eq_u32 s2, 11
	s_mov_b32 s0, -1
	s_cbranch_scc0 .LBB9_83
; %bb.82:
	v_cmp_neq_f64_e32 vcc_lo, 0, v[0:1]
	s_mov_b32 s3, -1
	s_mov_b32 s0, 0
	s_wait_xcnt 0x0
	v_cndmask_b32_e64 v2, 0, 1, vcc_lo
	global_store_b8 v[4:5], v2, off
.LBB9_83:
	s_branch .LBB9_10
.LBB9_84:
	s_and_b32 s1, 0xffff, s1
	s_mov_b32 s2, -1
	s_cmp_lt_i32 s1, 5
	s_cbranch_scc1 .LBB9_105
; %bb.85:
	s_cmp_lt_i32 s1, 8
	s_cbranch_scc1 .LBB9_95
; %bb.86:
	;; [unrolled: 3-line block ×3, first 2 shown]
	s_cmp_gt_i32 s1, 9
	s_cbranch_scc0 .LBB9_89
; %bb.88:
	s_wait_xcnt 0x0
	v_mov_b32_e32 v2, 0
	s_mov_b32 s2, 0
	s_delay_alu instid0(VALU_DEP_1)
	v_mov_b32_e32 v3, v2
	global_store_b128 v[4:5], v[0:3], off
.LBB9_89:
	s_and_not1_b32 vcc_lo, exec_lo, s2
	s_cbranch_vccnz .LBB9_91
; %bb.90:
	s_wait_xcnt 0x0
	v_cvt_f32_f64_e32 v2, v[0:1]
	v_mov_b32_e32 v3, 0
	global_store_b64 v[4:5], v[2:3], off
.LBB9_91:
	s_mov_b32 s2, 0
.LBB9_92:
	s_delay_alu instid0(SALU_CYCLE_1)
	s_and_not1_b32 vcc_lo, exec_lo, s2
	s_cbranch_vccnz .LBB9_94
; %bb.93:
	s_wait_xcnt 0x0
	v_and_or_b32 v2, 0x1ff, v1, v0
	v_lshrrev_b32_e32 v3, 8, v1
	v_bfe_u32 v6, v1, 20, 11
	s_delay_alu instid0(VALU_DEP_3) | instskip(NEXT) | instid1(VALU_DEP_2)
	v_cmp_ne_u32_e32 vcc_lo, 0, v2
	v_sub_nc_u32_e32 v7, 0x3f1, v6
	v_cndmask_b32_e64 v2, 0, 1, vcc_lo
	s_delay_alu instid0(VALU_DEP_1) | instskip(NEXT) | instid1(VALU_DEP_3)
	v_and_or_b32 v2, 0xffe, v3, v2
	v_med3_i32 v3, v7, 0, 13
	s_delay_alu instid0(VALU_DEP_2) | instskip(NEXT) | instid1(VALU_DEP_1)
	v_or_b32_e32 v7, 0x1000, v2
	v_lshrrev_b32_e32 v8, v3, v7
	s_delay_alu instid0(VALU_DEP_1) | instskip(NEXT) | instid1(VALU_DEP_1)
	v_lshlrev_b32_e32 v3, v3, v8
	v_cmp_ne_u32_e32 vcc_lo, v3, v7
	v_cndmask_b32_e64 v3, 0, 1, vcc_lo
	s_delay_alu instid0(VALU_DEP_1) | instskip(SKIP_1) | instid1(VALU_DEP_1)
	v_or_b32_e32 v3, v8, v3
	v_add_nc_u32_e32 v6, 0xfffffc10, v6
	v_lshl_or_b32 v7, v6, 12, v2
	v_cmp_gt_i32_e32 vcc_lo, 1, v6
	s_delay_alu instid0(VALU_DEP_2) | instskip(NEXT) | instid1(VALU_DEP_1)
	v_cndmask_b32_e32 v3, v7, v3, vcc_lo
	v_dual_lshrrev_b32 v3, 2, v3 :: v_dual_bitop2_b32 v7, 7, v3 bitop3:0x40
	s_delay_alu instid0(VALU_DEP_1) | instskip(SKIP_4) | instid1(VALU_DEP_2)
	v_cmp_lt_i32_e32 vcc_lo, 5, v7
	v_cndmask_b32_e64 v8, 0, 1, vcc_lo
	v_cmp_eq_u32_e32 vcc_lo, 3, v7
	v_cndmask_b32_e64 v7, 0, 1, vcc_lo
	v_cmp_ne_u32_e32 vcc_lo, 0, v2
	v_or_b32_e32 v7, v7, v8
	s_delay_alu instid0(VALU_DEP_1) | instskip(NEXT) | instid1(VALU_DEP_1)
	v_dual_mov_b32 v8, 0x7e00 :: v_dual_add_nc_u32 v3, v3, v7
	v_cndmask_b32_e32 v2, 0x7c00, v8, vcc_lo
	v_cmp_gt_i32_e32 vcc_lo, 31, v6
	v_lshrrev_b32_e32 v7, 16, v1
	s_delay_alu instid0(VALU_DEP_4) | instskip(SKIP_1) | instid1(VALU_DEP_2)
	v_cndmask_b32_e32 v3, 0x7c00, v3, vcc_lo
	v_cmp_eq_u32_e32 vcc_lo, 0x40f, v6
	v_cndmask_b32_e32 v2, v3, v2, vcc_lo
	s_delay_alu instid0(VALU_DEP_4) | instskip(NEXT) | instid1(VALU_DEP_1)
	v_and_b32_e32 v3, 0x8000, v7
	v_bitop3_b32 v2, v3, 0xffff, v2 bitop3:0xc8
	global_store_b32 v[4:5], v2, off
.LBB9_94:
	s_mov_b32 s2, 0
.LBB9_95:
	s_delay_alu instid0(SALU_CYCLE_1)
	s_and_not1_b32 vcc_lo, exec_lo, s2
	s_cbranch_vccnz .LBB9_104
; %bb.96:
	s_cmp_lt_i32 s1, 6
	s_mov_b32 s2, -1
	s_cbranch_scc1 .LBB9_102
; %bb.97:
	s_cmp_gt_i32 s1, 6
	s_cbranch_scc0 .LBB9_99
; %bb.98:
	s_mov_b32 s2, 0
	global_store_b64 v[4:5], v[0:1], off
.LBB9_99:
	s_and_not1_b32 vcc_lo, exec_lo, s2
	s_cbranch_vccnz .LBB9_101
; %bb.100:
	s_wait_xcnt 0x0
	v_cvt_f32_f64_e32 v2, v[0:1]
	global_store_b32 v[4:5], v2, off
.LBB9_101:
	s_mov_b32 s2, 0
.LBB9_102:
	s_delay_alu instid0(SALU_CYCLE_1)
	s_and_not1_b32 vcc_lo, exec_lo, s2
	s_cbranch_vccnz .LBB9_104
; %bb.103:
	s_wait_xcnt 0x0
	v_and_or_b32 v2, 0x1ff, v1, v0
	v_lshrrev_b32_e32 v3, 8, v1
	v_bfe_u32 v6, v1, 20, 11
	s_delay_alu instid0(VALU_DEP_3) | instskip(NEXT) | instid1(VALU_DEP_2)
	v_cmp_ne_u32_e32 vcc_lo, 0, v2
	v_sub_nc_u32_e32 v7, 0x3f1, v6
	v_cndmask_b32_e64 v2, 0, 1, vcc_lo
	s_delay_alu instid0(VALU_DEP_1) | instskip(NEXT) | instid1(VALU_DEP_3)
	v_and_or_b32 v2, 0xffe, v3, v2
	v_med3_i32 v3, v7, 0, 13
	s_delay_alu instid0(VALU_DEP_2) | instskip(NEXT) | instid1(VALU_DEP_1)
	v_or_b32_e32 v7, 0x1000, v2
	v_lshrrev_b32_e32 v8, v3, v7
	s_delay_alu instid0(VALU_DEP_1) | instskip(NEXT) | instid1(VALU_DEP_1)
	v_lshlrev_b32_e32 v3, v3, v8
	v_cmp_ne_u32_e32 vcc_lo, v3, v7
	v_cndmask_b32_e64 v3, 0, 1, vcc_lo
	s_delay_alu instid0(VALU_DEP_1) | instskip(SKIP_1) | instid1(VALU_DEP_1)
	v_or_b32_e32 v3, v8, v3
	v_add_nc_u32_e32 v6, 0xfffffc10, v6
	v_lshl_or_b32 v7, v6, 12, v2
	v_cmp_gt_i32_e32 vcc_lo, 1, v6
	s_delay_alu instid0(VALU_DEP_2) | instskip(NEXT) | instid1(VALU_DEP_1)
	v_cndmask_b32_e32 v3, v7, v3, vcc_lo
	v_dual_lshrrev_b32 v3, 2, v3 :: v_dual_bitop2_b32 v7, 7, v3 bitop3:0x40
	s_delay_alu instid0(VALU_DEP_1) | instskip(SKIP_4) | instid1(VALU_DEP_2)
	v_cmp_lt_i32_e32 vcc_lo, 5, v7
	v_cndmask_b32_e64 v8, 0, 1, vcc_lo
	v_cmp_eq_u32_e32 vcc_lo, 3, v7
	v_cndmask_b32_e64 v7, 0, 1, vcc_lo
	v_cmp_ne_u32_e32 vcc_lo, 0, v2
	v_or_b32_e32 v7, v7, v8
	s_delay_alu instid0(VALU_DEP_1) | instskip(NEXT) | instid1(VALU_DEP_1)
	v_dual_mov_b32 v8, 0x7e00 :: v_dual_add_nc_u32 v3, v3, v7
	v_cndmask_b32_e32 v2, 0x7c00, v8, vcc_lo
	v_cmp_gt_i32_e32 vcc_lo, 31, v6
	s_delay_alu instid0(VALU_DEP_3) | instskip(SKIP_1) | instid1(VALU_DEP_2)
	v_cndmask_b32_e32 v3, 0x7c00, v3, vcc_lo
	v_cmp_eq_u32_e32 vcc_lo, 0x40f, v6
	v_dual_cndmask_b32 v2, v3, v2 :: v_dual_lshrrev_b32 v3, 16, v1
	s_delay_alu instid0(VALU_DEP_1)
	v_and_or_b32 v2, 0x8000, v3, v2
	global_store_b16 v[4:5], v2, off
.LBB9_104:
	s_mov_b32 s2, 0
.LBB9_105:
	s_delay_alu instid0(SALU_CYCLE_1)
	s_and_not1_b32 vcc_lo, exec_lo, s2
	s_cbranch_vccnz .LBB9_121
; %bb.106:
	s_cmp_lt_i32 s1, 2
	s_mov_b32 s2, -1
	s_cbranch_scc1 .LBB9_116
; %bb.107:
	s_cmp_lt_i32 s1, 3
	s_cbranch_scc1 .LBB9_113
; %bb.108:
	s_cmp_gt_i32 s1, 3
	s_cbranch_scc0 .LBB9_110
; %bb.109:
	s_wait_xcnt 0x0
	v_trunc_f64_e32 v[2:3], v[0:1]
	s_mov_b32 s2, 0
	s_delay_alu instid0(VALU_DEP_1) | instskip(NEXT) | instid1(VALU_DEP_1)
	v_ldexp_f64 v[6:7], v[2:3], 0xffffffe0
	v_floor_f64_e32 v[6:7], v[6:7]
	s_delay_alu instid0(VALU_DEP_1) | instskip(SKIP_1) | instid1(VALU_DEP_2)
	v_fmamk_f64 v[2:3], v[6:7], 0xc1f00000, v[2:3]
	v_cvt_i32_f64_e32 v7, v[6:7]
	v_cvt_u32_f64_e32 v6, v[2:3]
	global_store_b64 v[4:5], v[6:7], off
.LBB9_110:
	s_and_not1_b32 vcc_lo, exec_lo, s2
	s_cbranch_vccnz .LBB9_112
; %bb.111:
	s_wait_xcnt 0x0
	v_cvt_i32_f64_e32 v2, v[0:1]
	global_store_b32 v[4:5], v2, off
.LBB9_112:
	s_mov_b32 s2, 0
.LBB9_113:
	s_delay_alu instid0(SALU_CYCLE_1)
	s_and_not1_b32 vcc_lo, exec_lo, s2
	s_cbranch_vccnz .LBB9_115
; %bb.114:
	s_wait_xcnt 0x0
	v_cvt_i32_f64_e32 v2, v[0:1]
	global_store_b16 v[4:5], v2, off
.LBB9_115:
	s_mov_b32 s2, 0
.LBB9_116:
	s_delay_alu instid0(SALU_CYCLE_1)
	s_and_not1_b32 vcc_lo, exec_lo, s2
	s_cbranch_vccnz .LBB9_121
; %bb.117:
	s_cmp_gt_i32 s1, 0
	s_mov_b32 s1, -1
	s_cbranch_scc0 .LBB9_119
; %bb.118:
	s_wait_xcnt 0x0
	v_cvt_i32_f64_e32 v2, v[0:1]
	s_mov_b32 s1, 0
	global_store_b8 v[4:5], v2, off
.LBB9_119:
	s_and_not1_b32 vcc_lo, exec_lo, s1
	s_cbranch_vccnz .LBB9_121
; %bb.120:
	s_wait_xcnt 0x0
	v_trunc_f64_e32 v[0:1], v[0:1]
	s_delay_alu instid0(VALU_DEP_1) | instskip(NEXT) | instid1(VALU_DEP_1)
	v_ldexp_f64 v[2:3], v[0:1], 0xffffffe0
	v_floor_f64_e32 v[2:3], v[2:3]
	s_delay_alu instid0(VALU_DEP_1) | instskip(NEXT) | instid1(VALU_DEP_1)
	v_fmamk_f64 v[0:1], v[2:3], 0xc1f00000, v[0:1]
	v_cvt_u32_f64_e32 v0, v[0:1]
	global_store_b8 v[4:5], v0, off
.LBB9_121:
	s_branch .LBB9_11
.LBB9_122:
	s_mov_b32 s1, 0
                                        ; implicit-def: $vgpr46
.LBB9_123:
	s_and_b32 s20, s0, exec_lo
	s_or_not1_b32 s0, s1, exec_lo
.LBB9_124:
	s_wait_xcnt 0x0
	s_or_b32 exec_lo, exec_lo, s22
	s_mov_b32 s2, 0
                                        ; implicit-def: $sgpr1
                                        ; implicit-def: $vgpr4_vgpr5
                                        ; implicit-def: $vgpr0_vgpr1
	s_and_saveexec_b32 s22, s0
	s_cbranch_execz .LBB9_133
; %bb.125:
	s_mov_b32 s3, -1
	s_mov_b32 s23, s20
	s_mov_b32 s24, exec_lo
	v_cmpx_gt_i32_e64 s21, v46
	s_cbranch_execz .LBB9_256
; %bb.126:
	v_dual_mov_b32 v0, s14 :: v_dual_mov_b32 v1, s15
	v_dual_mov_b32 v2, s17 :: v_dual_mov_b32 v3, v47
	v_mov_b32_e32 v4, v46
	s_get_pc_i64 s[0:1]
	s_add_nc_u64 s[0:1], s[0:1], _ZN2at6native6invokeIZZZNS0_12_GLOBAL__N_121bessel_y1_kernel_cudaERNS_18TensorIteratorBaseEENKUlvE_clEvENKUlvE_clEvEUldE_i15function_traitsIS7_EEENT1_11result_typeERKT_PrKPcPKT0_PKN3c1010ScalarTypeEi@rel64+4
	s_delay_alu instid0(SALU_CYCLE_1) | instskip(SKIP_2) | instid1(SALU_CYCLE_1)
	s_swap_pc_i64 s[30:31], s[0:1]
	v_mul_lo_u32 v2, v46, s16
	s_and_b32 s1, s11, 0xff
	s_cmp_lt_i32 s1, 11
	s_delay_alu instid0(VALU_DEP_1) | instskip(NEXT) | instid1(VALU_DEP_1)
	v_ashrrev_i32_e32 v3, 31, v2
	v_add_nc_u64_e32 v[4:5], s[12:13], v[2:3]
	s_cbranch_scc1 .LBB9_136
; %bb.127:
	s_and_b32 s2, 0xffff, s1
	s_delay_alu instid0(SALU_CYCLE_1)
	s_cmp_gt_i32 s2, 25
	s_cbranch_scc0 .LBB9_139
; %bb.128:
	s_cmp_gt_i32 s2, 28
	s_cbranch_scc0 .LBB9_140
; %bb.129:
	;; [unrolled: 3-line block ×4, first 2 shown]
	s_mov_b32 s4, 0
	s_mov_b32 s0, -1
	s_cmp_eq_u32 s2, 46
	s_mov_b32 s3, 0
	s_cbranch_scc0 .LBB9_147
; %bb.132:
	v_cvt_f32_f64_e32 v2, v[0:1]
	s_mov_b32 s3, -1
	s_mov_b32 s0, 0
	s_delay_alu instid0(VALU_DEP_1) | instskip(SKIP_1) | instid1(VALU_DEP_2)
	v_bfe_u32 v3, v2, 16, 1
	v_cmp_o_f32_e32 vcc_lo, v2, v2
	v_add3_u32 v3, v2, v3, 0x7fff
	s_delay_alu instid0(VALU_DEP_1) | instskip(NEXT) | instid1(VALU_DEP_1)
	v_lshrrev_b32_e32 v3, 16, v3
	v_cndmask_b32_e32 v2, 0x7fc0, v3, vcc_lo
	global_store_b32 v[4:5], v2, off
	s_branch .LBB9_147
.LBB9_133:
	s_or_b32 exec_lo, exec_lo, s22
	s_mov_b32 s0, 0
	s_and_saveexec_b32 s3, s20
	s_cbranch_execnz .LBB9_472
.LBB9_134:
	s_or_b32 exec_lo, exec_lo, s3
	s_and_saveexec_b32 s3, s23
	s_delay_alu instid0(SALU_CYCLE_1)
	s_xor_b32 s3, exec_lo, s3
	s_cbranch_execz .LBB9_473
.LBB9_135:
	v_cmp_neq_f64_e32 vcc_lo, 0, v[0:1]
	v_cndmask_b32_e64 v2, 0, 1, vcc_lo
	global_store_b8 v[4:5], v2, off
	s_wait_xcnt 0x0
	s_or_b32 exec_lo, exec_lo, s3
	s_and_saveexec_b32 s3, s2
	s_delay_alu instid0(SALU_CYCLE_1)
	s_xor_b32 s2, exec_lo, s3
	s_cbranch_execz .LBB9_511
	s_branch .LBB9_474
.LBB9_136:
	s_mov_b32 s3, 0
	s_mov_b32 s0, s20
	s_cbranch_execnz .LBB9_216
.LBB9_137:
	s_and_not1_b32 vcc_lo, exec_lo, s3
	s_cbranch_vccnz .LBB9_254
.LBB9_138:
	v_add_nc_u32_e32 v46, 0x80, v46
	s_mov_b32 s1, -1
	s_branch .LBB9_255
.LBB9_139:
	s_mov_b32 s4, -1
	s_mov_b32 s3, 0
	s_mov_b32 s0, s20
	s_branch .LBB9_174
.LBB9_140:
	s_mov_b32 s4, -1
	s_mov_b32 s3, 0
	s_mov_b32 s0, s20
	s_branch .LBB9_157
.LBB9_141:
	s_and_not1_saveexec_b32 s5, s5
	s_cbranch_execz .LBB9_37
.LBB9_142:
	v_add_f32_e64 v3, 0x46000000, |v2|
	s_and_not1_b32 s4, s4, exec_lo
	s_delay_alu instid0(VALU_DEP_1) | instskip(NEXT) | instid1(VALU_DEP_1)
	v_and_b32_e32 v3, 0xff, v3
	v_cmp_ne_u32_e32 vcc_lo, 0, v3
	s_and_b32 s6, vcc_lo, exec_lo
	s_delay_alu instid0(SALU_CYCLE_1)
	s_or_b32 s4, s4, s6
	s_or_b32 exec_lo, exec_lo, s5
	v_mov_b32_e32 v6, 0
	s_and_saveexec_b32 s5, s4
	s_cbranch_execnz .LBB9_38
	s_branch .LBB9_39
.LBB9_143:
	s_mov_b32 s4, -1
	s_mov_b32 s3, 0
	s_mov_b32 s0, s20
	s_branch .LBB9_153
.LBB9_144:
	s_and_not1_saveexec_b32 s5, s5
	s_cbranch_execz .LBB9_49
.LBB9_145:
	v_add_f32_e64 v3, 0x42800000, |v2|
	s_and_not1_b32 s4, s4, exec_lo
	s_delay_alu instid0(VALU_DEP_1) | instskip(NEXT) | instid1(VALU_DEP_1)
	v_and_b32_e32 v3, 0xff, v3
	v_cmp_ne_u32_e32 vcc_lo, 0, v3
	s_and_b32 s6, vcc_lo, exec_lo
	s_delay_alu instid0(SALU_CYCLE_1)
	s_or_b32 s4, s4, s6
	s_or_b32 exec_lo, exec_lo, s5
	v_mov_b32_e32 v6, 0
	s_and_saveexec_b32 s5, s4
	s_cbranch_execnz .LBB9_50
	s_branch .LBB9_51
.LBB9_146:
	s_mov_b32 s4, -1
	s_mov_b32 s3, 0
	s_mov_b32 s0, s20
.LBB9_147:
	s_and_b32 vcc_lo, exec_lo, s4
	s_cbranch_vccz .LBB9_152
; %bb.148:
	s_cmp_eq_u32 s2, 44
	s_mov_b32 s0, -1
	s_cbranch_scc0 .LBB9_152
; %bb.149:
	s_wait_xcnt 0x0
	v_cvt_f32_f64_e32 v2, v[0:1]
	v_mov_b32_e32 v3, 0xff
	s_mov_b32 s3, exec_lo
	s_delay_alu instid0(VALU_DEP_2) | instskip(NEXT) | instid1(VALU_DEP_1)
	v_bfe_u32 v6, v2, 23, 8
	v_cmpx_ne_u32_e32 0xff, v6
	s_cbranch_execz .LBB9_151
; %bb.150:
	v_and_b32_e32 v3, 0x400000, v2
	v_and_or_b32 v6, 0x3fffff, v2, v6
	v_lshrrev_b32_e32 v2, 23, v2
	s_delay_alu instid0(VALU_DEP_3) | instskip(NEXT) | instid1(VALU_DEP_3)
	v_cmp_ne_u32_e32 vcc_lo, 0, v3
	v_cmp_ne_u32_e64 s0, 0, v6
	s_and_b32 s0, vcc_lo, s0
	s_delay_alu instid0(SALU_CYCLE_1) | instskip(NEXT) | instid1(VALU_DEP_1)
	v_cndmask_b32_e64 v3, 0, 1, s0
	v_add_nc_u32_e32 v3, v2, v3
.LBB9_151:
	s_or_b32 exec_lo, exec_lo, s3
	s_mov_b32 s3, -1
	s_mov_b32 s0, 0
	global_store_b8 v[4:5], v3, off
.LBB9_152:
	s_mov_b32 s4, 0
.LBB9_153:
	s_delay_alu instid0(SALU_CYCLE_1)
	s_and_b32 vcc_lo, exec_lo, s4
	s_cbranch_vccz .LBB9_156
; %bb.154:
	s_cmp_eq_u32 s2, 29
	s_mov_b32 s0, -1
	s_cbranch_scc0 .LBB9_156
; %bb.155:
	s_wait_xcnt 0x0
	v_trunc_f64_e32 v[2:3], v[0:1]
	s_mov_b32 s3, -1
	s_mov_b32 s0, 0
	s_mov_b32 s4, 0
	s_delay_alu instid0(VALU_DEP_1) | instskip(NEXT) | instid1(VALU_DEP_1)
	v_ldexp_f64 v[6:7], v[2:3], 0xffffffe0
	v_floor_f64_e32 v[6:7], v[6:7]
	s_delay_alu instid0(VALU_DEP_1) | instskip(SKIP_1) | instid1(VALU_DEP_2)
	v_fmamk_f64 v[2:3], v[6:7], 0xc1f00000, v[2:3]
	v_cvt_u32_f64_e32 v7, v[6:7]
	v_cvt_u32_f64_e32 v6, v[2:3]
	global_store_b64 v[4:5], v[6:7], off
	s_branch .LBB9_157
.LBB9_156:
	s_mov_b32 s4, 0
.LBB9_157:
	s_delay_alu instid0(SALU_CYCLE_1)
	s_and_b32 vcc_lo, exec_lo, s4
	s_cbranch_vccz .LBB9_173
; %bb.158:
	s_cmp_lt_i32 s2, 27
	s_mov_b32 s3, -1
	s_cbranch_scc1 .LBB9_164
; %bb.159:
	s_wait_xcnt 0x0
	v_cvt_u32_f64_e32 v2, v[0:1]
	s_cmp_gt_i32 s2, 27
	s_cbranch_scc0 .LBB9_161
; %bb.160:
	s_mov_b32 s3, 0
	global_store_b32 v[4:5], v2, off
.LBB9_161:
	s_and_not1_b32 vcc_lo, exec_lo, s3
	s_cbranch_vccnz .LBB9_163
; %bb.162:
	global_store_b16 v[4:5], v2, off
.LBB9_163:
	s_mov_b32 s3, 0
.LBB9_164:
	s_delay_alu instid0(SALU_CYCLE_1)
	s_and_not1_b32 vcc_lo, exec_lo, s3
	s_cbranch_vccnz .LBB9_172
; %bb.165:
	s_wait_xcnt 0x0
	v_cvt_f32_f64_e32 v2, v[0:1]
	v_mov_b32_e32 v6, 0x80
	s_mov_b32 s3, exec_lo
	s_delay_alu instid0(VALU_DEP_2) | instskip(NEXT) | instid1(VALU_DEP_1)
	v_and_b32_e32 v3, 0x7fffffff, v2
	v_cmpx_gt_u32_e32 0x43800000, v3
	s_cbranch_execz .LBB9_171
; %bb.166:
	v_cmp_lt_u32_e32 vcc_lo, 0x3bffffff, v3
	s_mov_b32 s4, 0
                                        ; implicit-def: $vgpr3
	s_and_saveexec_b32 s5, vcc_lo
	s_delay_alu instid0(SALU_CYCLE_1)
	s_xor_b32 s5, exec_lo, s5
	s_cbranch_execz .LBB9_268
; %bb.167:
	v_bfe_u32 v3, v2, 20, 1
	s_mov_b32 s4, exec_lo
	s_delay_alu instid0(VALU_DEP_1) | instskip(NEXT) | instid1(VALU_DEP_1)
	v_add3_u32 v3, v2, v3, 0x487ffff
	v_lshrrev_b32_e32 v3, 20, v3
	s_and_not1_saveexec_b32 s5, s5
	s_cbranch_execnz .LBB9_269
.LBB9_168:
	s_or_b32 exec_lo, exec_lo, s5
	v_mov_b32_e32 v6, 0
	s_and_saveexec_b32 s5, s4
.LBB9_169:
	v_lshrrev_b32_e32 v2, 24, v2
	s_delay_alu instid0(VALU_DEP_1)
	v_and_or_b32 v6, 0x80, v2, v3
.LBB9_170:
	s_or_b32 exec_lo, exec_lo, s5
.LBB9_171:
	s_delay_alu instid0(SALU_CYCLE_1)
	s_or_b32 exec_lo, exec_lo, s3
	global_store_b8 v[4:5], v6, off
.LBB9_172:
	s_mov_b32 s3, -1
.LBB9_173:
	s_mov_b32 s4, 0
.LBB9_174:
	s_delay_alu instid0(SALU_CYCLE_1)
	s_and_b32 vcc_lo, exec_lo, s4
	s_cbranch_vccz .LBB9_215
; %bb.175:
	s_cmp_gt_i32 s2, 22
	s_mov_b32 s4, -1
	s_cbranch_scc0 .LBB9_207
; %bb.176:
	s_cmp_lt_i32 s2, 24
	s_mov_b32 s3, -1
	s_cbranch_scc1 .LBB9_196
; %bb.177:
	s_cmp_gt_i32 s2, 24
	s_cbranch_scc0 .LBB9_185
; %bb.178:
	s_wait_xcnt 0x0
	v_cvt_f32_f64_e32 v2, v[0:1]
	v_mov_b32_e32 v6, 0x80
	s_mov_b32 s3, exec_lo
	s_delay_alu instid0(VALU_DEP_2) | instskip(NEXT) | instid1(VALU_DEP_1)
	v_and_b32_e32 v3, 0x7fffffff, v2
	v_cmpx_gt_u32_e32 0x47800000, v3
	s_cbranch_execz .LBB9_184
; %bb.179:
	v_cmp_lt_u32_e32 vcc_lo, 0x37ffffff, v3
	s_mov_b32 s4, 0
                                        ; implicit-def: $vgpr3
	s_and_saveexec_b32 s5, vcc_lo
	s_delay_alu instid0(SALU_CYCLE_1)
	s_xor_b32 s5, exec_lo, s5
	s_cbranch_execz .LBB9_271
; %bb.180:
	v_bfe_u32 v3, v2, 21, 1
	s_mov_b32 s4, exec_lo
	s_delay_alu instid0(VALU_DEP_1) | instskip(NEXT) | instid1(VALU_DEP_1)
	v_add3_u32 v3, v2, v3, 0x88fffff
	v_lshrrev_b32_e32 v3, 21, v3
	s_and_not1_saveexec_b32 s5, s5
	s_cbranch_execnz .LBB9_272
.LBB9_181:
	s_or_b32 exec_lo, exec_lo, s5
	v_mov_b32_e32 v6, 0
	s_and_saveexec_b32 s5, s4
.LBB9_182:
	v_lshrrev_b32_e32 v2, 24, v2
	s_delay_alu instid0(VALU_DEP_1)
	v_and_or_b32 v6, 0x80, v2, v3
.LBB9_183:
	s_or_b32 exec_lo, exec_lo, s5
.LBB9_184:
	s_delay_alu instid0(SALU_CYCLE_1)
	s_or_b32 exec_lo, exec_lo, s3
	s_mov_b32 s3, 0
	global_store_b8 v[4:5], v6, off
.LBB9_185:
	s_and_b32 vcc_lo, exec_lo, s3
	s_cbranch_vccz .LBB9_195
; %bb.186:
	s_wait_xcnt 0x0
	v_cvt_f32_f64_e32 v2, v[0:1]
	s_mov_b32 s3, exec_lo
                                        ; implicit-def: $vgpr3
	s_delay_alu instid0(VALU_DEP_1) | instskip(NEXT) | instid1(VALU_DEP_1)
	v_and_b32_e32 v6, 0x7fffffff, v2
	v_cmpx_gt_u32_e32 0x43f00000, v6
	s_xor_b32 s3, exec_lo, s3
	s_cbranch_execz .LBB9_192
; %bb.187:
	s_mov_b32 s4, exec_lo
                                        ; implicit-def: $vgpr3
	v_cmpx_lt_u32_e32 0x3c7fffff, v6
	s_xor_b32 s4, exec_lo, s4
; %bb.188:
	v_bfe_u32 v3, v2, 20, 1
	s_delay_alu instid0(VALU_DEP_1) | instskip(NEXT) | instid1(VALU_DEP_1)
	v_add3_u32 v3, v2, v3, 0x407ffff
	v_and_b32_e32 v6, 0xff00000, v3
	v_lshrrev_b32_e32 v3, 20, v3
	s_delay_alu instid0(VALU_DEP_2) | instskip(NEXT) | instid1(VALU_DEP_2)
	v_cmp_ne_u32_e32 vcc_lo, 0x7f00000, v6
	v_cndmask_b32_e32 v3, 0x7e, v3, vcc_lo
; %bb.189:
	s_and_not1_saveexec_b32 s4, s4
; %bb.190:
	v_add_f32_e64 v3, 0x46800000, |v2|
; %bb.191:
	s_or_b32 exec_lo, exec_lo, s4
                                        ; implicit-def: $vgpr6
.LBB9_192:
	s_and_not1_saveexec_b32 s3, s3
; %bb.193:
	v_mov_b32_e32 v3, 0x7f
	v_cmp_lt_u32_e32 vcc_lo, 0x7f800000, v6
	s_delay_alu instid0(VALU_DEP_2)
	v_cndmask_b32_e32 v3, 0x7e, v3, vcc_lo
; %bb.194:
	s_or_b32 exec_lo, exec_lo, s3
	v_lshrrev_b32_e32 v2, 24, v2
	s_delay_alu instid0(VALU_DEP_1)
	v_and_or_b32 v2, 0x80, v2, v3
	global_store_b8 v[4:5], v2, off
.LBB9_195:
	s_mov_b32 s3, 0
.LBB9_196:
	s_delay_alu instid0(SALU_CYCLE_1)
	s_and_not1_b32 vcc_lo, exec_lo, s3
	s_cbranch_vccnz .LBB9_206
; %bb.197:
	s_wait_xcnt 0x0
	v_cvt_f32_f64_e32 v2, v[0:1]
	s_mov_b32 s3, exec_lo
                                        ; implicit-def: $vgpr3
	s_delay_alu instid0(VALU_DEP_1) | instskip(NEXT) | instid1(VALU_DEP_1)
	v_and_b32_e32 v6, 0x7fffffff, v2
	v_cmpx_gt_u32_e32 0x47800000, v6
	s_xor_b32 s3, exec_lo, s3
	s_cbranch_execz .LBB9_203
; %bb.198:
	s_mov_b32 s4, exec_lo
                                        ; implicit-def: $vgpr3
	v_cmpx_lt_u32_e32 0x387fffff, v6
	s_xor_b32 s4, exec_lo, s4
; %bb.199:
	v_bfe_u32 v3, v2, 21, 1
	s_delay_alu instid0(VALU_DEP_1) | instskip(NEXT) | instid1(VALU_DEP_1)
	v_add3_u32 v3, v2, v3, 0x80fffff
	v_lshrrev_b32_e32 v3, 21, v3
; %bb.200:
	s_and_not1_saveexec_b32 s4, s4
; %bb.201:
	v_add_f32_e64 v3, 0x43000000, |v2|
; %bb.202:
	s_or_b32 exec_lo, exec_lo, s4
                                        ; implicit-def: $vgpr6
.LBB9_203:
	s_and_not1_saveexec_b32 s3, s3
; %bb.204:
	v_mov_b32_e32 v3, 0x7f
	v_cmp_lt_u32_e32 vcc_lo, 0x7f800000, v6
	s_delay_alu instid0(VALU_DEP_2)
	v_cndmask_b32_e32 v3, 0x7c, v3, vcc_lo
; %bb.205:
	s_or_b32 exec_lo, exec_lo, s3
	v_lshrrev_b32_e32 v2, 24, v2
	s_delay_alu instid0(VALU_DEP_1)
	v_and_or_b32 v2, 0x80, v2, v3
	global_store_b8 v[4:5], v2, off
.LBB9_206:
	s_mov_b32 s4, 0
	s_mov_b32 s3, -1
.LBB9_207:
	s_and_not1_b32 vcc_lo, exec_lo, s4
	s_cbranch_vccnz .LBB9_215
; %bb.208:
	s_cmp_gt_i32 s2, 14
	s_mov_b32 s4, -1
	s_cbranch_scc0 .LBB9_212
; %bb.209:
	s_cmp_eq_u32 s2, 15
	s_mov_b32 s0, -1
	s_cbranch_scc0 .LBB9_211
; %bb.210:
	s_wait_xcnt 0x0
	v_cvt_f32_f64_e32 v2, v[0:1]
	s_mov_b32 s3, -1
	s_mov_b32 s0, 0
	s_delay_alu instid0(VALU_DEP_1) | instskip(SKIP_1) | instid1(VALU_DEP_2)
	v_bfe_u32 v3, v2, 16, 1
	v_cmp_o_f32_e32 vcc_lo, v2, v2
	v_add3_u32 v3, v2, v3, 0x7fff
	s_delay_alu instid0(VALU_DEP_1) | instskip(NEXT) | instid1(VALU_DEP_1)
	v_lshrrev_b32_e32 v3, 16, v3
	v_cndmask_b32_e32 v2, 0x7fc0, v3, vcc_lo
	global_store_b16 v[4:5], v2, off
.LBB9_211:
	s_mov_b32 s4, 0
.LBB9_212:
	s_delay_alu instid0(SALU_CYCLE_1)
	s_and_b32 vcc_lo, exec_lo, s4
	s_cbranch_vccz .LBB9_215
; %bb.213:
	s_cmp_eq_u32 s2, 11
	s_mov_b32 s0, -1
	s_cbranch_scc0 .LBB9_215
; %bb.214:
	v_cmp_neq_f64_e32 vcc_lo, 0, v[0:1]
	s_mov_b32 s3, -1
	s_mov_b32 s0, 0
	s_wait_xcnt 0x0
	v_cndmask_b32_e64 v2, 0, 1, vcc_lo
	global_store_b8 v[4:5], v2, off
.LBB9_215:
	s_branch .LBB9_137
.LBB9_216:
	s_and_b32 s1, 0xffff, s1
	s_mov_b32 s2, -1
	s_cmp_lt_i32 s1, 5
	s_cbranch_scc1 .LBB9_237
; %bb.217:
	s_cmp_lt_i32 s1, 8
	s_cbranch_scc1 .LBB9_227
; %bb.218:
	s_cmp_lt_i32 s1, 9
	s_cbranch_scc1 .LBB9_224
; %bb.219:
	s_cmp_gt_i32 s1, 9
	s_cbranch_scc0 .LBB9_221
; %bb.220:
	s_wait_xcnt 0x0
	v_mov_b32_e32 v2, 0
	s_mov_b32 s2, 0
	s_delay_alu instid0(VALU_DEP_1)
	v_mov_b32_e32 v3, v2
	global_store_b128 v[4:5], v[0:3], off
.LBB9_221:
	s_and_not1_b32 vcc_lo, exec_lo, s2
	s_cbranch_vccnz .LBB9_223
; %bb.222:
	s_wait_xcnt 0x0
	v_cvt_f32_f64_e32 v2, v[0:1]
	v_mov_b32_e32 v3, 0
	global_store_b64 v[4:5], v[2:3], off
.LBB9_223:
	s_mov_b32 s2, 0
.LBB9_224:
	s_delay_alu instid0(SALU_CYCLE_1)
	s_and_not1_b32 vcc_lo, exec_lo, s2
	s_cbranch_vccnz .LBB9_226
; %bb.225:
	s_wait_xcnt 0x0
	v_and_or_b32 v2, 0x1ff, v1, v0
	v_lshrrev_b32_e32 v3, 8, v1
	v_bfe_u32 v6, v1, 20, 11
	s_delay_alu instid0(VALU_DEP_3) | instskip(NEXT) | instid1(VALU_DEP_2)
	v_cmp_ne_u32_e32 vcc_lo, 0, v2
	v_sub_nc_u32_e32 v7, 0x3f1, v6
	v_cndmask_b32_e64 v2, 0, 1, vcc_lo
	s_delay_alu instid0(VALU_DEP_1) | instskip(NEXT) | instid1(VALU_DEP_3)
	v_and_or_b32 v2, 0xffe, v3, v2
	v_med3_i32 v3, v7, 0, 13
	s_delay_alu instid0(VALU_DEP_2) | instskip(NEXT) | instid1(VALU_DEP_1)
	v_or_b32_e32 v7, 0x1000, v2
	v_lshrrev_b32_e32 v8, v3, v7
	s_delay_alu instid0(VALU_DEP_1) | instskip(NEXT) | instid1(VALU_DEP_1)
	v_lshlrev_b32_e32 v3, v3, v8
	v_cmp_ne_u32_e32 vcc_lo, v3, v7
	v_cndmask_b32_e64 v3, 0, 1, vcc_lo
	s_delay_alu instid0(VALU_DEP_1) | instskip(SKIP_1) | instid1(VALU_DEP_1)
	v_or_b32_e32 v3, v8, v3
	v_add_nc_u32_e32 v6, 0xfffffc10, v6
	v_lshl_or_b32 v7, v6, 12, v2
	v_cmp_gt_i32_e32 vcc_lo, 1, v6
	s_delay_alu instid0(VALU_DEP_2) | instskip(NEXT) | instid1(VALU_DEP_1)
	v_cndmask_b32_e32 v3, v7, v3, vcc_lo
	v_dual_lshrrev_b32 v3, 2, v3 :: v_dual_bitop2_b32 v7, 7, v3 bitop3:0x40
	s_delay_alu instid0(VALU_DEP_1) | instskip(SKIP_4) | instid1(VALU_DEP_2)
	v_cmp_lt_i32_e32 vcc_lo, 5, v7
	v_cndmask_b32_e64 v8, 0, 1, vcc_lo
	v_cmp_eq_u32_e32 vcc_lo, 3, v7
	v_cndmask_b32_e64 v7, 0, 1, vcc_lo
	v_cmp_ne_u32_e32 vcc_lo, 0, v2
	v_or_b32_e32 v7, v7, v8
	s_delay_alu instid0(VALU_DEP_1) | instskip(NEXT) | instid1(VALU_DEP_1)
	v_dual_mov_b32 v8, 0x7e00 :: v_dual_add_nc_u32 v3, v3, v7
	v_cndmask_b32_e32 v2, 0x7c00, v8, vcc_lo
	v_cmp_gt_i32_e32 vcc_lo, 31, v6
	v_lshrrev_b32_e32 v7, 16, v1
	s_delay_alu instid0(VALU_DEP_4) | instskip(SKIP_1) | instid1(VALU_DEP_2)
	v_cndmask_b32_e32 v3, 0x7c00, v3, vcc_lo
	v_cmp_eq_u32_e32 vcc_lo, 0x40f, v6
	v_cndmask_b32_e32 v2, v3, v2, vcc_lo
	s_delay_alu instid0(VALU_DEP_4) | instskip(NEXT) | instid1(VALU_DEP_1)
	v_and_b32_e32 v3, 0x8000, v7
	v_bitop3_b32 v2, v3, 0xffff, v2 bitop3:0xc8
	global_store_b32 v[4:5], v2, off
.LBB9_226:
	s_mov_b32 s2, 0
.LBB9_227:
	s_delay_alu instid0(SALU_CYCLE_1)
	s_and_not1_b32 vcc_lo, exec_lo, s2
	s_cbranch_vccnz .LBB9_236
; %bb.228:
	s_cmp_lt_i32 s1, 6
	s_mov_b32 s2, -1
	s_cbranch_scc1 .LBB9_234
; %bb.229:
	s_cmp_gt_i32 s1, 6
	s_cbranch_scc0 .LBB9_231
; %bb.230:
	s_mov_b32 s2, 0
	global_store_b64 v[4:5], v[0:1], off
.LBB9_231:
	s_and_not1_b32 vcc_lo, exec_lo, s2
	s_cbranch_vccnz .LBB9_233
; %bb.232:
	s_wait_xcnt 0x0
	v_cvt_f32_f64_e32 v2, v[0:1]
	global_store_b32 v[4:5], v2, off
.LBB9_233:
	s_mov_b32 s2, 0
.LBB9_234:
	s_delay_alu instid0(SALU_CYCLE_1)
	s_and_not1_b32 vcc_lo, exec_lo, s2
	s_cbranch_vccnz .LBB9_236
; %bb.235:
	s_wait_xcnt 0x0
	v_and_or_b32 v2, 0x1ff, v1, v0
	v_lshrrev_b32_e32 v3, 8, v1
	v_bfe_u32 v6, v1, 20, 11
	s_delay_alu instid0(VALU_DEP_3) | instskip(NEXT) | instid1(VALU_DEP_2)
	v_cmp_ne_u32_e32 vcc_lo, 0, v2
	v_sub_nc_u32_e32 v7, 0x3f1, v6
	v_cndmask_b32_e64 v2, 0, 1, vcc_lo
	s_delay_alu instid0(VALU_DEP_1) | instskip(NEXT) | instid1(VALU_DEP_3)
	v_and_or_b32 v2, 0xffe, v3, v2
	v_med3_i32 v3, v7, 0, 13
	s_delay_alu instid0(VALU_DEP_2) | instskip(NEXT) | instid1(VALU_DEP_1)
	v_or_b32_e32 v7, 0x1000, v2
	v_lshrrev_b32_e32 v8, v3, v7
	s_delay_alu instid0(VALU_DEP_1) | instskip(NEXT) | instid1(VALU_DEP_1)
	v_lshlrev_b32_e32 v3, v3, v8
	v_cmp_ne_u32_e32 vcc_lo, v3, v7
	v_cndmask_b32_e64 v3, 0, 1, vcc_lo
	s_delay_alu instid0(VALU_DEP_1) | instskip(SKIP_1) | instid1(VALU_DEP_1)
	v_or_b32_e32 v3, v8, v3
	v_add_nc_u32_e32 v6, 0xfffffc10, v6
	v_lshl_or_b32 v7, v6, 12, v2
	v_cmp_gt_i32_e32 vcc_lo, 1, v6
	s_delay_alu instid0(VALU_DEP_2) | instskip(NEXT) | instid1(VALU_DEP_1)
	v_cndmask_b32_e32 v3, v7, v3, vcc_lo
	v_dual_lshrrev_b32 v3, 2, v3 :: v_dual_bitop2_b32 v7, 7, v3 bitop3:0x40
	s_delay_alu instid0(VALU_DEP_1) | instskip(SKIP_4) | instid1(VALU_DEP_2)
	v_cmp_lt_i32_e32 vcc_lo, 5, v7
	v_cndmask_b32_e64 v8, 0, 1, vcc_lo
	v_cmp_eq_u32_e32 vcc_lo, 3, v7
	v_cndmask_b32_e64 v7, 0, 1, vcc_lo
	v_cmp_ne_u32_e32 vcc_lo, 0, v2
	v_or_b32_e32 v7, v7, v8
	s_delay_alu instid0(VALU_DEP_1) | instskip(NEXT) | instid1(VALU_DEP_1)
	v_dual_mov_b32 v8, 0x7e00 :: v_dual_add_nc_u32 v3, v3, v7
	v_cndmask_b32_e32 v2, 0x7c00, v8, vcc_lo
	v_cmp_gt_i32_e32 vcc_lo, 31, v6
	s_delay_alu instid0(VALU_DEP_3) | instskip(SKIP_1) | instid1(VALU_DEP_2)
	v_cndmask_b32_e32 v3, 0x7c00, v3, vcc_lo
	v_cmp_eq_u32_e32 vcc_lo, 0x40f, v6
	v_dual_cndmask_b32 v2, v3, v2 :: v_dual_lshrrev_b32 v3, 16, v1
	s_delay_alu instid0(VALU_DEP_1)
	v_and_or_b32 v2, 0x8000, v3, v2
	global_store_b16 v[4:5], v2, off
.LBB9_236:
	s_mov_b32 s2, 0
.LBB9_237:
	s_delay_alu instid0(SALU_CYCLE_1)
	s_and_not1_b32 vcc_lo, exec_lo, s2
	s_cbranch_vccnz .LBB9_253
; %bb.238:
	s_cmp_lt_i32 s1, 2
	s_mov_b32 s2, -1
	s_cbranch_scc1 .LBB9_248
; %bb.239:
	s_cmp_lt_i32 s1, 3
	s_cbranch_scc1 .LBB9_245
; %bb.240:
	s_cmp_gt_i32 s1, 3
	s_cbranch_scc0 .LBB9_242
; %bb.241:
	s_wait_xcnt 0x0
	v_trunc_f64_e32 v[2:3], v[0:1]
	s_mov_b32 s2, 0
	s_delay_alu instid0(VALU_DEP_1) | instskip(NEXT) | instid1(VALU_DEP_1)
	v_ldexp_f64 v[6:7], v[2:3], 0xffffffe0
	v_floor_f64_e32 v[6:7], v[6:7]
	s_delay_alu instid0(VALU_DEP_1) | instskip(SKIP_1) | instid1(VALU_DEP_2)
	v_fmamk_f64 v[2:3], v[6:7], 0xc1f00000, v[2:3]
	v_cvt_i32_f64_e32 v7, v[6:7]
	v_cvt_u32_f64_e32 v6, v[2:3]
	global_store_b64 v[4:5], v[6:7], off
.LBB9_242:
	s_and_not1_b32 vcc_lo, exec_lo, s2
	s_cbranch_vccnz .LBB9_244
; %bb.243:
	s_wait_xcnt 0x0
	v_cvt_i32_f64_e32 v2, v[0:1]
	global_store_b32 v[4:5], v2, off
.LBB9_244:
	s_mov_b32 s2, 0
.LBB9_245:
	s_delay_alu instid0(SALU_CYCLE_1)
	s_and_not1_b32 vcc_lo, exec_lo, s2
	s_cbranch_vccnz .LBB9_247
; %bb.246:
	s_wait_xcnt 0x0
	v_cvt_i32_f64_e32 v2, v[0:1]
	global_store_b16 v[4:5], v2, off
.LBB9_247:
	s_mov_b32 s2, 0
.LBB9_248:
	s_delay_alu instid0(SALU_CYCLE_1)
	s_and_not1_b32 vcc_lo, exec_lo, s2
	s_cbranch_vccnz .LBB9_253
; %bb.249:
	s_cmp_gt_i32 s1, 0
	s_mov_b32 s1, -1
	s_cbranch_scc0 .LBB9_251
; %bb.250:
	s_wait_xcnt 0x0
	v_cvt_i32_f64_e32 v2, v[0:1]
	s_mov_b32 s1, 0
	global_store_b8 v[4:5], v2, off
.LBB9_251:
	s_and_not1_b32 vcc_lo, exec_lo, s1
	s_cbranch_vccnz .LBB9_253
; %bb.252:
	s_wait_xcnt 0x0
	v_trunc_f64_e32 v[0:1], v[0:1]
	s_delay_alu instid0(VALU_DEP_1) | instskip(NEXT) | instid1(VALU_DEP_1)
	v_ldexp_f64 v[2:3], v[0:1], 0xffffffe0
	v_floor_f64_e32 v[2:3], v[2:3]
	s_delay_alu instid0(VALU_DEP_1) | instskip(NEXT) | instid1(VALU_DEP_1)
	v_fmamk_f64 v[0:1], v[2:3], 0xc1f00000, v[0:1]
	v_cvt_u32_f64_e32 v0, v[0:1]
	global_store_b8 v[4:5], v0, off
.LBB9_253:
	s_branch .LBB9_138
.LBB9_254:
	s_mov_b32 s1, 0
                                        ; implicit-def: $vgpr46
.LBB9_255:
	s_and_not1_b32 s2, s20, exec_lo
	s_and_b32 s0, s0, exec_lo
	s_or_not1_b32 s3, s1, exec_lo
	s_or_b32 s23, s2, s0
.LBB9_256:
	s_wait_xcnt 0x0
	s_or_b32 exec_lo, exec_lo, s24
	s_mov_b32 s0, 0
	s_mov_b32 s2, 0
                                        ; implicit-def: $sgpr1
                                        ; implicit-def: $vgpr4_vgpr5
                                        ; implicit-def: $vgpr0_vgpr1
	s_and_saveexec_b32 s24, s3
	s_cbranch_execz .LBB9_471
; %bb.257:
	s_mov_b32 s3, -1
	s_mov_b32 s26, s23
	s_mov_b32 s25, exec_lo
	v_cmpx_gt_i32_e64 s21, v46
	s_cbranch_execz .LBB9_386
; %bb.258:
	v_dual_mov_b32 v0, s14 :: v_dual_mov_b32 v1, s15
	v_dual_mov_b32 v2, s17 :: v_dual_mov_b32 v3, v47
	v_mov_b32_e32 v4, v46
	s_get_pc_i64 s[0:1]
	s_add_nc_u64 s[0:1], s[0:1], _ZN2at6native6invokeIZZZNS0_12_GLOBAL__N_121bessel_y1_kernel_cudaERNS_18TensorIteratorBaseEENKUlvE_clEvENKUlvE_clEvEUldE_i15function_traitsIS7_EEENT1_11result_typeERKT_PrKPcPKT0_PKN3c1010ScalarTypeEi@rel64+4
	s_delay_alu instid0(SALU_CYCLE_1) | instskip(SKIP_2) | instid1(SALU_CYCLE_1)
	s_swap_pc_i64 s[30:31], s[0:1]
	v_mul_lo_u32 v2, v46, s16
	s_and_b32 s1, s11, 0xff
	s_cmp_lt_i32 s1, 11
	s_delay_alu instid0(VALU_DEP_1) | instskip(NEXT) | instid1(VALU_DEP_1)
	v_ashrrev_i32_e32 v3, 31, v2
	v_add_nc_u64_e32 v[4:5], s[12:13], v[2:3]
	s_cbranch_scc1 .LBB9_265
; %bb.259:
	s_and_b32 s2, 0xffff, s1
	s_delay_alu instid0(SALU_CYCLE_1)
	s_cmp_gt_i32 s2, 25
	s_cbranch_scc0 .LBB9_266
; %bb.260:
	s_cmp_gt_i32 s2, 28
	s_cbranch_scc0 .LBB9_267
; %bb.261:
	;; [unrolled: 3-line block ×4, first 2 shown]
	s_mov_b32 s4, 0
	s_mov_b32 s0, -1
	s_cmp_eq_u32 s2, 46
	s_mov_b32 s3, 0
	s_cbranch_scc0 .LBB9_274
; %bb.264:
	v_cvt_f32_f64_e32 v2, v[0:1]
	s_mov_b32 s3, -1
	s_mov_b32 s0, 0
	s_delay_alu instid0(VALU_DEP_1) | instskip(SKIP_1) | instid1(VALU_DEP_2)
	v_bfe_u32 v3, v2, 16, 1
	v_cmp_o_f32_e32 vcc_lo, v2, v2
	v_add3_u32 v3, v2, v3, 0x7fff
	s_delay_alu instid0(VALU_DEP_1) | instskip(NEXT) | instid1(VALU_DEP_1)
	v_lshrrev_b32_e32 v3, 16, v3
	v_cndmask_b32_e32 v2, 0x7fc0, v3, vcc_lo
	global_store_b32 v[4:5], v2, off
	s_branch .LBB9_274
.LBB9_265:
	s_mov_b32 s2, -1
	s_mov_b32 s3, 0
	s_mov_b32 s0, s23
	s_branch .LBB9_343
.LBB9_266:
	s_mov_b32 s4, -1
	s_mov_b32 s3, 0
	s_mov_b32 s0, s23
	s_branch .LBB9_301
.LBB9_267:
	s_mov_b32 s4, -1
	s_mov_b32 s3, 0
	s_mov_b32 s0, s23
	s_branch .LBB9_284
.LBB9_268:
	s_and_not1_saveexec_b32 s5, s5
	s_cbranch_execz .LBB9_168
.LBB9_269:
	v_add_f32_e64 v3, 0x46000000, |v2|
	s_and_not1_b32 s4, s4, exec_lo
	s_delay_alu instid0(VALU_DEP_1) | instskip(NEXT) | instid1(VALU_DEP_1)
	v_and_b32_e32 v3, 0xff, v3
	v_cmp_ne_u32_e32 vcc_lo, 0, v3
	s_and_b32 s6, vcc_lo, exec_lo
	s_delay_alu instid0(SALU_CYCLE_1)
	s_or_b32 s4, s4, s6
	s_or_b32 exec_lo, exec_lo, s5
	v_mov_b32_e32 v6, 0
	s_and_saveexec_b32 s5, s4
	s_cbranch_execnz .LBB9_169
	s_branch .LBB9_170
.LBB9_270:
	s_mov_b32 s4, -1
	s_mov_b32 s3, 0
	s_mov_b32 s0, s23
	s_branch .LBB9_280
.LBB9_271:
	s_and_not1_saveexec_b32 s5, s5
	s_cbranch_execz .LBB9_181
.LBB9_272:
	v_add_f32_e64 v3, 0x42800000, |v2|
	s_and_not1_b32 s4, s4, exec_lo
	s_delay_alu instid0(VALU_DEP_1) | instskip(NEXT) | instid1(VALU_DEP_1)
	v_and_b32_e32 v3, 0xff, v3
	v_cmp_ne_u32_e32 vcc_lo, 0, v3
	s_and_b32 s6, vcc_lo, exec_lo
	s_delay_alu instid0(SALU_CYCLE_1)
	s_or_b32 s4, s4, s6
	s_or_b32 exec_lo, exec_lo, s5
	v_mov_b32_e32 v6, 0
	s_and_saveexec_b32 s5, s4
	s_cbranch_execnz .LBB9_182
	s_branch .LBB9_183
.LBB9_273:
	s_mov_b32 s4, -1
	s_mov_b32 s3, 0
	s_mov_b32 s0, s23
.LBB9_274:
	s_and_b32 vcc_lo, exec_lo, s4
	s_cbranch_vccz .LBB9_279
; %bb.275:
	s_cmp_eq_u32 s2, 44
	s_mov_b32 s0, -1
	s_cbranch_scc0 .LBB9_279
; %bb.276:
	s_wait_xcnt 0x0
	v_cvt_f32_f64_e32 v2, v[0:1]
	v_mov_b32_e32 v3, 0xff
	s_mov_b32 s3, exec_lo
	s_delay_alu instid0(VALU_DEP_2) | instskip(NEXT) | instid1(VALU_DEP_1)
	v_bfe_u32 v6, v2, 23, 8
	v_cmpx_ne_u32_e32 0xff, v6
	s_cbranch_execz .LBB9_278
; %bb.277:
	v_and_b32_e32 v3, 0x400000, v2
	v_and_or_b32 v6, 0x3fffff, v2, v6
	v_lshrrev_b32_e32 v2, 23, v2
	s_delay_alu instid0(VALU_DEP_3) | instskip(NEXT) | instid1(VALU_DEP_3)
	v_cmp_ne_u32_e32 vcc_lo, 0, v3
	v_cmp_ne_u32_e64 s0, 0, v6
	s_and_b32 s0, vcc_lo, s0
	s_delay_alu instid0(SALU_CYCLE_1) | instskip(NEXT) | instid1(VALU_DEP_1)
	v_cndmask_b32_e64 v3, 0, 1, s0
	v_add_nc_u32_e32 v3, v2, v3
.LBB9_278:
	s_or_b32 exec_lo, exec_lo, s3
	s_mov_b32 s3, -1
	s_mov_b32 s0, 0
	global_store_b8 v[4:5], v3, off
.LBB9_279:
	s_mov_b32 s4, 0
.LBB9_280:
	s_delay_alu instid0(SALU_CYCLE_1)
	s_and_b32 vcc_lo, exec_lo, s4
	s_cbranch_vccz .LBB9_283
; %bb.281:
	s_cmp_eq_u32 s2, 29
	s_mov_b32 s0, -1
	s_cbranch_scc0 .LBB9_283
; %bb.282:
	s_wait_xcnt 0x0
	v_trunc_f64_e32 v[2:3], v[0:1]
	s_mov_b32 s3, -1
	s_mov_b32 s0, 0
	s_mov_b32 s4, 0
	s_delay_alu instid0(VALU_DEP_1) | instskip(NEXT) | instid1(VALU_DEP_1)
	v_ldexp_f64 v[6:7], v[2:3], 0xffffffe0
	v_floor_f64_e32 v[6:7], v[6:7]
	s_delay_alu instid0(VALU_DEP_1) | instskip(SKIP_1) | instid1(VALU_DEP_2)
	v_fmamk_f64 v[2:3], v[6:7], 0xc1f00000, v[2:3]
	v_cvt_u32_f64_e32 v7, v[6:7]
	v_cvt_u32_f64_e32 v6, v[2:3]
	global_store_b64 v[4:5], v[6:7], off
	s_branch .LBB9_284
.LBB9_283:
	s_mov_b32 s4, 0
.LBB9_284:
	s_delay_alu instid0(SALU_CYCLE_1)
	s_and_b32 vcc_lo, exec_lo, s4
	s_cbranch_vccz .LBB9_300
; %bb.285:
	s_cmp_lt_i32 s2, 27
	s_mov_b32 s3, -1
	s_cbranch_scc1 .LBB9_291
; %bb.286:
	s_wait_xcnt 0x0
	v_cvt_u32_f64_e32 v2, v[0:1]
	s_cmp_gt_i32 s2, 27
	s_cbranch_scc0 .LBB9_288
; %bb.287:
	s_mov_b32 s3, 0
	global_store_b32 v[4:5], v2, off
.LBB9_288:
	s_and_not1_b32 vcc_lo, exec_lo, s3
	s_cbranch_vccnz .LBB9_290
; %bb.289:
	global_store_b16 v[4:5], v2, off
.LBB9_290:
	s_mov_b32 s3, 0
.LBB9_291:
	s_delay_alu instid0(SALU_CYCLE_1)
	s_and_not1_b32 vcc_lo, exec_lo, s3
	s_cbranch_vccnz .LBB9_299
; %bb.292:
	s_wait_xcnt 0x0
	v_cvt_f32_f64_e32 v2, v[0:1]
	v_mov_b32_e32 v6, 0x80
	s_mov_b32 s3, exec_lo
	s_delay_alu instid0(VALU_DEP_2) | instskip(NEXT) | instid1(VALU_DEP_1)
	v_and_b32_e32 v3, 0x7fffffff, v2
	v_cmpx_gt_u32_e32 0x43800000, v3
	s_cbranch_execz .LBB9_298
; %bb.293:
	v_cmp_lt_u32_e32 vcc_lo, 0x3bffffff, v3
	s_mov_b32 s4, 0
                                        ; implicit-def: $vgpr3
	s_and_saveexec_b32 s5, vcc_lo
	s_delay_alu instid0(SALU_CYCLE_1)
	s_xor_b32 s5, exec_lo, s5
	s_cbranch_execz .LBB9_396
; %bb.294:
	v_bfe_u32 v3, v2, 20, 1
	s_mov_b32 s4, exec_lo
	s_delay_alu instid0(VALU_DEP_1) | instskip(NEXT) | instid1(VALU_DEP_1)
	v_add3_u32 v3, v2, v3, 0x487ffff
	v_lshrrev_b32_e32 v3, 20, v3
	s_and_not1_saveexec_b32 s5, s5
	s_cbranch_execnz .LBB9_397
.LBB9_295:
	s_or_b32 exec_lo, exec_lo, s5
	v_mov_b32_e32 v6, 0
	s_and_saveexec_b32 s5, s4
.LBB9_296:
	v_lshrrev_b32_e32 v2, 24, v2
	s_delay_alu instid0(VALU_DEP_1)
	v_and_or_b32 v6, 0x80, v2, v3
.LBB9_297:
	s_or_b32 exec_lo, exec_lo, s5
.LBB9_298:
	s_delay_alu instid0(SALU_CYCLE_1)
	s_or_b32 exec_lo, exec_lo, s3
	global_store_b8 v[4:5], v6, off
.LBB9_299:
	s_mov_b32 s3, -1
.LBB9_300:
	s_mov_b32 s4, 0
.LBB9_301:
	s_delay_alu instid0(SALU_CYCLE_1)
	s_and_b32 vcc_lo, exec_lo, s4
	s_cbranch_vccz .LBB9_342
; %bb.302:
	s_cmp_gt_i32 s2, 22
	s_mov_b32 s4, -1
	s_cbranch_scc0 .LBB9_334
; %bb.303:
	s_cmp_lt_i32 s2, 24
	s_mov_b32 s3, -1
	s_cbranch_scc1 .LBB9_323
; %bb.304:
	s_cmp_gt_i32 s2, 24
	s_cbranch_scc0 .LBB9_312
; %bb.305:
	s_wait_xcnt 0x0
	v_cvt_f32_f64_e32 v2, v[0:1]
	v_mov_b32_e32 v6, 0x80
	s_mov_b32 s3, exec_lo
	s_delay_alu instid0(VALU_DEP_2) | instskip(NEXT) | instid1(VALU_DEP_1)
	v_and_b32_e32 v3, 0x7fffffff, v2
	v_cmpx_gt_u32_e32 0x47800000, v3
	s_cbranch_execz .LBB9_311
; %bb.306:
	v_cmp_lt_u32_e32 vcc_lo, 0x37ffffff, v3
	s_mov_b32 s4, 0
                                        ; implicit-def: $vgpr3
	s_and_saveexec_b32 s5, vcc_lo
	s_delay_alu instid0(SALU_CYCLE_1)
	s_xor_b32 s5, exec_lo, s5
	s_cbranch_execz .LBB9_398
; %bb.307:
	v_bfe_u32 v3, v2, 21, 1
	s_mov_b32 s4, exec_lo
	s_delay_alu instid0(VALU_DEP_1) | instskip(NEXT) | instid1(VALU_DEP_1)
	v_add3_u32 v3, v2, v3, 0x88fffff
	v_lshrrev_b32_e32 v3, 21, v3
	s_and_not1_saveexec_b32 s5, s5
	s_cbranch_execnz .LBB9_399
.LBB9_308:
	s_or_b32 exec_lo, exec_lo, s5
	v_mov_b32_e32 v6, 0
	s_and_saveexec_b32 s5, s4
.LBB9_309:
	v_lshrrev_b32_e32 v2, 24, v2
	s_delay_alu instid0(VALU_DEP_1)
	v_and_or_b32 v6, 0x80, v2, v3
.LBB9_310:
	s_or_b32 exec_lo, exec_lo, s5
.LBB9_311:
	s_delay_alu instid0(SALU_CYCLE_1)
	s_or_b32 exec_lo, exec_lo, s3
	s_mov_b32 s3, 0
	global_store_b8 v[4:5], v6, off
.LBB9_312:
	s_and_b32 vcc_lo, exec_lo, s3
	s_cbranch_vccz .LBB9_322
; %bb.313:
	s_wait_xcnt 0x0
	v_cvt_f32_f64_e32 v2, v[0:1]
	s_mov_b32 s3, exec_lo
                                        ; implicit-def: $vgpr3
	s_delay_alu instid0(VALU_DEP_1) | instskip(NEXT) | instid1(VALU_DEP_1)
	v_and_b32_e32 v6, 0x7fffffff, v2
	v_cmpx_gt_u32_e32 0x43f00000, v6
	s_xor_b32 s3, exec_lo, s3
	s_cbranch_execz .LBB9_319
; %bb.314:
	s_mov_b32 s4, exec_lo
                                        ; implicit-def: $vgpr3
	v_cmpx_lt_u32_e32 0x3c7fffff, v6
	s_xor_b32 s4, exec_lo, s4
; %bb.315:
	v_bfe_u32 v3, v2, 20, 1
	s_delay_alu instid0(VALU_DEP_1) | instskip(NEXT) | instid1(VALU_DEP_1)
	v_add3_u32 v3, v2, v3, 0x407ffff
	v_and_b32_e32 v6, 0xff00000, v3
	v_lshrrev_b32_e32 v3, 20, v3
	s_delay_alu instid0(VALU_DEP_2) | instskip(NEXT) | instid1(VALU_DEP_2)
	v_cmp_ne_u32_e32 vcc_lo, 0x7f00000, v6
	v_cndmask_b32_e32 v3, 0x7e, v3, vcc_lo
; %bb.316:
	s_and_not1_saveexec_b32 s4, s4
; %bb.317:
	v_add_f32_e64 v3, 0x46800000, |v2|
; %bb.318:
	s_or_b32 exec_lo, exec_lo, s4
                                        ; implicit-def: $vgpr6
.LBB9_319:
	s_and_not1_saveexec_b32 s3, s3
; %bb.320:
	v_mov_b32_e32 v3, 0x7f
	v_cmp_lt_u32_e32 vcc_lo, 0x7f800000, v6
	s_delay_alu instid0(VALU_DEP_2)
	v_cndmask_b32_e32 v3, 0x7e, v3, vcc_lo
; %bb.321:
	s_or_b32 exec_lo, exec_lo, s3
	v_lshrrev_b32_e32 v2, 24, v2
	s_delay_alu instid0(VALU_DEP_1)
	v_and_or_b32 v2, 0x80, v2, v3
	global_store_b8 v[4:5], v2, off
.LBB9_322:
	s_mov_b32 s3, 0
.LBB9_323:
	s_delay_alu instid0(SALU_CYCLE_1)
	s_and_not1_b32 vcc_lo, exec_lo, s3
	s_cbranch_vccnz .LBB9_333
; %bb.324:
	s_wait_xcnt 0x0
	v_cvt_f32_f64_e32 v2, v[0:1]
	s_mov_b32 s3, exec_lo
                                        ; implicit-def: $vgpr3
	s_delay_alu instid0(VALU_DEP_1) | instskip(NEXT) | instid1(VALU_DEP_1)
	v_and_b32_e32 v6, 0x7fffffff, v2
	v_cmpx_gt_u32_e32 0x47800000, v6
	s_xor_b32 s3, exec_lo, s3
	s_cbranch_execz .LBB9_330
; %bb.325:
	s_mov_b32 s4, exec_lo
                                        ; implicit-def: $vgpr3
	v_cmpx_lt_u32_e32 0x387fffff, v6
	s_xor_b32 s4, exec_lo, s4
; %bb.326:
	v_bfe_u32 v3, v2, 21, 1
	s_delay_alu instid0(VALU_DEP_1) | instskip(NEXT) | instid1(VALU_DEP_1)
	v_add3_u32 v3, v2, v3, 0x80fffff
	v_lshrrev_b32_e32 v3, 21, v3
; %bb.327:
	s_and_not1_saveexec_b32 s4, s4
; %bb.328:
	v_add_f32_e64 v3, 0x43000000, |v2|
; %bb.329:
	s_or_b32 exec_lo, exec_lo, s4
                                        ; implicit-def: $vgpr6
.LBB9_330:
	s_and_not1_saveexec_b32 s3, s3
; %bb.331:
	v_mov_b32_e32 v3, 0x7f
	v_cmp_lt_u32_e32 vcc_lo, 0x7f800000, v6
	s_delay_alu instid0(VALU_DEP_2)
	v_cndmask_b32_e32 v3, 0x7c, v3, vcc_lo
; %bb.332:
	s_or_b32 exec_lo, exec_lo, s3
	v_lshrrev_b32_e32 v2, 24, v2
	s_delay_alu instid0(VALU_DEP_1)
	v_and_or_b32 v2, 0x80, v2, v3
	global_store_b8 v[4:5], v2, off
.LBB9_333:
	s_mov_b32 s4, 0
	s_mov_b32 s3, -1
.LBB9_334:
	s_and_not1_b32 vcc_lo, exec_lo, s4
	s_cbranch_vccnz .LBB9_342
; %bb.335:
	s_cmp_gt_i32 s2, 14
	s_mov_b32 s4, -1
	s_cbranch_scc0 .LBB9_339
; %bb.336:
	s_cmp_eq_u32 s2, 15
	s_mov_b32 s0, -1
	s_cbranch_scc0 .LBB9_338
; %bb.337:
	s_wait_xcnt 0x0
	v_cvt_f32_f64_e32 v2, v[0:1]
	s_mov_b32 s3, -1
	s_mov_b32 s0, 0
	s_delay_alu instid0(VALU_DEP_1) | instskip(SKIP_1) | instid1(VALU_DEP_2)
	v_bfe_u32 v3, v2, 16, 1
	v_cmp_o_f32_e32 vcc_lo, v2, v2
	v_add3_u32 v3, v2, v3, 0x7fff
	s_delay_alu instid0(VALU_DEP_1) | instskip(NEXT) | instid1(VALU_DEP_1)
	v_lshrrev_b32_e32 v3, 16, v3
	v_cndmask_b32_e32 v2, 0x7fc0, v3, vcc_lo
	global_store_b16 v[4:5], v2, off
.LBB9_338:
	s_mov_b32 s4, 0
.LBB9_339:
	s_delay_alu instid0(SALU_CYCLE_1)
	s_and_b32 vcc_lo, exec_lo, s4
	s_cbranch_vccz .LBB9_342
; %bb.340:
	s_cmp_eq_u32 s2, 11
	s_mov_b32 s0, -1
	s_cbranch_scc0 .LBB9_342
; %bb.341:
	v_cmp_neq_f64_e32 vcc_lo, 0, v[0:1]
	s_mov_b32 s3, -1
	s_mov_b32 s0, 0
	s_wait_xcnt 0x0
	v_cndmask_b32_e64 v2, 0, 1, vcc_lo
	global_store_b8 v[4:5], v2, off
.LBB9_342:
	s_mov_b32 s2, 0
.LBB9_343:
	s_delay_alu instid0(SALU_CYCLE_1)
	s_and_b32 vcc_lo, exec_lo, s2
	s_cbranch_vccz .LBB9_382
; %bb.344:
	s_and_b32 s1, 0xffff, s1
	s_mov_b32 s2, -1
	s_cmp_lt_i32 s1, 5
	s_cbranch_scc1 .LBB9_365
; %bb.345:
	s_cmp_lt_i32 s1, 8
	s_cbranch_scc1 .LBB9_355
; %bb.346:
	;; [unrolled: 3-line block ×3, first 2 shown]
	s_cmp_gt_i32 s1, 9
	s_cbranch_scc0 .LBB9_349
; %bb.348:
	s_wait_xcnt 0x0
	v_mov_b32_e32 v2, 0
	s_mov_b32 s2, 0
	s_delay_alu instid0(VALU_DEP_1)
	v_mov_b32_e32 v3, v2
	global_store_b128 v[4:5], v[0:3], off
.LBB9_349:
	s_and_not1_b32 vcc_lo, exec_lo, s2
	s_cbranch_vccnz .LBB9_351
; %bb.350:
	s_wait_xcnt 0x0
	v_cvt_f32_f64_e32 v2, v[0:1]
	v_mov_b32_e32 v3, 0
	global_store_b64 v[4:5], v[2:3], off
.LBB9_351:
	s_mov_b32 s2, 0
.LBB9_352:
	s_delay_alu instid0(SALU_CYCLE_1)
	s_and_not1_b32 vcc_lo, exec_lo, s2
	s_cbranch_vccnz .LBB9_354
; %bb.353:
	s_wait_xcnt 0x0
	v_and_or_b32 v2, 0x1ff, v1, v0
	v_lshrrev_b32_e32 v3, 8, v1
	v_bfe_u32 v6, v1, 20, 11
	s_delay_alu instid0(VALU_DEP_3) | instskip(NEXT) | instid1(VALU_DEP_2)
	v_cmp_ne_u32_e32 vcc_lo, 0, v2
	v_sub_nc_u32_e32 v7, 0x3f1, v6
	v_cndmask_b32_e64 v2, 0, 1, vcc_lo
	s_delay_alu instid0(VALU_DEP_1) | instskip(NEXT) | instid1(VALU_DEP_3)
	v_and_or_b32 v2, 0xffe, v3, v2
	v_med3_i32 v3, v7, 0, 13
	s_delay_alu instid0(VALU_DEP_2) | instskip(NEXT) | instid1(VALU_DEP_1)
	v_or_b32_e32 v7, 0x1000, v2
	v_lshrrev_b32_e32 v8, v3, v7
	s_delay_alu instid0(VALU_DEP_1) | instskip(NEXT) | instid1(VALU_DEP_1)
	v_lshlrev_b32_e32 v3, v3, v8
	v_cmp_ne_u32_e32 vcc_lo, v3, v7
	v_cndmask_b32_e64 v3, 0, 1, vcc_lo
	s_delay_alu instid0(VALU_DEP_1) | instskip(SKIP_1) | instid1(VALU_DEP_1)
	v_or_b32_e32 v3, v8, v3
	v_add_nc_u32_e32 v6, 0xfffffc10, v6
	v_lshl_or_b32 v7, v6, 12, v2
	v_cmp_gt_i32_e32 vcc_lo, 1, v6
	s_delay_alu instid0(VALU_DEP_2) | instskip(NEXT) | instid1(VALU_DEP_1)
	v_cndmask_b32_e32 v3, v7, v3, vcc_lo
	v_dual_lshrrev_b32 v3, 2, v3 :: v_dual_bitop2_b32 v7, 7, v3 bitop3:0x40
	s_delay_alu instid0(VALU_DEP_1) | instskip(SKIP_4) | instid1(VALU_DEP_2)
	v_cmp_lt_i32_e32 vcc_lo, 5, v7
	v_cndmask_b32_e64 v8, 0, 1, vcc_lo
	v_cmp_eq_u32_e32 vcc_lo, 3, v7
	v_cndmask_b32_e64 v7, 0, 1, vcc_lo
	v_cmp_ne_u32_e32 vcc_lo, 0, v2
	v_or_b32_e32 v7, v7, v8
	s_delay_alu instid0(VALU_DEP_1) | instskip(NEXT) | instid1(VALU_DEP_1)
	v_dual_mov_b32 v8, 0x7e00 :: v_dual_add_nc_u32 v3, v3, v7
	v_cndmask_b32_e32 v2, 0x7c00, v8, vcc_lo
	v_cmp_gt_i32_e32 vcc_lo, 31, v6
	v_lshrrev_b32_e32 v7, 16, v1
	s_delay_alu instid0(VALU_DEP_4) | instskip(SKIP_1) | instid1(VALU_DEP_2)
	v_cndmask_b32_e32 v3, 0x7c00, v3, vcc_lo
	v_cmp_eq_u32_e32 vcc_lo, 0x40f, v6
	v_cndmask_b32_e32 v2, v3, v2, vcc_lo
	s_delay_alu instid0(VALU_DEP_4) | instskip(NEXT) | instid1(VALU_DEP_1)
	v_and_b32_e32 v3, 0x8000, v7
	v_bitop3_b32 v2, v3, 0xffff, v2 bitop3:0xc8
	global_store_b32 v[4:5], v2, off
.LBB9_354:
	s_mov_b32 s2, 0
.LBB9_355:
	s_delay_alu instid0(SALU_CYCLE_1)
	s_and_not1_b32 vcc_lo, exec_lo, s2
	s_cbranch_vccnz .LBB9_364
; %bb.356:
	s_cmp_lt_i32 s1, 6
	s_mov_b32 s2, -1
	s_cbranch_scc1 .LBB9_362
; %bb.357:
	s_cmp_gt_i32 s1, 6
	s_cbranch_scc0 .LBB9_359
; %bb.358:
	s_mov_b32 s2, 0
	global_store_b64 v[4:5], v[0:1], off
.LBB9_359:
	s_and_not1_b32 vcc_lo, exec_lo, s2
	s_cbranch_vccnz .LBB9_361
; %bb.360:
	s_wait_xcnt 0x0
	v_cvt_f32_f64_e32 v2, v[0:1]
	global_store_b32 v[4:5], v2, off
.LBB9_361:
	s_mov_b32 s2, 0
.LBB9_362:
	s_delay_alu instid0(SALU_CYCLE_1)
	s_and_not1_b32 vcc_lo, exec_lo, s2
	s_cbranch_vccnz .LBB9_364
; %bb.363:
	s_wait_xcnt 0x0
	v_and_or_b32 v2, 0x1ff, v1, v0
	v_lshrrev_b32_e32 v3, 8, v1
	v_bfe_u32 v6, v1, 20, 11
	s_delay_alu instid0(VALU_DEP_3) | instskip(NEXT) | instid1(VALU_DEP_2)
	v_cmp_ne_u32_e32 vcc_lo, 0, v2
	v_sub_nc_u32_e32 v7, 0x3f1, v6
	v_cndmask_b32_e64 v2, 0, 1, vcc_lo
	s_delay_alu instid0(VALU_DEP_1) | instskip(NEXT) | instid1(VALU_DEP_3)
	v_and_or_b32 v2, 0xffe, v3, v2
	v_med3_i32 v3, v7, 0, 13
	s_delay_alu instid0(VALU_DEP_2) | instskip(NEXT) | instid1(VALU_DEP_1)
	v_or_b32_e32 v7, 0x1000, v2
	v_lshrrev_b32_e32 v8, v3, v7
	s_delay_alu instid0(VALU_DEP_1) | instskip(NEXT) | instid1(VALU_DEP_1)
	v_lshlrev_b32_e32 v3, v3, v8
	v_cmp_ne_u32_e32 vcc_lo, v3, v7
	v_cndmask_b32_e64 v3, 0, 1, vcc_lo
	s_delay_alu instid0(VALU_DEP_1) | instskip(SKIP_1) | instid1(VALU_DEP_1)
	v_or_b32_e32 v3, v8, v3
	v_add_nc_u32_e32 v6, 0xfffffc10, v6
	v_lshl_or_b32 v7, v6, 12, v2
	v_cmp_gt_i32_e32 vcc_lo, 1, v6
	s_delay_alu instid0(VALU_DEP_2) | instskip(NEXT) | instid1(VALU_DEP_1)
	v_cndmask_b32_e32 v3, v7, v3, vcc_lo
	v_dual_lshrrev_b32 v3, 2, v3 :: v_dual_bitop2_b32 v7, 7, v3 bitop3:0x40
	s_delay_alu instid0(VALU_DEP_1) | instskip(SKIP_4) | instid1(VALU_DEP_2)
	v_cmp_lt_i32_e32 vcc_lo, 5, v7
	v_cndmask_b32_e64 v8, 0, 1, vcc_lo
	v_cmp_eq_u32_e32 vcc_lo, 3, v7
	v_cndmask_b32_e64 v7, 0, 1, vcc_lo
	v_cmp_ne_u32_e32 vcc_lo, 0, v2
	v_or_b32_e32 v7, v7, v8
	s_delay_alu instid0(VALU_DEP_1) | instskip(NEXT) | instid1(VALU_DEP_1)
	v_dual_mov_b32 v8, 0x7e00 :: v_dual_add_nc_u32 v3, v3, v7
	v_cndmask_b32_e32 v2, 0x7c00, v8, vcc_lo
	v_cmp_gt_i32_e32 vcc_lo, 31, v6
	s_delay_alu instid0(VALU_DEP_3) | instskip(SKIP_1) | instid1(VALU_DEP_2)
	v_cndmask_b32_e32 v3, 0x7c00, v3, vcc_lo
	v_cmp_eq_u32_e32 vcc_lo, 0x40f, v6
	v_dual_cndmask_b32 v2, v3, v2 :: v_dual_lshrrev_b32 v3, 16, v1
	s_delay_alu instid0(VALU_DEP_1)
	v_and_or_b32 v2, 0x8000, v3, v2
	global_store_b16 v[4:5], v2, off
.LBB9_364:
	s_mov_b32 s2, 0
.LBB9_365:
	s_delay_alu instid0(SALU_CYCLE_1)
	s_and_not1_b32 vcc_lo, exec_lo, s2
	s_cbranch_vccnz .LBB9_381
; %bb.366:
	s_cmp_lt_i32 s1, 2
	s_mov_b32 s2, -1
	s_cbranch_scc1 .LBB9_376
; %bb.367:
	s_cmp_lt_i32 s1, 3
	s_cbranch_scc1 .LBB9_373
; %bb.368:
	s_cmp_gt_i32 s1, 3
	s_cbranch_scc0 .LBB9_370
; %bb.369:
	s_wait_xcnt 0x0
	v_trunc_f64_e32 v[2:3], v[0:1]
	s_mov_b32 s2, 0
	s_delay_alu instid0(VALU_DEP_1) | instskip(NEXT) | instid1(VALU_DEP_1)
	v_ldexp_f64 v[6:7], v[2:3], 0xffffffe0
	v_floor_f64_e32 v[6:7], v[6:7]
	s_delay_alu instid0(VALU_DEP_1) | instskip(SKIP_1) | instid1(VALU_DEP_2)
	v_fmamk_f64 v[2:3], v[6:7], 0xc1f00000, v[2:3]
	v_cvt_i32_f64_e32 v7, v[6:7]
	v_cvt_u32_f64_e32 v6, v[2:3]
	global_store_b64 v[4:5], v[6:7], off
.LBB9_370:
	s_and_not1_b32 vcc_lo, exec_lo, s2
	s_cbranch_vccnz .LBB9_372
; %bb.371:
	s_wait_xcnt 0x0
	v_cvt_i32_f64_e32 v2, v[0:1]
	global_store_b32 v[4:5], v2, off
.LBB9_372:
	s_mov_b32 s2, 0
.LBB9_373:
	s_delay_alu instid0(SALU_CYCLE_1)
	s_and_not1_b32 vcc_lo, exec_lo, s2
	s_cbranch_vccnz .LBB9_375
; %bb.374:
	s_wait_xcnt 0x0
	v_cvt_i32_f64_e32 v2, v[0:1]
	global_store_b16 v[4:5], v2, off
.LBB9_375:
	s_mov_b32 s2, 0
.LBB9_376:
	s_delay_alu instid0(SALU_CYCLE_1)
	s_and_not1_b32 vcc_lo, exec_lo, s2
	s_cbranch_vccnz .LBB9_381
; %bb.377:
	s_cmp_gt_i32 s1, 0
	s_mov_b32 s1, -1
	s_cbranch_scc0 .LBB9_379
; %bb.378:
	s_wait_xcnt 0x0
	v_cvt_i32_f64_e32 v2, v[0:1]
	s_mov_b32 s1, 0
	global_store_b8 v[4:5], v2, off
.LBB9_379:
	s_and_not1_b32 vcc_lo, exec_lo, s1
	s_cbranch_vccnz .LBB9_381
; %bb.380:
	s_wait_xcnt 0x0
	v_trunc_f64_e32 v[0:1], v[0:1]
	s_delay_alu instid0(VALU_DEP_1) | instskip(NEXT) | instid1(VALU_DEP_1)
	v_ldexp_f64 v[2:3], v[0:1], 0xffffffe0
	v_floor_f64_e32 v[2:3], v[2:3]
	s_delay_alu instid0(VALU_DEP_1) | instskip(NEXT) | instid1(VALU_DEP_1)
	v_fmamk_f64 v[0:1], v[2:3], 0xc1f00000, v[0:1]
	v_cvt_u32_f64_e32 v0, v[0:1]
	global_store_b8 v[4:5], v0, off
.LBB9_381:
	s_mov_b32 s3, -1
.LBB9_382:
	s_delay_alu instid0(SALU_CYCLE_1)
	s_and_not1_b32 vcc_lo, exec_lo, s3
	s_cbranch_vccnz .LBB9_384
; %bb.383:
	v_add_nc_u32_e32 v46, 0x80, v46
	s_mov_b32 s1, -1
	s_branch .LBB9_385
.LBB9_384:
	s_mov_b32 s1, 0
                                        ; implicit-def: $vgpr46
.LBB9_385:
	s_and_not1_b32 s2, s23, exec_lo
	s_and_b32 s0, s0, exec_lo
	s_or_not1_b32 s3, s1, exec_lo
	s_or_b32 s26, s2, s0
.LBB9_386:
	s_wait_xcnt 0x0
	s_or_b32 exec_lo, exec_lo, s25
	s_mov_b32 s0, 0
	s_mov_b32 s2, 0
                                        ; implicit-def: $sgpr1
                                        ; implicit-def: $vgpr4_vgpr5
                                        ; implicit-def: $vgpr0_vgpr1
	s_and_saveexec_b32 s25, s3
	s_cbranch_execz .LBB9_470
; %bb.387:
	v_cmp_gt_i32_e32 vcc_lo, s21, v46
	s_mov_b32 s3, s26
                                        ; implicit-def: $sgpr1
                                        ; implicit-def: $vgpr4_vgpr5
                                        ; implicit-def: $vgpr0_vgpr1
	s_and_saveexec_b32 s21, vcc_lo
	s_cbranch_execz .LBB9_469
; %bb.388:
	v_dual_mov_b32 v0, s14 :: v_dual_mov_b32 v1, s15
	v_dual_mov_b32 v2, s17 :: v_dual_mov_b32 v3, v47
	v_mov_b32_e32 v4, v46
	s_get_pc_i64 s[0:1]
	s_add_nc_u64 s[0:1], s[0:1], _ZN2at6native6invokeIZZZNS0_12_GLOBAL__N_121bessel_y1_kernel_cudaERNS_18TensorIteratorBaseEENKUlvE_clEvENKUlvE_clEvEUldE_i15function_traitsIS7_EEENT1_11result_typeERKT_PrKPcPKT0_PKN3c1010ScalarTypeEi@rel64+4
	s_delay_alu instid0(SALU_CYCLE_1) | instskip(SKIP_2) | instid1(SALU_CYCLE_1)
	s_swap_pc_i64 s[30:31], s[0:1]
	v_mul_lo_u32 v2, v46, s16
	s_and_b32 s1, s11, 0xff
	s_cmp_lt_i32 s1, 11
	s_delay_alu instid0(VALU_DEP_1) | instskip(NEXT) | instid1(VALU_DEP_1)
	v_ashrrev_i32_e32 v3, 31, v2
	v_add_nc_u64_e32 v[4:5], s[12:13], v[2:3]
	s_cbranch_scc1 .LBB9_395
; %bb.389:
	s_and_b32 s2, 0xffff, s1
	s_mov_b32 s3, -1
	s_cmp_gt_i32 s2, 25
	s_mov_b32 s0, s26
	s_cbranch_scc0 .LBB9_427
; %bb.390:
	s_cmp_gt_i32 s2, 28
	s_mov_b32 s0, s26
	s_cbranch_scc0 .LBB9_411
; %bb.391:
	;; [unrolled: 4-line block ×4, first 2 shown]
	s_cmp_eq_u32 s2, 46
	s_mov_b32 s0, -1
	s_cbranch_scc0 .LBB9_400
; %bb.394:
	v_cvt_f32_f64_e32 v2, v[0:1]
	s_mov_b32 s0, 0
	s_mov_b32 s3, 0
	s_delay_alu instid0(VALU_DEP_1) | instskip(SKIP_1) | instid1(VALU_DEP_2)
	v_bfe_u32 v3, v2, 16, 1
	v_cmp_o_f32_e32 vcc_lo, v2, v2
	v_add3_u32 v3, v2, v3, 0x7fff
	s_delay_alu instid0(VALU_DEP_1) | instskip(NEXT) | instid1(VALU_DEP_1)
	v_lshrrev_b32_e32 v3, 16, v3
	v_cndmask_b32_e32 v2, 0x7fc0, v3, vcc_lo
	global_store_b32 v[4:5], v2, off
	s_branch .LBB9_401
.LBB9_395:
	s_mov_b32 s4, 0
	s_mov_b32 s3, -1
	s_mov_b32 s0, s26
	s_branch .LBB9_468
.LBB9_396:
	s_and_not1_saveexec_b32 s5, s5
	s_cbranch_execz .LBB9_295
.LBB9_397:
	v_add_f32_e64 v3, 0x46000000, |v2|
	s_and_not1_b32 s4, s4, exec_lo
	s_delay_alu instid0(VALU_DEP_1) | instskip(NEXT) | instid1(VALU_DEP_1)
	v_and_b32_e32 v3, 0xff, v3
	v_cmp_ne_u32_e32 vcc_lo, 0, v3
	s_and_b32 s6, vcc_lo, exec_lo
	s_delay_alu instid0(SALU_CYCLE_1)
	s_or_b32 s4, s4, s6
	s_or_b32 exec_lo, exec_lo, s5
	v_mov_b32_e32 v6, 0
	s_and_saveexec_b32 s5, s4
	s_cbranch_execnz .LBB9_296
	s_branch .LBB9_297
.LBB9_398:
	s_and_not1_saveexec_b32 s5, s5
	s_cbranch_execz .LBB9_308
.LBB9_399:
	v_add_f32_e64 v3, 0x42800000, |v2|
	s_and_not1_b32 s4, s4, exec_lo
	s_delay_alu instid0(VALU_DEP_1) | instskip(NEXT) | instid1(VALU_DEP_1)
	v_and_b32_e32 v3, 0xff, v3
	v_cmp_ne_u32_e32 vcc_lo, 0, v3
	s_and_b32 s6, vcc_lo, exec_lo
	s_delay_alu instid0(SALU_CYCLE_1)
	s_or_b32 s4, s4, s6
	s_or_b32 exec_lo, exec_lo, s5
	v_mov_b32_e32 v6, 0
	s_and_saveexec_b32 s5, s4
	s_cbranch_execnz .LBB9_309
	s_branch .LBB9_310
.LBB9_400:
	s_mov_b32 s3, 0
.LBB9_401:
	s_delay_alu instid0(SALU_CYCLE_1)
	s_and_b32 vcc_lo, exec_lo, s3
	s_cbranch_vccz .LBB9_406
; %bb.402:
	s_cmp_eq_u32 s2, 44
	s_mov_b32 s0, -1
	s_cbranch_scc0 .LBB9_406
; %bb.403:
	s_wait_xcnt 0x0
	v_cvt_f32_f64_e32 v2, v[0:1]
	v_mov_b32_e32 v3, 0xff
	s_mov_b32 s3, exec_lo
	s_delay_alu instid0(VALU_DEP_2) | instskip(NEXT) | instid1(VALU_DEP_1)
	v_bfe_u32 v6, v2, 23, 8
	v_cmpx_ne_u32_e32 0xff, v6
	s_cbranch_execz .LBB9_405
; %bb.404:
	v_and_b32_e32 v3, 0x400000, v2
	v_and_or_b32 v6, 0x3fffff, v2, v6
	v_lshrrev_b32_e32 v2, 23, v2
	s_delay_alu instid0(VALU_DEP_3) | instskip(NEXT) | instid1(VALU_DEP_3)
	v_cmp_ne_u32_e32 vcc_lo, 0, v3
	v_cmp_ne_u32_e64 s0, 0, v6
	s_and_b32 s0, vcc_lo, s0
	s_delay_alu instid0(SALU_CYCLE_1) | instskip(NEXT) | instid1(VALU_DEP_1)
	v_cndmask_b32_e64 v3, 0, 1, s0
	v_add_nc_u32_e32 v3, v2, v3
.LBB9_405:
	s_or_b32 exec_lo, exec_lo, s3
	s_mov_b32 s0, 0
	global_store_b8 v[4:5], v3, off
.LBB9_406:
	s_mov_b32 s3, 0
.LBB9_407:
	s_delay_alu instid0(SALU_CYCLE_1)
	s_and_b32 vcc_lo, exec_lo, s3
	s_cbranch_vccz .LBB9_410
; %bb.408:
	s_cmp_eq_u32 s2, 29
	s_mov_b32 s0, -1
	s_cbranch_scc0 .LBB9_410
; %bb.409:
	s_wait_xcnt 0x0
	v_trunc_f64_e32 v[2:3], v[0:1]
	s_mov_b32 s0, 0
	s_mov_b32 s3, 0
	s_delay_alu instid0(VALU_DEP_1) | instskip(NEXT) | instid1(VALU_DEP_1)
	v_ldexp_f64 v[6:7], v[2:3], 0xffffffe0
	v_floor_f64_e32 v[6:7], v[6:7]
	s_delay_alu instid0(VALU_DEP_1) | instskip(SKIP_1) | instid1(VALU_DEP_2)
	v_fmamk_f64 v[2:3], v[6:7], 0xc1f00000, v[2:3]
	v_cvt_u32_f64_e32 v7, v[6:7]
	v_cvt_u32_f64_e32 v6, v[2:3]
	global_store_b64 v[4:5], v[6:7], off
	s_branch .LBB9_411
.LBB9_410:
	s_mov_b32 s3, 0
.LBB9_411:
	s_delay_alu instid0(SALU_CYCLE_1)
	s_and_b32 vcc_lo, exec_lo, s3
	s_cbranch_vccz .LBB9_426
; %bb.412:
	s_cmp_lt_i32 s2, 27
	s_mov_b32 s3, -1
	s_cbranch_scc1 .LBB9_418
; %bb.413:
	s_wait_xcnt 0x0
	v_cvt_u32_f64_e32 v2, v[0:1]
	s_cmp_gt_i32 s2, 27
	s_cbranch_scc0 .LBB9_415
; %bb.414:
	s_mov_b32 s3, 0
	global_store_b32 v[4:5], v2, off
.LBB9_415:
	s_and_not1_b32 vcc_lo, exec_lo, s3
	s_cbranch_vccnz .LBB9_417
; %bb.416:
	global_store_b16 v[4:5], v2, off
.LBB9_417:
	s_mov_b32 s3, 0
.LBB9_418:
	s_delay_alu instid0(SALU_CYCLE_1)
	s_and_not1_b32 vcc_lo, exec_lo, s3
	s_cbranch_vccnz .LBB9_426
; %bb.419:
	s_wait_xcnt 0x0
	v_cvt_f32_f64_e32 v2, v[0:1]
	v_mov_b32_e32 v6, 0x80
	s_mov_b32 s3, exec_lo
	s_delay_alu instid0(VALU_DEP_2) | instskip(NEXT) | instid1(VALU_DEP_1)
	v_and_b32_e32 v3, 0x7fffffff, v2
	v_cmpx_gt_u32_e32 0x43800000, v3
	s_cbranch_execz .LBB9_425
; %bb.420:
	v_cmp_lt_u32_e32 vcc_lo, 0x3bffffff, v3
	s_mov_b32 s4, 0
                                        ; implicit-def: $vgpr3
	s_and_saveexec_b32 s5, vcc_lo
	s_delay_alu instid0(SALU_CYCLE_1)
	s_xor_b32 s5, exec_lo, s5
	s_cbranch_execz .LBB9_1007
; %bb.421:
	v_bfe_u32 v3, v2, 20, 1
	s_mov_b32 s4, exec_lo
	s_delay_alu instid0(VALU_DEP_1) | instskip(NEXT) | instid1(VALU_DEP_1)
	v_add3_u32 v3, v2, v3, 0x487ffff
	v_lshrrev_b32_e32 v3, 20, v3
	s_and_not1_saveexec_b32 s5, s5
	s_cbranch_execnz .LBB9_1008
.LBB9_422:
	s_or_b32 exec_lo, exec_lo, s5
	v_mov_b32_e32 v6, 0
	s_and_saveexec_b32 s5, s4
.LBB9_423:
	v_lshrrev_b32_e32 v2, 24, v2
	s_delay_alu instid0(VALU_DEP_1)
	v_and_or_b32 v6, 0x80, v2, v3
.LBB9_424:
	s_or_b32 exec_lo, exec_lo, s5
.LBB9_425:
	s_delay_alu instid0(SALU_CYCLE_1)
	s_or_b32 exec_lo, exec_lo, s3
	global_store_b8 v[4:5], v6, off
.LBB9_426:
	s_mov_b32 s3, 0
.LBB9_427:
	s_delay_alu instid0(SALU_CYCLE_1)
	s_and_b32 vcc_lo, exec_lo, s3
	s_mov_b32 s3, 0
	s_cbranch_vccz .LBB9_467
; %bb.428:
	s_cmp_gt_i32 s2, 22
	s_mov_b32 s4, -1
	s_cbranch_scc0 .LBB9_460
; %bb.429:
	s_cmp_lt_i32 s2, 24
	s_cbranch_scc1 .LBB9_449
; %bb.430:
	s_cmp_gt_i32 s2, 24
	s_cbranch_scc0 .LBB9_438
; %bb.431:
	s_wait_xcnt 0x0
	v_cvt_f32_f64_e32 v2, v[0:1]
	v_mov_b32_e32 v6, 0x80
	s_mov_b32 s4, exec_lo
	s_delay_alu instid0(VALU_DEP_2) | instskip(NEXT) | instid1(VALU_DEP_1)
	v_and_b32_e32 v3, 0x7fffffff, v2
	v_cmpx_gt_u32_e32 0x47800000, v3
	s_cbranch_execz .LBB9_437
; %bb.432:
	v_cmp_lt_u32_e32 vcc_lo, 0x37ffffff, v3
	s_mov_b32 s5, 0
                                        ; implicit-def: $vgpr3
	s_and_saveexec_b32 s6, vcc_lo
	s_delay_alu instid0(SALU_CYCLE_1)
	s_xor_b32 s6, exec_lo, s6
	s_cbranch_execz .LBB9_1011
; %bb.433:
	v_bfe_u32 v3, v2, 21, 1
	s_mov_b32 s5, exec_lo
	s_delay_alu instid0(VALU_DEP_1) | instskip(NEXT) | instid1(VALU_DEP_1)
	v_add3_u32 v3, v2, v3, 0x88fffff
	v_lshrrev_b32_e32 v3, 21, v3
	s_and_not1_saveexec_b32 s6, s6
	s_cbranch_execnz .LBB9_1012
.LBB9_434:
	s_or_b32 exec_lo, exec_lo, s6
	v_mov_b32_e32 v6, 0
	s_and_saveexec_b32 s6, s5
.LBB9_435:
	v_lshrrev_b32_e32 v2, 24, v2
	s_delay_alu instid0(VALU_DEP_1)
	v_and_or_b32 v6, 0x80, v2, v3
.LBB9_436:
	s_or_b32 exec_lo, exec_lo, s6
.LBB9_437:
	s_delay_alu instid0(SALU_CYCLE_1)
	s_or_b32 exec_lo, exec_lo, s4
	s_mov_b32 s4, 0
	global_store_b8 v[4:5], v6, off
.LBB9_438:
	s_and_b32 vcc_lo, exec_lo, s4
	s_cbranch_vccz .LBB9_448
; %bb.439:
	s_wait_xcnt 0x0
	v_cvt_f32_f64_e32 v2, v[0:1]
	s_mov_b32 s4, exec_lo
                                        ; implicit-def: $vgpr3
	s_delay_alu instid0(VALU_DEP_1) | instskip(NEXT) | instid1(VALU_DEP_1)
	v_and_b32_e32 v6, 0x7fffffff, v2
	v_cmpx_gt_u32_e32 0x43f00000, v6
	s_xor_b32 s4, exec_lo, s4
	s_cbranch_execz .LBB9_445
; %bb.440:
	s_mov_b32 s5, exec_lo
                                        ; implicit-def: $vgpr3
	v_cmpx_lt_u32_e32 0x3c7fffff, v6
	s_xor_b32 s5, exec_lo, s5
; %bb.441:
	v_bfe_u32 v3, v2, 20, 1
	s_delay_alu instid0(VALU_DEP_1) | instskip(NEXT) | instid1(VALU_DEP_1)
	v_add3_u32 v3, v2, v3, 0x407ffff
	v_and_b32_e32 v6, 0xff00000, v3
	v_lshrrev_b32_e32 v3, 20, v3
	s_delay_alu instid0(VALU_DEP_2) | instskip(NEXT) | instid1(VALU_DEP_2)
	v_cmp_ne_u32_e32 vcc_lo, 0x7f00000, v6
	v_cndmask_b32_e32 v3, 0x7e, v3, vcc_lo
; %bb.442:
	s_and_not1_saveexec_b32 s5, s5
; %bb.443:
	v_add_f32_e64 v3, 0x46800000, |v2|
; %bb.444:
	s_or_b32 exec_lo, exec_lo, s5
                                        ; implicit-def: $vgpr6
.LBB9_445:
	s_and_not1_saveexec_b32 s4, s4
; %bb.446:
	v_mov_b32_e32 v3, 0x7f
	v_cmp_lt_u32_e32 vcc_lo, 0x7f800000, v6
	s_delay_alu instid0(VALU_DEP_2)
	v_cndmask_b32_e32 v3, 0x7e, v3, vcc_lo
; %bb.447:
	s_or_b32 exec_lo, exec_lo, s4
	v_lshrrev_b32_e32 v2, 24, v2
	s_delay_alu instid0(VALU_DEP_1)
	v_and_or_b32 v2, 0x80, v2, v3
	global_store_b8 v[4:5], v2, off
.LBB9_448:
	s_mov_b32 s4, 0
.LBB9_449:
	s_delay_alu instid0(SALU_CYCLE_1)
	s_and_not1_b32 vcc_lo, exec_lo, s4
	s_cbranch_vccnz .LBB9_459
; %bb.450:
	s_wait_xcnt 0x0
	v_cvt_f32_f64_e32 v2, v[0:1]
	s_mov_b32 s4, exec_lo
                                        ; implicit-def: $vgpr3
	s_delay_alu instid0(VALU_DEP_1) | instskip(NEXT) | instid1(VALU_DEP_1)
	v_and_b32_e32 v6, 0x7fffffff, v2
	v_cmpx_gt_u32_e32 0x47800000, v6
	s_xor_b32 s4, exec_lo, s4
	s_cbranch_execz .LBB9_456
; %bb.451:
	s_mov_b32 s5, exec_lo
                                        ; implicit-def: $vgpr3
	v_cmpx_lt_u32_e32 0x387fffff, v6
	s_xor_b32 s5, exec_lo, s5
; %bb.452:
	v_bfe_u32 v3, v2, 21, 1
	s_delay_alu instid0(VALU_DEP_1) | instskip(NEXT) | instid1(VALU_DEP_1)
	v_add3_u32 v3, v2, v3, 0x80fffff
	v_lshrrev_b32_e32 v3, 21, v3
; %bb.453:
	s_and_not1_saveexec_b32 s5, s5
; %bb.454:
	v_add_f32_e64 v3, 0x43000000, |v2|
; %bb.455:
	s_or_b32 exec_lo, exec_lo, s5
                                        ; implicit-def: $vgpr6
.LBB9_456:
	s_and_not1_saveexec_b32 s4, s4
; %bb.457:
	v_mov_b32_e32 v3, 0x7f
	v_cmp_lt_u32_e32 vcc_lo, 0x7f800000, v6
	s_delay_alu instid0(VALU_DEP_2)
	v_cndmask_b32_e32 v3, 0x7c, v3, vcc_lo
; %bb.458:
	s_or_b32 exec_lo, exec_lo, s4
	v_lshrrev_b32_e32 v2, 24, v2
	s_delay_alu instid0(VALU_DEP_1)
	v_and_or_b32 v2, 0x80, v2, v3
	global_store_b8 v[4:5], v2, off
.LBB9_459:
	s_mov_b32 s4, 0
.LBB9_460:
	s_delay_alu instid0(SALU_CYCLE_1)
	s_and_not1_b32 vcc_lo, exec_lo, s4
	s_mov_b32 s4, 0
	s_cbranch_vccnz .LBB9_468
; %bb.461:
	s_cmp_gt_i32 s2, 14
	s_mov_b32 s4, -1
	s_cbranch_scc0 .LBB9_465
; %bb.462:
	s_cmp_eq_u32 s2, 15
	s_mov_b32 s0, -1
	s_cbranch_scc0 .LBB9_464
; %bb.463:
	s_wait_xcnt 0x0
	v_cvt_f32_f64_e32 v2, v[0:1]
	s_mov_b32 s0, 0
	s_delay_alu instid0(VALU_DEP_1) | instskip(SKIP_1) | instid1(VALU_DEP_2)
	v_bfe_u32 v3, v2, 16, 1
	v_cmp_o_f32_e32 vcc_lo, v2, v2
	v_add3_u32 v3, v2, v3, 0x7fff
	s_delay_alu instid0(VALU_DEP_1) | instskip(NEXT) | instid1(VALU_DEP_1)
	v_lshrrev_b32_e32 v3, 16, v3
	v_cndmask_b32_e32 v2, 0x7fc0, v3, vcc_lo
	global_store_b16 v[4:5], v2, off
.LBB9_464:
	s_mov_b32 s4, 0
.LBB9_465:
	s_delay_alu instid0(SALU_CYCLE_1)
	s_and_b32 vcc_lo, exec_lo, s4
	s_mov_b32 s4, 0
	s_cbranch_vccz .LBB9_468
; %bb.466:
	s_cmp_lg_u32 s2, 11
	s_mov_b32 s4, -1
	s_cselect_b32 s2, -1, 0
	s_and_not1_b32 s0, s0, exec_lo
	s_and_b32 s2, s2, exec_lo
	s_delay_alu instid0(SALU_CYCLE_1)
	s_or_b32 s0, s0, s2
	s_branch .LBB9_468
.LBB9_467:
	s_mov_b32 s4, 0
.LBB9_468:
	s_and_b32 s2, s3, exec_lo
	s_and_not1_b32 s3, s26, exec_lo
	s_and_b32 s5, s0, exec_lo
	s_and_b32 s0, s4, exec_lo
	s_or_b32 s3, s3, s5
.LBB9_469:
	s_wait_xcnt 0x0
	s_or_b32 exec_lo, exec_lo, s21
	s_delay_alu instid0(SALU_CYCLE_1)
	s_and_not1_b32 s4, s26, exec_lo
	s_and_b32 s3, s3, exec_lo
	s_and_b32 s2, s2, exec_lo
	;; [unrolled: 1-line block ×3, first 2 shown]
	s_or_b32 s26, s4, s3
.LBB9_470:
	s_or_b32 exec_lo, exec_lo, s25
	s_delay_alu instid0(SALU_CYCLE_1)
	s_and_not1_b32 s3, s23, exec_lo
	s_and_b32 s4, s26, exec_lo
	s_and_b32 s2, s2, exec_lo
	;; [unrolled: 1-line block ×3, first 2 shown]
	s_or_b32 s23, s3, s4
.LBB9_471:
	s_or_b32 exec_lo, exec_lo, s24
	s_delay_alu instid0(SALU_CYCLE_1)
	s_and_not1_b32 s3, s20, exec_lo
	s_and_b32 s4, s23, exec_lo
	s_and_b32 s2, s2, exec_lo
	;; [unrolled: 1-line block ×3, first 2 shown]
	s_or_b32 s20, s3, s4
	s_or_b32 exec_lo, exec_lo, s22
	s_mov_b32 s0, 0
	s_and_saveexec_b32 s3, s20
	s_cbranch_execz .LBB9_134
.LBB9_472:
	s_mov_b32 s0, exec_lo
	s_and_not1_b32 s23, s23, exec_lo
	s_trap 2
	s_or_b32 exec_lo, exec_lo, s3
	s_and_saveexec_b32 s3, s23
	s_delay_alu instid0(SALU_CYCLE_1)
	s_xor_b32 s3, exec_lo, s3
	s_cbranch_execnz .LBB9_135
.LBB9_473:
	s_or_b32 exec_lo, exec_lo, s3
	s_and_saveexec_b32 s3, s2
	s_delay_alu instid0(SALU_CYCLE_1)
	s_xor_b32 s2, exec_lo, s3
	s_cbranch_execz .LBB9_511
.LBB9_474:
	s_sext_i32_i16 s4, s1
	s_mov_b32 s3, -1
	s_cmp_lt_i32 s4, 5
	s_cbranch_scc1 .LBB9_495
; %bb.475:
	s_cmp_lt_i32 s4, 8
	s_cbranch_scc1 .LBB9_485
; %bb.476:
	;; [unrolled: 3-line block ×3, first 2 shown]
	s_cmp_gt_i32 s4, 9
	s_cbranch_scc0 .LBB9_479
; %bb.478:
	v_mov_b32_e32 v2, 0
	s_mov_b32 s3, 0
	s_delay_alu instid0(VALU_DEP_1)
	v_mov_b32_e32 v3, v2
	global_store_b128 v[4:5], v[0:3], off
.LBB9_479:
	s_and_not1_b32 vcc_lo, exec_lo, s3
	s_cbranch_vccnz .LBB9_481
; %bb.480:
	s_wait_xcnt 0x0
	v_cvt_f32_f64_e32 v2, v[0:1]
	v_mov_b32_e32 v3, 0
	global_store_b64 v[4:5], v[2:3], off
.LBB9_481:
	s_mov_b32 s3, 0
.LBB9_482:
	s_delay_alu instid0(SALU_CYCLE_1)
	s_and_not1_b32 vcc_lo, exec_lo, s3
	s_cbranch_vccnz .LBB9_484
; %bb.483:
	s_wait_xcnt 0x0
	v_and_or_b32 v2, 0x1ff, v1, v0
	v_lshrrev_b32_e32 v3, 8, v1
	v_bfe_u32 v6, v1, 20, 11
	s_delay_alu instid0(VALU_DEP_3) | instskip(NEXT) | instid1(VALU_DEP_2)
	v_cmp_ne_u32_e32 vcc_lo, 0, v2
	v_sub_nc_u32_e32 v7, 0x3f1, v6
	v_cndmask_b32_e64 v2, 0, 1, vcc_lo
	s_delay_alu instid0(VALU_DEP_1) | instskip(NEXT) | instid1(VALU_DEP_3)
	v_and_or_b32 v2, 0xffe, v3, v2
	v_med3_i32 v3, v7, 0, 13
	s_delay_alu instid0(VALU_DEP_2) | instskip(NEXT) | instid1(VALU_DEP_1)
	v_or_b32_e32 v7, 0x1000, v2
	v_lshrrev_b32_e32 v8, v3, v7
	s_delay_alu instid0(VALU_DEP_1) | instskip(NEXT) | instid1(VALU_DEP_1)
	v_lshlrev_b32_e32 v3, v3, v8
	v_cmp_ne_u32_e32 vcc_lo, v3, v7
	v_cndmask_b32_e64 v3, 0, 1, vcc_lo
	s_delay_alu instid0(VALU_DEP_1) | instskip(SKIP_1) | instid1(VALU_DEP_1)
	v_or_b32_e32 v3, v8, v3
	v_add_nc_u32_e32 v6, 0xfffffc10, v6
	v_lshl_or_b32 v7, v6, 12, v2
	v_cmp_gt_i32_e32 vcc_lo, 1, v6
	s_delay_alu instid0(VALU_DEP_2) | instskip(NEXT) | instid1(VALU_DEP_1)
	v_cndmask_b32_e32 v3, v7, v3, vcc_lo
	v_dual_lshrrev_b32 v3, 2, v3 :: v_dual_bitop2_b32 v7, 7, v3 bitop3:0x40
	s_delay_alu instid0(VALU_DEP_1) | instskip(SKIP_4) | instid1(VALU_DEP_2)
	v_cmp_lt_i32_e32 vcc_lo, 5, v7
	v_cndmask_b32_e64 v8, 0, 1, vcc_lo
	v_cmp_eq_u32_e32 vcc_lo, 3, v7
	v_cndmask_b32_e64 v7, 0, 1, vcc_lo
	v_cmp_ne_u32_e32 vcc_lo, 0, v2
	v_or_b32_e32 v7, v7, v8
	s_delay_alu instid0(VALU_DEP_1) | instskip(NEXT) | instid1(VALU_DEP_1)
	v_dual_mov_b32 v8, 0x7e00 :: v_dual_add_nc_u32 v3, v3, v7
	v_cndmask_b32_e32 v2, 0x7c00, v8, vcc_lo
	v_cmp_gt_i32_e32 vcc_lo, 31, v6
	v_lshrrev_b32_e32 v7, 16, v1
	s_delay_alu instid0(VALU_DEP_4) | instskip(SKIP_1) | instid1(VALU_DEP_2)
	v_cndmask_b32_e32 v3, 0x7c00, v3, vcc_lo
	v_cmp_eq_u32_e32 vcc_lo, 0x40f, v6
	v_cndmask_b32_e32 v2, v3, v2, vcc_lo
	s_delay_alu instid0(VALU_DEP_4) | instskip(NEXT) | instid1(VALU_DEP_1)
	v_and_b32_e32 v3, 0x8000, v7
	v_bitop3_b32 v2, v3, 0xffff, v2 bitop3:0xc8
	global_store_b32 v[4:5], v2, off
.LBB9_484:
	s_mov_b32 s3, 0
.LBB9_485:
	s_delay_alu instid0(SALU_CYCLE_1)
	s_and_not1_b32 vcc_lo, exec_lo, s3
	s_cbranch_vccnz .LBB9_494
; %bb.486:
	s_sext_i32_i16 s4, s1
	s_mov_b32 s3, -1
	s_cmp_lt_i32 s4, 6
	s_cbranch_scc1 .LBB9_492
; %bb.487:
	s_cmp_gt_i32 s4, 6
	s_cbranch_scc0 .LBB9_489
; %bb.488:
	s_mov_b32 s3, 0
	global_store_b64 v[4:5], v[0:1], off
.LBB9_489:
	s_and_not1_b32 vcc_lo, exec_lo, s3
	s_cbranch_vccnz .LBB9_491
; %bb.490:
	s_wait_xcnt 0x0
	v_cvt_f32_f64_e32 v2, v[0:1]
	global_store_b32 v[4:5], v2, off
.LBB9_491:
	s_mov_b32 s3, 0
.LBB9_492:
	s_delay_alu instid0(SALU_CYCLE_1)
	s_and_not1_b32 vcc_lo, exec_lo, s3
	s_cbranch_vccnz .LBB9_494
; %bb.493:
	s_wait_xcnt 0x0
	v_and_or_b32 v2, 0x1ff, v1, v0
	v_lshrrev_b32_e32 v3, 8, v1
	v_bfe_u32 v6, v1, 20, 11
	s_delay_alu instid0(VALU_DEP_3) | instskip(NEXT) | instid1(VALU_DEP_2)
	v_cmp_ne_u32_e32 vcc_lo, 0, v2
	v_sub_nc_u32_e32 v7, 0x3f1, v6
	v_cndmask_b32_e64 v2, 0, 1, vcc_lo
	s_delay_alu instid0(VALU_DEP_1) | instskip(NEXT) | instid1(VALU_DEP_3)
	v_and_or_b32 v2, 0xffe, v3, v2
	v_med3_i32 v3, v7, 0, 13
	s_delay_alu instid0(VALU_DEP_2) | instskip(NEXT) | instid1(VALU_DEP_1)
	v_or_b32_e32 v7, 0x1000, v2
	v_lshrrev_b32_e32 v8, v3, v7
	s_delay_alu instid0(VALU_DEP_1) | instskip(NEXT) | instid1(VALU_DEP_1)
	v_lshlrev_b32_e32 v3, v3, v8
	v_cmp_ne_u32_e32 vcc_lo, v3, v7
	v_cndmask_b32_e64 v3, 0, 1, vcc_lo
	s_delay_alu instid0(VALU_DEP_1) | instskip(SKIP_1) | instid1(VALU_DEP_1)
	v_or_b32_e32 v3, v8, v3
	v_add_nc_u32_e32 v6, 0xfffffc10, v6
	v_lshl_or_b32 v7, v6, 12, v2
	v_cmp_gt_i32_e32 vcc_lo, 1, v6
	s_delay_alu instid0(VALU_DEP_2) | instskip(NEXT) | instid1(VALU_DEP_1)
	v_cndmask_b32_e32 v3, v7, v3, vcc_lo
	v_dual_lshrrev_b32 v3, 2, v3 :: v_dual_bitop2_b32 v7, 7, v3 bitop3:0x40
	s_delay_alu instid0(VALU_DEP_1) | instskip(SKIP_4) | instid1(VALU_DEP_2)
	v_cmp_lt_i32_e32 vcc_lo, 5, v7
	v_cndmask_b32_e64 v8, 0, 1, vcc_lo
	v_cmp_eq_u32_e32 vcc_lo, 3, v7
	v_cndmask_b32_e64 v7, 0, 1, vcc_lo
	v_cmp_ne_u32_e32 vcc_lo, 0, v2
	v_or_b32_e32 v7, v7, v8
	s_delay_alu instid0(VALU_DEP_1) | instskip(NEXT) | instid1(VALU_DEP_1)
	v_dual_mov_b32 v8, 0x7e00 :: v_dual_add_nc_u32 v3, v3, v7
	v_cndmask_b32_e32 v2, 0x7c00, v8, vcc_lo
	v_cmp_gt_i32_e32 vcc_lo, 31, v6
	s_delay_alu instid0(VALU_DEP_3) | instskip(SKIP_1) | instid1(VALU_DEP_2)
	v_cndmask_b32_e32 v3, 0x7c00, v3, vcc_lo
	v_cmp_eq_u32_e32 vcc_lo, 0x40f, v6
	v_dual_cndmask_b32 v2, v3, v2 :: v_dual_lshrrev_b32 v3, 16, v1
	s_delay_alu instid0(VALU_DEP_1)
	v_and_or_b32 v2, 0x8000, v3, v2
	global_store_b16 v[4:5], v2, off
.LBB9_494:
	s_mov_b32 s3, 0
.LBB9_495:
	s_delay_alu instid0(SALU_CYCLE_1)
	s_and_not1_b32 vcc_lo, exec_lo, s3
	s_cbranch_vccnz .LBB9_511
; %bb.496:
	s_sext_i32_i16 s4, s1
	s_mov_b32 s3, -1
	s_cmp_lt_i32 s4, 2
	s_cbranch_scc1 .LBB9_506
; %bb.497:
	s_cmp_lt_i32 s4, 3
	s_cbranch_scc1 .LBB9_503
; %bb.498:
	s_cmp_gt_i32 s4, 3
	s_cbranch_scc0 .LBB9_500
; %bb.499:
	s_wait_xcnt 0x0
	v_trunc_f64_e32 v[2:3], v[0:1]
	s_mov_b32 s3, 0
	s_delay_alu instid0(VALU_DEP_1) | instskip(NEXT) | instid1(VALU_DEP_1)
	v_ldexp_f64 v[6:7], v[2:3], 0xffffffe0
	v_floor_f64_e32 v[6:7], v[6:7]
	s_delay_alu instid0(VALU_DEP_1) | instskip(SKIP_1) | instid1(VALU_DEP_2)
	v_fmamk_f64 v[2:3], v[6:7], 0xc1f00000, v[2:3]
	v_cvt_i32_f64_e32 v7, v[6:7]
	v_cvt_u32_f64_e32 v6, v[2:3]
	global_store_b64 v[4:5], v[6:7], off
.LBB9_500:
	s_and_not1_b32 vcc_lo, exec_lo, s3
	s_cbranch_vccnz .LBB9_502
; %bb.501:
	s_wait_xcnt 0x0
	v_cvt_i32_f64_e32 v2, v[0:1]
	global_store_b32 v[4:5], v2, off
.LBB9_502:
	s_mov_b32 s3, 0
.LBB9_503:
	s_delay_alu instid0(SALU_CYCLE_1)
	s_and_not1_b32 vcc_lo, exec_lo, s3
	s_cbranch_vccnz .LBB9_505
; %bb.504:
	s_wait_xcnt 0x0
	v_cvt_i32_f64_e32 v2, v[0:1]
	global_store_b16 v[4:5], v2, off
.LBB9_505:
	s_mov_b32 s3, 0
.LBB9_506:
	s_delay_alu instid0(SALU_CYCLE_1)
	s_and_not1_b32 vcc_lo, exec_lo, s3
	s_cbranch_vccnz .LBB9_511
; %bb.507:
	s_sext_i32_i16 s1, s1
	s_delay_alu instid0(SALU_CYCLE_1)
	s_cmp_gt_i32 s1, 0
	s_mov_b32 s1, -1
	s_cbranch_scc0 .LBB9_509
; %bb.508:
	s_wait_xcnt 0x0
	v_cvt_i32_f64_e32 v2, v[0:1]
	s_mov_b32 s1, 0
	global_store_b8 v[4:5], v2, off
.LBB9_509:
	s_and_not1_b32 vcc_lo, exec_lo, s1
	s_cbranch_vccnz .LBB9_511
; %bb.510:
	s_wait_xcnt 0x0
	v_trunc_f64_e32 v[0:1], v[0:1]
	s_delay_alu instid0(VALU_DEP_1) | instskip(NEXT) | instid1(VALU_DEP_1)
	v_ldexp_f64 v[2:3], v[0:1], 0xffffffe0
	v_floor_f64_e32 v[2:3], v[2:3]
	s_delay_alu instid0(VALU_DEP_1) | instskip(NEXT) | instid1(VALU_DEP_1)
	v_fmamk_f64 v[0:1], v[2:3], 0xc1f00000, v[0:1]
	v_cvt_u32_f64_e32 v0, v[0:1]
	global_store_b8 v[4:5], v0, off
.LBB9_511:
	s_wait_xcnt 0x0
	s_or_b32 exec_lo, exec_lo, s2
	s_delay_alu instid0(SALU_CYCLE_1)
	s_and_b32 s20, s0, exec_lo
                                        ; implicit-def: $vgpr46
                                        ; implicit-def: $vgpr47
                                        ; implicit-def: $vgpr56
.LBB9_512:
	s_or_saveexec_b32 s19, s19
	s_mov_b32 s0, 0
                                        ; implicit-def: $sgpr1
                                        ; implicit-def: $vgpr4_vgpr5
                                        ; implicit-def: $vgpr0_vgpr1
	s_xor_b32 exec_lo, exec_lo, s19
	s_cbranch_execz .LBB9_945
; %bb.513:
	v_dual_mov_b32 v1, s15 :: v_dual_add_nc_u32 v40, 0x80, v46
	v_dual_mov_b32 v0, s14 :: v_dual_add_nc_u32 v41, 0x100, v46
	v_dual_mov_b32 v2, s17 :: v_dual_mov_b32 v3, v47
	v_mov_b32_e32 v4, v46
	s_get_pc_i64 s[22:23]
	s_add_nc_u64 s[22:23], s[22:23], _ZN2at6native6invokeIZZZNS0_12_GLOBAL__N_121bessel_y1_kernel_cudaERNS_18TensorIteratorBaseEENKUlvE_clEvENKUlvE_clEvEUldE_i15function_traitsIS7_EEENT1_11result_typeERKT_PrKPcPKT0_PKN3c1010ScalarTypeEi@rel64+4
	s_delay_alu instid0(SALU_CYCLE_1)
	s_swap_pc_i64 s[30:31], s[22:23]
	v_dual_mov_b32 v44, v0 :: v_dual_mov_b32 v45, v1
	v_dual_mov_b32 v0, s14 :: v_dual_mov_b32 v1, s15
	;; [unrolled: 1-line block ×3, first 2 shown]
	v_mov_b32_e32 v4, v40
	s_swap_pc_i64 s[30:31], s[22:23]
	s_delay_alu instid0(VALU_DEP_3) | instskip(SKIP_4) | instid1(VALU_DEP_3)
	v_dual_mov_b32 v42, v0 :: v_dual_mov_b32 v43, v1
	v_dual_mov_b32 v0, s14 :: v_dual_mov_b32 v1, s15
	v_dual_mov_b32 v2, s17 :: v_dual_mov_b32 v3, v47
	v_mov_b32_e32 v4, v41
	s_swap_pc_i64 s[30:31], s[22:23]
	v_dual_mov_b32 v40, v0 :: v_dual_mov_b32 v41, v1
	v_dual_mov_b32 v0, s14 :: v_dual_mov_b32 v1, s15
	;; [unrolled: 1-line block ×3, first 2 shown]
	v_mov_b32_e32 v4, v56
	s_swap_pc_i64 s[30:31], s[22:23]
	v_mul_lo_u32 v2, s16, v46
	s_and_b32 s1, s11, 0xff
	s_delay_alu instid0(SALU_CYCLE_1) | instskip(NEXT) | instid1(VALU_DEP_1)
	s_cmp_lt_i32 s1, 11
	v_ashrrev_i32_e32 v3, 31, v2
	s_delay_alu instid0(VALU_DEP_1)
	v_add_nc_u64_e32 v[4:5], s[12:13], v[2:3]
	s_cbranch_scc1 .LBB9_592
; %bb.514:
	s_and_b32 s2, 0xffff, s1
	s_mov_b32 s5, -1
	s_mov_b32 s3, 0
	s_cmp_gt_i32 s2, 25
	s_mov_b32 s4, 0
	s_mov_b32 s0, 0
	s_cbranch_scc0 .LBB9_547
; %bb.515:
	s_cmp_gt_i32 s2, 28
	s_cbranch_scc0 .LBB9_530
; %bb.516:
	s_cmp_gt_i32 s2, 43
	;; [unrolled: 3-line block ×3, first 2 shown]
	s_cbranch_scc0 .LBB9_520
; %bb.518:
	s_mov_b32 s0, -1
	s_mov_b32 s5, 0
	s_cmp_eq_u32 s2, 46
	s_cbranch_scc0 .LBB9_520
; %bb.519:
	v_cvt_f32_f64_e32 v3, v[44:45]
	s_mov_b32 s0, 0
	s_mov_b32 s4, -1
	s_delay_alu instid0(VALU_DEP_1) | instskip(SKIP_1) | instid1(VALU_DEP_2)
	v_bfe_u32 v6, v3, 16, 1
	v_cmp_o_f32_e32 vcc_lo, v3, v3
	v_add3_u32 v6, v3, v6, 0x7fff
	s_delay_alu instid0(VALU_DEP_1) | instskip(NEXT) | instid1(VALU_DEP_1)
	v_lshrrev_b32_e32 v6, 16, v6
	v_cndmask_b32_e32 v3, 0x7fc0, v6, vcc_lo
	global_store_b32 v[4:5], v3, off
.LBB9_520:
	s_and_b32 vcc_lo, exec_lo, s5
	s_cbranch_vccz .LBB9_525
; %bb.521:
	s_cmp_eq_u32 s2, 44
	s_mov_b32 s0, -1
	s_cbranch_scc0 .LBB9_525
; %bb.522:
	s_wait_xcnt 0x0
	v_cvt_f32_f64_e32 v3, v[44:45]
	v_mov_b32_e32 v6, 0xff
	s_mov_b32 s4, exec_lo
	s_delay_alu instid0(VALU_DEP_2) | instskip(NEXT) | instid1(VALU_DEP_1)
	v_bfe_u32 v7, v3, 23, 8
	v_cmpx_ne_u32_e32 0xff, v7
	s_cbranch_execz .LBB9_524
; %bb.523:
	v_and_b32_e32 v6, 0x400000, v3
	v_and_or_b32 v7, 0x3fffff, v3, v7
	v_lshrrev_b32_e32 v3, 23, v3
	s_delay_alu instid0(VALU_DEP_3) | instskip(NEXT) | instid1(VALU_DEP_3)
	v_cmp_ne_u32_e32 vcc_lo, 0, v6
	v_cmp_ne_u32_e64 s0, 0, v7
	s_and_b32 s0, vcc_lo, s0
	s_delay_alu instid0(SALU_CYCLE_1) | instskip(NEXT) | instid1(VALU_DEP_1)
	v_cndmask_b32_e64 v6, 0, 1, s0
	v_add_nc_u32_e32 v6, v3, v6
.LBB9_524:
	s_or_b32 exec_lo, exec_lo, s4
	s_mov_b32 s0, 0
	s_mov_b32 s4, -1
	global_store_b8 v[4:5], v6, off
.LBB9_525:
	s_mov_b32 s5, 0
.LBB9_526:
	s_delay_alu instid0(SALU_CYCLE_1)
	s_and_b32 vcc_lo, exec_lo, s5
	s_cbranch_vccz .LBB9_529
; %bb.527:
	s_cmp_eq_u32 s2, 29
	s_mov_b32 s0, -1
	s_cbranch_scc0 .LBB9_529
; %bb.528:
	s_wait_xcnt 0x0
	v_trunc_f64_e32 v[6:7], v[44:45]
	s_mov_b32 s0, 0
	s_mov_b32 s4, -1
	s_delay_alu instid0(VALU_DEP_1) | instskip(NEXT) | instid1(VALU_DEP_1)
	v_ldexp_f64 v[8:9], v[6:7], 0xffffffe0
	v_floor_f64_e32 v[8:9], v[8:9]
	s_delay_alu instid0(VALU_DEP_1) | instskip(SKIP_1) | instid1(VALU_DEP_2)
	v_fmamk_f64 v[6:7], v[8:9], 0xc1f00000, v[6:7]
	v_cvt_u32_f64_e32 v9, v[8:9]
	v_cvt_u32_f64_e32 v8, v[6:7]
	global_store_b64 v[4:5], v[8:9], off
.LBB9_529:
	s_mov_b32 s5, 0
.LBB9_530:
	s_delay_alu instid0(SALU_CYCLE_1)
	s_and_b32 vcc_lo, exec_lo, s5
	s_cbranch_vccz .LBB9_546
; %bb.531:
	s_cmp_lt_i32 s2, 27
	s_mov_b32 s4, -1
	s_cbranch_scc1 .LBB9_537
; %bb.532:
	s_wait_xcnt 0x0
	v_cvt_u32_f64_e32 v3, v[44:45]
	s_cmp_gt_i32 s2, 27
	s_cbranch_scc0 .LBB9_534
; %bb.533:
	s_mov_b32 s4, 0
	global_store_b32 v[4:5], v3, off
.LBB9_534:
	s_and_not1_b32 vcc_lo, exec_lo, s4
	s_cbranch_vccnz .LBB9_536
; %bb.535:
	global_store_b16 v[4:5], v3, off
.LBB9_536:
	s_mov_b32 s4, 0
.LBB9_537:
	s_delay_alu instid0(SALU_CYCLE_1)
	s_and_not1_b32 vcc_lo, exec_lo, s4
	s_cbranch_vccnz .LBB9_545
; %bb.538:
	s_wait_xcnt 0x0
	v_cvt_f32_f64_e32 v3, v[44:45]
	v_mov_b32_e32 v7, 0x80
	s_mov_b32 s4, exec_lo
	s_delay_alu instid0(VALU_DEP_2) | instskip(NEXT) | instid1(VALU_DEP_1)
	v_and_b32_e32 v6, 0x7fffffff, v3
	v_cmpx_gt_u32_e32 0x43800000, v6
	s_cbranch_execz .LBB9_544
; %bb.539:
	v_cmp_lt_u32_e32 vcc_lo, 0x3bffffff, v6
	s_mov_b32 s5, 0
                                        ; implicit-def: $vgpr6
	s_and_saveexec_b32 s6, vcc_lo
	s_delay_alu instid0(SALU_CYCLE_1)
	s_xor_b32 s6, exec_lo, s6
	s_cbranch_execz .LBB9_989
; %bb.540:
	v_bfe_u32 v6, v3, 20, 1
	s_mov_b32 s5, exec_lo
	s_delay_alu instid0(VALU_DEP_1) | instskip(NEXT) | instid1(VALU_DEP_1)
	v_add3_u32 v6, v3, v6, 0x487ffff
	v_lshrrev_b32_e32 v6, 20, v6
	s_and_not1_saveexec_b32 s6, s6
	s_cbranch_execnz .LBB9_990
.LBB9_541:
	s_or_b32 exec_lo, exec_lo, s6
	v_mov_b32_e32 v7, 0
	s_and_saveexec_b32 s6, s5
.LBB9_542:
	v_lshrrev_b32_e32 v3, 24, v3
	s_delay_alu instid0(VALU_DEP_1)
	v_and_or_b32 v7, 0x80, v3, v6
.LBB9_543:
	s_or_b32 exec_lo, exec_lo, s6
.LBB9_544:
	s_delay_alu instid0(SALU_CYCLE_1)
	s_or_b32 exec_lo, exec_lo, s4
	global_store_b8 v[4:5], v7, off
.LBB9_545:
	s_mov_b32 s4, -1
.LBB9_546:
	s_mov_b32 s5, 0
.LBB9_547:
	s_delay_alu instid0(SALU_CYCLE_1)
	s_and_b32 vcc_lo, exec_lo, s5
	s_cbranch_vccz .LBB9_587
; %bb.548:
	s_cmp_gt_i32 s2, 22
	s_mov_b32 s3, -1
	s_cbranch_scc0 .LBB9_580
; %bb.549:
	s_cmp_lt_i32 s2, 24
	s_cbranch_scc1 .LBB9_569
; %bb.550:
	s_cmp_gt_i32 s2, 24
	s_cbranch_scc0 .LBB9_558
; %bb.551:
	s_wait_xcnt 0x0
	v_cvt_f32_f64_e32 v3, v[44:45]
	v_mov_b32_e32 v7, 0x80
	s_mov_b32 s3, exec_lo
	s_delay_alu instid0(VALU_DEP_2) | instskip(NEXT) | instid1(VALU_DEP_1)
	v_and_b32_e32 v6, 0x7fffffff, v3
	v_cmpx_gt_u32_e32 0x47800000, v6
	s_cbranch_execz .LBB9_557
; %bb.552:
	v_cmp_lt_u32_e32 vcc_lo, 0x37ffffff, v6
	s_mov_b32 s4, 0
                                        ; implicit-def: $vgpr6
	s_and_saveexec_b32 s5, vcc_lo
	s_delay_alu instid0(SALU_CYCLE_1)
	s_xor_b32 s5, exec_lo, s5
	s_cbranch_execz .LBB9_992
; %bb.553:
	v_bfe_u32 v6, v3, 21, 1
	s_mov_b32 s4, exec_lo
	s_delay_alu instid0(VALU_DEP_1) | instskip(NEXT) | instid1(VALU_DEP_1)
	v_add3_u32 v6, v3, v6, 0x88fffff
	v_lshrrev_b32_e32 v6, 21, v6
	s_and_not1_saveexec_b32 s5, s5
	s_cbranch_execnz .LBB9_993
.LBB9_554:
	s_or_b32 exec_lo, exec_lo, s5
	v_mov_b32_e32 v7, 0
	s_and_saveexec_b32 s5, s4
.LBB9_555:
	v_lshrrev_b32_e32 v3, 24, v3
	s_delay_alu instid0(VALU_DEP_1)
	v_and_or_b32 v7, 0x80, v3, v6
.LBB9_556:
	s_or_b32 exec_lo, exec_lo, s5
.LBB9_557:
	s_delay_alu instid0(SALU_CYCLE_1)
	s_or_b32 exec_lo, exec_lo, s3
	s_mov_b32 s3, 0
	global_store_b8 v[4:5], v7, off
.LBB9_558:
	s_and_b32 vcc_lo, exec_lo, s3
	s_cbranch_vccz .LBB9_568
; %bb.559:
	s_wait_xcnt 0x0
	v_cvt_f32_f64_e32 v3, v[44:45]
	s_mov_b32 s3, exec_lo
                                        ; implicit-def: $vgpr6
	s_delay_alu instid0(VALU_DEP_1) | instskip(NEXT) | instid1(VALU_DEP_1)
	v_and_b32_e32 v7, 0x7fffffff, v3
	v_cmpx_gt_u32_e32 0x43f00000, v7
	s_xor_b32 s3, exec_lo, s3
	s_cbranch_execz .LBB9_565
; %bb.560:
	s_mov_b32 s4, exec_lo
                                        ; implicit-def: $vgpr6
	v_cmpx_lt_u32_e32 0x3c7fffff, v7
	s_xor_b32 s4, exec_lo, s4
; %bb.561:
	v_bfe_u32 v6, v3, 20, 1
	s_delay_alu instid0(VALU_DEP_1) | instskip(NEXT) | instid1(VALU_DEP_1)
	v_add3_u32 v6, v3, v6, 0x407ffff
	v_and_b32_e32 v7, 0xff00000, v6
	v_lshrrev_b32_e32 v6, 20, v6
	s_delay_alu instid0(VALU_DEP_2) | instskip(NEXT) | instid1(VALU_DEP_2)
	v_cmp_ne_u32_e32 vcc_lo, 0x7f00000, v7
	v_cndmask_b32_e32 v6, 0x7e, v6, vcc_lo
; %bb.562:
	s_and_not1_saveexec_b32 s4, s4
; %bb.563:
	v_add_f32_e64 v6, 0x46800000, |v3|
; %bb.564:
	s_or_b32 exec_lo, exec_lo, s4
                                        ; implicit-def: $vgpr7
.LBB9_565:
	s_and_not1_saveexec_b32 s3, s3
; %bb.566:
	v_mov_b32_e32 v6, 0x7f
	v_cmp_lt_u32_e32 vcc_lo, 0x7f800000, v7
	s_delay_alu instid0(VALU_DEP_2)
	v_cndmask_b32_e32 v6, 0x7e, v6, vcc_lo
; %bb.567:
	s_or_b32 exec_lo, exec_lo, s3
	v_lshrrev_b32_e32 v3, 24, v3
	s_delay_alu instid0(VALU_DEP_1)
	v_and_or_b32 v3, 0x80, v3, v6
	global_store_b8 v[4:5], v3, off
.LBB9_568:
	s_mov_b32 s3, 0
.LBB9_569:
	s_delay_alu instid0(SALU_CYCLE_1)
	s_and_not1_b32 vcc_lo, exec_lo, s3
	s_cbranch_vccnz .LBB9_579
; %bb.570:
	s_wait_xcnt 0x0
	v_cvt_f32_f64_e32 v3, v[44:45]
	s_mov_b32 s3, exec_lo
                                        ; implicit-def: $vgpr6
	s_delay_alu instid0(VALU_DEP_1) | instskip(NEXT) | instid1(VALU_DEP_1)
	v_and_b32_e32 v7, 0x7fffffff, v3
	v_cmpx_gt_u32_e32 0x47800000, v7
	s_xor_b32 s3, exec_lo, s3
	s_cbranch_execz .LBB9_576
; %bb.571:
	s_mov_b32 s4, exec_lo
                                        ; implicit-def: $vgpr6
	v_cmpx_lt_u32_e32 0x387fffff, v7
	s_xor_b32 s4, exec_lo, s4
; %bb.572:
	v_bfe_u32 v6, v3, 21, 1
	s_delay_alu instid0(VALU_DEP_1) | instskip(NEXT) | instid1(VALU_DEP_1)
	v_add3_u32 v6, v3, v6, 0x80fffff
	v_lshrrev_b32_e32 v6, 21, v6
; %bb.573:
	s_and_not1_saveexec_b32 s4, s4
; %bb.574:
	v_add_f32_e64 v6, 0x43000000, |v3|
; %bb.575:
	s_or_b32 exec_lo, exec_lo, s4
                                        ; implicit-def: $vgpr7
.LBB9_576:
	s_and_not1_saveexec_b32 s3, s3
; %bb.577:
	v_mov_b32_e32 v6, 0x7f
	v_cmp_lt_u32_e32 vcc_lo, 0x7f800000, v7
	s_delay_alu instid0(VALU_DEP_2)
	v_cndmask_b32_e32 v6, 0x7c, v6, vcc_lo
; %bb.578:
	s_or_b32 exec_lo, exec_lo, s3
	v_lshrrev_b32_e32 v3, 24, v3
	s_delay_alu instid0(VALU_DEP_1)
	v_and_or_b32 v3, 0x80, v3, v6
	global_store_b8 v[4:5], v3, off
.LBB9_579:
	s_mov_b32 s3, 0
	s_mov_b32 s4, -1
.LBB9_580:
	s_and_not1_b32 vcc_lo, exec_lo, s3
	s_mov_b32 s3, 0
	s_cbranch_vccnz .LBB9_587
; %bb.581:
	s_cmp_gt_i32 s2, 14
	s_mov_b32 s3, -1
	s_cbranch_scc0 .LBB9_585
; %bb.582:
	s_cmp_eq_u32 s2, 15
	s_mov_b32 s0, -1
	s_cbranch_scc0 .LBB9_584
; %bb.583:
	s_wait_xcnt 0x0
	v_cvt_f32_f64_e32 v3, v[44:45]
	s_mov_b32 s0, 0
	s_mov_b32 s4, -1
	s_delay_alu instid0(VALU_DEP_1) | instskip(SKIP_1) | instid1(VALU_DEP_2)
	v_bfe_u32 v6, v3, 16, 1
	v_cmp_o_f32_e32 vcc_lo, v3, v3
	v_add3_u32 v6, v3, v6, 0x7fff
	s_delay_alu instid0(VALU_DEP_1) | instskip(NEXT) | instid1(VALU_DEP_1)
	v_lshrrev_b32_e32 v6, 16, v6
	v_cndmask_b32_e32 v3, 0x7fc0, v6, vcc_lo
	global_store_b16 v[4:5], v3, off
.LBB9_584:
	s_mov_b32 s3, 0
.LBB9_585:
	s_delay_alu instid0(SALU_CYCLE_1)
	s_and_b32 vcc_lo, exec_lo, s3
	s_mov_b32 s3, 0
	s_cbranch_vccz .LBB9_587
; %bb.586:
	s_cmp_lg_u32 s2, 11
	s_mov_b32 s3, -1
	s_cselect_b32 s0, -1, 0
.LBB9_587:
	s_delay_alu instid0(SALU_CYCLE_1)
	s_and_b32 vcc_lo, exec_lo, s0
	s_mov_b32 s2, s20
	s_cbranch_vccnz .LBB9_991
; %bb.588:
	s_and_not1_b32 vcc_lo, exec_lo, s3
	s_cbranch_vccnz .LBB9_590
.LBB9_589:
	v_cmp_neq_f64_e32 vcc_lo, 0, v[44:45]
	s_mov_b32 s4, -1
	s_wait_xcnt 0x0
	v_cndmask_b32_e64 v3, 0, 1, vcc_lo
	global_store_b8 v[4:5], v3, off
.LBB9_590:
.LBB9_591:
	s_and_not1_b32 vcc_lo, exec_lo, s4
	s_cbranch_vccz .LBB9_631
	s_branch .LBB9_943
.LBB9_592:
	s_mov_b32 s4, 0
	s_mov_b32 s2, s20
	s_cbranch_execz .LBB9_591
; %bb.593:
	s_and_b32 s0, 0xffff, s1
	s_mov_b32 s3, -1
	s_cmp_lt_i32 s0, 5
	s_cbranch_scc1 .LBB9_614
; %bb.594:
	s_cmp_lt_i32 s0, 8
	s_cbranch_scc1 .LBB9_604
; %bb.595:
	;; [unrolled: 3-line block ×3, first 2 shown]
	s_cmp_gt_i32 s0, 9
	s_cbranch_scc0 .LBB9_598
; %bb.597:
	v_mov_b32_e32 v46, 0
	s_mov_b32 s3, 0
	s_delay_alu instid0(VALU_DEP_1)
	v_mov_b32_e32 v47, v46
	global_store_b128 v[4:5], v[44:47], off
.LBB9_598:
	s_and_not1_b32 vcc_lo, exec_lo, s3
	s_cbranch_vccnz .LBB9_600
; %bb.599:
	s_wait_xcnt 0x0
	v_cvt_f32_f64_e32 v6, v[44:45]
	v_mov_b32_e32 v7, 0
	global_store_b64 v[4:5], v[6:7], off
.LBB9_600:
	s_mov_b32 s3, 0
.LBB9_601:
	s_delay_alu instid0(SALU_CYCLE_1)
	s_and_not1_b32 vcc_lo, exec_lo, s3
	s_cbranch_vccnz .LBB9_603
; %bb.602:
	s_wait_xcnt 0x0
	v_and_or_b32 v3, 0x1ff, v45, v44
	v_lshrrev_b32_e32 v6, 8, v45
	v_bfe_u32 v7, v45, 20, 11
	s_delay_alu instid0(VALU_DEP_3) | instskip(NEXT) | instid1(VALU_DEP_2)
	v_cmp_ne_u32_e32 vcc_lo, 0, v3
	v_sub_nc_u32_e32 v8, 0x3f1, v7
	v_add_nc_u32_e32 v7, 0xfffffc10, v7
	v_cndmask_b32_e64 v3, 0, 1, vcc_lo
	s_delay_alu instid0(VALU_DEP_1) | instskip(NEXT) | instid1(VALU_DEP_4)
	v_and_or_b32 v3, 0xffe, v6, v3
	v_med3_i32 v6, v8, 0, 13
	s_delay_alu instid0(VALU_DEP_2) | instskip(NEXT) | instid1(VALU_DEP_1)
	v_or_b32_e32 v8, 0x1000, v3
	v_lshrrev_b32_e32 v9, v6, v8
	s_delay_alu instid0(VALU_DEP_1) | instskip(NEXT) | instid1(VALU_DEP_1)
	v_lshlrev_b32_e32 v6, v6, v9
	v_cmp_ne_u32_e32 vcc_lo, v6, v8
	v_lshl_or_b32 v8, v7, 12, v3
	v_cndmask_b32_e64 v6, 0, 1, vcc_lo
	v_cmp_gt_i32_e32 vcc_lo, 1, v7
	s_delay_alu instid0(VALU_DEP_2) | instskip(NEXT) | instid1(VALU_DEP_1)
	v_or_b32_e32 v6, v9, v6
	v_cndmask_b32_e32 v6, v8, v6, vcc_lo
	s_delay_alu instid0(VALU_DEP_1) | instskip(NEXT) | instid1(VALU_DEP_1)
	v_dual_lshrrev_b32 v6, 2, v6 :: v_dual_bitop2_b32 v8, 7, v6 bitop3:0x40
	v_cmp_lt_i32_e32 vcc_lo, 5, v8
	v_cndmask_b32_e64 v9, 0, 1, vcc_lo
	v_cmp_eq_u32_e32 vcc_lo, 3, v8
	v_cndmask_b32_e64 v8, 0, 1, vcc_lo
	v_cmp_ne_u32_e32 vcc_lo, 0, v3
	s_delay_alu instid0(VALU_DEP_2) | instskip(NEXT) | instid1(VALU_DEP_1)
	v_or_b32_e32 v8, v8, v9
	v_dual_mov_b32 v9, 0x7e00 :: v_dual_add_nc_u32 v6, v6, v8
	s_delay_alu instid0(VALU_DEP_1) | instskip(SKIP_2) | instid1(VALU_DEP_4)
	v_cndmask_b32_e32 v3, 0x7c00, v9, vcc_lo
	v_cmp_gt_i32_e32 vcc_lo, 31, v7
	v_lshrrev_b32_e32 v8, 16, v45
	v_cndmask_b32_e32 v6, 0x7c00, v6, vcc_lo
	v_cmp_eq_u32_e32 vcc_lo, 0x40f, v7
	s_delay_alu instid0(VALU_DEP_2) | instskip(NEXT) | instid1(VALU_DEP_4)
	v_cndmask_b32_e32 v3, v6, v3, vcc_lo
	v_and_b32_e32 v6, 0x8000, v8
	s_delay_alu instid0(VALU_DEP_1)
	v_bitop3_b32 v3, v6, 0xffff, v3 bitop3:0xc8
	global_store_b32 v[4:5], v3, off
.LBB9_603:
	s_mov_b32 s3, 0
.LBB9_604:
	s_delay_alu instid0(SALU_CYCLE_1)
	s_and_not1_b32 vcc_lo, exec_lo, s3
	s_cbranch_vccnz .LBB9_613
; %bb.605:
	s_cmp_lt_i32 s0, 6
	s_mov_b32 s3, -1
	s_cbranch_scc1 .LBB9_611
; %bb.606:
	s_cmp_gt_i32 s0, 6
	s_cbranch_scc0 .LBB9_608
; %bb.607:
	s_mov_b32 s3, 0
	global_store_b64 v[4:5], v[44:45], off
.LBB9_608:
	s_and_not1_b32 vcc_lo, exec_lo, s3
	s_cbranch_vccnz .LBB9_610
; %bb.609:
	s_wait_xcnt 0x0
	v_cvt_f32_f64_e32 v3, v[44:45]
	global_store_b32 v[4:5], v3, off
.LBB9_610:
	s_mov_b32 s3, 0
.LBB9_611:
	s_delay_alu instid0(SALU_CYCLE_1)
	s_and_not1_b32 vcc_lo, exec_lo, s3
	s_cbranch_vccnz .LBB9_613
; %bb.612:
	s_wait_xcnt 0x0
	v_and_or_b32 v3, 0x1ff, v45, v44
	v_lshrrev_b32_e32 v6, 8, v45
	v_bfe_u32 v7, v45, 20, 11
	s_delay_alu instid0(VALU_DEP_3) | instskip(NEXT) | instid1(VALU_DEP_2)
	v_cmp_ne_u32_e32 vcc_lo, 0, v3
	v_sub_nc_u32_e32 v8, 0x3f1, v7
	v_add_nc_u32_e32 v7, 0xfffffc10, v7
	v_cndmask_b32_e64 v3, 0, 1, vcc_lo
	s_delay_alu instid0(VALU_DEP_1) | instskip(NEXT) | instid1(VALU_DEP_4)
	v_and_or_b32 v3, 0xffe, v6, v3
	v_med3_i32 v6, v8, 0, 13
	s_delay_alu instid0(VALU_DEP_2) | instskip(NEXT) | instid1(VALU_DEP_1)
	v_or_b32_e32 v8, 0x1000, v3
	v_lshrrev_b32_e32 v9, v6, v8
	s_delay_alu instid0(VALU_DEP_1) | instskip(NEXT) | instid1(VALU_DEP_1)
	v_lshlrev_b32_e32 v6, v6, v9
	v_cmp_ne_u32_e32 vcc_lo, v6, v8
	v_lshl_or_b32 v8, v7, 12, v3
	v_cndmask_b32_e64 v6, 0, 1, vcc_lo
	v_cmp_gt_i32_e32 vcc_lo, 1, v7
	s_delay_alu instid0(VALU_DEP_2) | instskip(NEXT) | instid1(VALU_DEP_1)
	v_or_b32_e32 v6, v9, v6
	v_cndmask_b32_e32 v6, v8, v6, vcc_lo
	s_delay_alu instid0(VALU_DEP_1) | instskip(NEXT) | instid1(VALU_DEP_1)
	v_dual_lshrrev_b32 v6, 2, v6 :: v_dual_bitop2_b32 v8, 7, v6 bitop3:0x40
	v_cmp_lt_i32_e32 vcc_lo, 5, v8
	v_cndmask_b32_e64 v9, 0, 1, vcc_lo
	v_cmp_eq_u32_e32 vcc_lo, 3, v8
	v_cndmask_b32_e64 v8, 0, 1, vcc_lo
	v_cmp_ne_u32_e32 vcc_lo, 0, v3
	s_delay_alu instid0(VALU_DEP_2) | instskip(NEXT) | instid1(VALU_DEP_1)
	v_or_b32_e32 v8, v8, v9
	v_dual_mov_b32 v9, 0x7e00 :: v_dual_add_nc_u32 v6, v6, v8
	s_delay_alu instid0(VALU_DEP_1) | instskip(SKIP_1) | instid1(VALU_DEP_3)
	v_cndmask_b32_e32 v3, 0x7c00, v9, vcc_lo
	v_cmp_gt_i32_e32 vcc_lo, 31, v7
	v_cndmask_b32_e32 v6, 0x7c00, v6, vcc_lo
	v_cmp_eq_u32_e32 vcc_lo, 0x40f, v7
	s_delay_alu instid0(VALU_DEP_2) | instskip(NEXT) | instid1(VALU_DEP_1)
	v_dual_cndmask_b32 v3, v6, v3 :: v_dual_lshrrev_b32 v6, 16, v45
	v_and_or_b32 v3, 0x8000, v6, v3
	global_store_b16 v[4:5], v3, off
.LBB9_613:
	s_mov_b32 s3, 0
.LBB9_614:
	s_delay_alu instid0(SALU_CYCLE_1)
	s_and_not1_b32 vcc_lo, exec_lo, s3
	s_cbranch_vccnz .LBB9_630
; %bb.615:
	s_cmp_lt_i32 s0, 2
	s_mov_b32 s3, -1
	s_cbranch_scc1 .LBB9_625
; %bb.616:
	s_cmp_lt_i32 s0, 3
	s_cbranch_scc1 .LBB9_622
; %bb.617:
	s_cmp_gt_i32 s0, 3
	s_cbranch_scc0 .LBB9_619
; %bb.618:
	s_wait_xcnt 0x0
	v_trunc_f64_e32 v[6:7], v[44:45]
	s_mov_b32 s3, 0
	s_delay_alu instid0(VALU_DEP_1) | instskip(NEXT) | instid1(VALU_DEP_1)
	v_ldexp_f64 v[8:9], v[6:7], 0xffffffe0
	v_floor_f64_e32 v[8:9], v[8:9]
	s_delay_alu instid0(VALU_DEP_1) | instskip(SKIP_1) | instid1(VALU_DEP_2)
	v_fmamk_f64 v[6:7], v[8:9], 0xc1f00000, v[6:7]
	v_cvt_i32_f64_e32 v9, v[8:9]
	v_cvt_u32_f64_e32 v8, v[6:7]
	global_store_b64 v[4:5], v[8:9], off
.LBB9_619:
	s_and_not1_b32 vcc_lo, exec_lo, s3
	s_cbranch_vccnz .LBB9_621
; %bb.620:
	s_wait_xcnt 0x0
	v_cvt_i32_f64_e32 v3, v[44:45]
	global_store_b32 v[4:5], v3, off
.LBB9_621:
	s_mov_b32 s3, 0
.LBB9_622:
	s_delay_alu instid0(SALU_CYCLE_1)
	s_and_not1_b32 vcc_lo, exec_lo, s3
	s_cbranch_vccnz .LBB9_624
; %bb.623:
	s_wait_xcnt 0x0
	v_cvt_i32_f64_e32 v3, v[44:45]
	global_store_b16 v[4:5], v3, off
.LBB9_624:
	s_mov_b32 s3, 0
.LBB9_625:
	s_delay_alu instid0(SALU_CYCLE_1)
	s_and_not1_b32 vcc_lo, exec_lo, s3
	s_cbranch_vccnz .LBB9_630
; %bb.626:
	s_cmp_gt_i32 s0, 0
	s_mov_b32 s0, -1
	s_cbranch_scc0 .LBB9_628
; %bb.627:
	s_wait_xcnt 0x0
	v_cvt_i32_f64_e32 v3, v[44:45]
	s_mov_b32 s0, 0
	global_store_b8 v[4:5], v3, off
.LBB9_628:
	s_and_not1_b32 vcc_lo, exec_lo, s0
	s_cbranch_vccnz .LBB9_630
; %bb.629:
	s_wait_xcnt 0x0
	v_trunc_f64_e32 v[6:7], v[44:45]
	s_delay_alu instid0(VALU_DEP_1) | instskip(NEXT) | instid1(VALU_DEP_1)
	v_ldexp_f64 v[8:9], v[6:7], 0xffffffe0
	v_floor_f64_e32 v[8:9], v[8:9]
	s_delay_alu instid0(VALU_DEP_1) | instskip(NEXT) | instid1(VALU_DEP_1)
	v_fmamk_f64 v[6:7], v[8:9], 0xc1f00000, v[6:7]
	v_cvt_u32_f64_e32 v3, v[6:7]
	global_store_b8 v[4:5], v3, off
.LBB9_630:
.LBB9_631:
	s_lshl_b32 s3, s16, 7
	s_cmp_lt_i32 s1, 11
	v_add_nc_u32_e32 v2, s3, v2
	s_wait_xcnt 0x0
	s_delay_alu instid0(VALU_DEP_1) | instskip(NEXT) | instid1(VALU_DEP_1)
	v_ashrrev_i32_e32 v3, 31, v2
	v_add_nc_u64_e32 v[4:5], s[12:13], v[2:3]
	s_cbranch_scc1 .LBB9_710
; %bb.632:
	s_and_b32 s4, 0xffff, s1
	s_mov_b32 s7, -1
	s_mov_b32 s5, 0
	s_cmp_gt_i32 s4, 25
	s_mov_b32 s6, 0
	s_mov_b32 s0, 0
	s_cbranch_scc0 .LBB9_665
; %bb.633:
	s_cmp_gt_i32 s4, 28
	s_cbranch_scc0 .LBB9_648
; %bb.634:
	s_cmp_gt_i32 s4, 43
	;; [unrolled: 3-line block ×3, first 2 shown]
	s_cbranch_scc0 .LBB9_638
; %bb.636:
	s_mov_b32 s0, -1
	s_mov_b32 s7, 0
	s_cmp_eq_u32 s4, 46
	s_cbranch_scc0 .LBB9_638
; %bb.637:
	v_cvt_f32_f64_e32 v3, v[42:43]
	s_mov_b32 s0, 0
	s_mov_b32 s6, -1
	s_delay_alu instid0(VALU_DEP_1) | instskip(SKIP_1) | instid1(VALU_DEP_2)
	v_bfe_u32 v6, v3, 16, 1
	v_cmp_o_f32_e32 vcc_lo, v3, v3
	v_add3_u32 v6, v3, v6, 0x7fff
	s_delay_alu instid0(VALU_DEP_1) | instskip(NEXT) | instid1(VALU_DEP_1)
	v_lshrrev_b32_e32 v6, 16, v6
	v_cndmask_b32_e32 v3, 0x7fc0, v6, vcc_lo
	global_store_b32 v[4:5], v3, off
.LBB9_638:
	s_and_b32 vcc_lo, exec_lo, s7
	s_cbranch_vccz .LBB9_643
; %bb.639:
	s_cmp_eq_u32 s4, 44
	s_mov_b32 s0, -1
	s_cbranch_scc0 .LBB9_643
; %bb.640:
	s_wait_xcnt 0x0
	v_cvt_f32_f64_e32 v3, v[42:43]
	v_mov_b32_e32 v6, 0xff
	s_mov_b32 s6, exec_lo
	s_delay_alu instid0(VALU_DEP_2) | instskip(NEXT) | instid1(VALU_DEP_1)
	v_bfe_u32 v7, v3, 23, 8
	v_cmpx_ne_u32_e32 0xff, v7
	s_cbranch_execz .LBB9_642
; %bb.641:
	v_and_b32_e32 v6, 0x400000, v3
	v_and_or_b32 v7, 0x3fffff, v3, v7
	v_lshrrev_b32_e32 v3, 23, v3
	s_delay_alu instid0(VALU_DEP_3) | instskip(NEXT) | instid1(VALU_DEP_3)
	v_cmp_ne_u32_e32 vcc_lo, 0, v6
	v_cmp_ne_u32_e64 s0, 0, v7
	s_and_b32 s0, vcc_lo, s0
	s_delay_alu instid0(SALU_CYCLE_1) | instskip(NEXT) | instid1(VALU_DEP_1)
	v_cndmask_b32_e64 v6, 0, 1, s0
	v_add_nc_u32_e32 v6, v3, v6
.LBB9_642:
	s_or_b32 exec_lo, exec_lo, s6
	s_mov_b32 s0, 0
	s_mov_b32 s6, -1
	global_store_b8 v[4:5], v6, off
.LBB9_643:
	s_mov_b32 s7, 0
.LBB9_644:
	s_delay_alu instid0(SALU_CYCLE_1)
	s_and_b32 vcc_lo, exec_lo, s7
	s_cbranch_vccz .LBB9_647
; %bb.645:
	s_cmp_eq_u32 s4, 29
	s_mov_b32 s0, -1
	s_cbranch_scc0 .LBB9_647
; %bb.646:
	s_wait_xcnt 0x0
	v_trunc_f64_e32 v[6:7], v[42:43]
	s_mov_b32 s0, 0
	s_mov_b32 s6, -1
	s_delay_alu instid0(VALU_DEP_1) | instskip(NEXT) | instid1(VALU_DEP_1)
	v_ldexp_f64 v[8:9], v[6:7], 0xffffffe0
	v_floor_f64_e32 v[8:9], v[8:9]
	s_delay_alu instid0(VALU_DEP_1) | instskip(SKIP_1) | instid1(VALU_DEP_2)
	v_fmamk_f64 v[6:7], v[8:9], 0xc1f00000, v[6:7]
	v_cvt_u32_f64_e32 v9, v[8:9]
	v_cvt_u32_f64_e32 v8, v[6:7]
	global_store_b64 v[4:5], v[8:9], off
.LBB9_647:
	s_mov_b32 s7, 0
.LBB9_648:
	s_delay_alu instid0(SALU_CYCLE_1)
	s_and_b32 vcc_lo, exec_lo, s7
	s_cbranch_vccz .LBB9_664
; %bb.649:
	s_cmp_lt_i32 s4, 27
	s_mov_b32 s6, -1
	s_cbranch_scc1 .LBB9_655
; %bb.650:
	s_wait_xcnt 0x0
	v_cvt_u32_f64_e32 v3, v[42:43]
	s_cmp_gt_i32 s4, 27
	s_cbranch_scc0 .LBB9_652
; %bb.651:
	s_mov_b32 s6, 0
	global_store_b32 v[4:5], v3, off
.LBB9_652:
	s_and_not1_b32 vcc_lo, exec_lo, s6
	s_cbranch_vccnz .LBB9_654
; %bb.653:
	global_store_b16 v[4:5], v3, off
.LBB9_654:
	s_mov_b32 s6, 0
.LBB9_655:
	s_delay_alu instid0(SALU_CYCLE_1)
	s_and_not1_b32 vcc_lo, exec_lo, s6
	s_cbranch_vccnz .LBB9_663
; %bb.656:
	s_wait_xcnt 0x0
	v_cvt_f32_f64_e32 v3, v[42:43]
	v_mov_b32_e32 v7, 0x80
	s_mov_b32 s6, exec_lo
	s_delay_alu instid0(VALU_DEP_2) | instskip(NEXT) | instid1(VALU_DEP_1)
	v_and_b32_e32 v6, 0x7fffffff, v3
	v_cmpx_gt_u32_e32 0x43800000, v6
	s_cbranch_execz .LBB9_662
; %bb.657:
	v_cmp_lt_u32_e32 vcc_lo, 0x3bffffff, v6
	s_mov_b32 s7, 0
                                        ; implicit-def: $vgpr6
	s_and_saveexec_b32 s8, vcc_lo
	s_delay_alu instid0(SALU_CYCLE_1)
	s_xor_b32 s8, exec_lo, s8
	s_cbranch_execz .LBB9_994
; %bb.658:
	v_bfe_u32 v6, v3, 20, 1
	s_mov_b32 s7, exec_lo
	s_delay_alu instid0(VALU_DEP_1) | instskip(NEXT) | instid1(VALU_DEP_1)
	v_add3_u32 v6, v3, v6, 0x487ffff
	v_lshrrev_b32_e32 v6, 20, v6
	s_and_not1_saveexec_b32 s8, s8
	s_cbranch_execnz .LBB9_995
.LBB9_659:
	s_or_b32 exec_lo, exec_lo, s8
	v_mov_b32_e32 v7, 0
	s_and_saveexec_b32 s8, s7
.LBB9_660:
	v_lshrrev_b32_e32 v3, 24, v3
	s_delay_alu instid0(VALU_DEP_1)
	v_and_or_b32 v7, 0x80, v3, v6
.LBB9_661:
	s_or_b32 exec_lo, exec_lo, s8
.LBB9_662:
	s_delay_alu instid0(SALU_CYCLE_1)
	s_or_b32 exec_lo, exec_lo, s6
	global_store_b8 v[4:5], v7, off
.LBB9_663:
	s_mov_b32 s6, -1
.LBB9_664:
	s_mov_b32 s7, 0
.LBB9_665:
	s_delay_alu instid0(SALU_CYCLE_1)
	s_and_b32 vcc_lo, exec_lo, s7
	s_cbranch_vccz .LBB9_705
; %bb.666:
	s_cmp_gt_i32 s4, 22
	s_mov_b32 s5, -1
	s_cbranch_scc0 .LBB9_698
; %bb.667:
	s_cmp_lt_i32 s4, 24
	s_cbranch_scc1 .LBB9_687
; %bb.668:
	s_cmp_gt_i32 s4, 24
	s_cbranch_scc0 .LBB9_676
; %bb.669:
	s_wait_xcnt 0x0
	v_cvt_f32_f64_e32 v3, v[42:43]
	v_mov_b32_e32 v7, 0x80
	s_mov_b32 s5, exec_lo
	s_delay_alu instid0(VALU_DEP_2) | instskip(NEXT) | instid1(VALU_DEP_1)
	v_and_b32_e32 v6, 0x7fffffff, v3
	v_cmpx_gt_u32_e32 0x47800000, v6
	s_cbranch_execz .LBB9_675
; %bb.670:
	v_cmp_lt_u32_e32 vcc_lo, 0x37ffffff, v6
	s_mov_b32 s6, 0
                                        ; implicit-def: $vgpr6
	s_and_saveexec_b32 s7, vcc_lo
	s_delay_alu instid0(SALU_CYCLE_1)
	s_xor_b32 s7, exec_lo, s7
	s_cbranch_execz .LBB9_997
; %bb.671:
	v_bfe_u32 v6, v3, 21, 1
	s_mov_b32 s6, exec_lo
	s_delay_alu instid0(VALU_DEP_1) | instskip(NEXT) | instid1(VALU_DEP_1)
	v_add3_u32 v6, v3, v6, 0x88fffff
	v_lshrrev_b32_e32 v6, 21, v6
	s_and_not1_saveexec_b32 s7, s7
	s_cbranch_execnz .LBB9_998
.LBB9_672:
	s_or_b32 exec_lo, exec_lo, s7
	v_mov_b32_e32 v7, 0
	s_and_saveexec_b32 s7, s6
.LBB9_673:
	v_lshrrev_b32_e32 v3, 24, v3
	s_delay_alu instid0(VALU_DEP_1)
	v_and_or_b32 v7, 0x80, v3, v6
.LBB9_674:
	s_or_b32 exec_lo, exec_lo, s7
.LBB9_675:
	s_delay_alu instid0(SALU_CYCLE_1)
	s_or_b32 exec_lo, exec_lo, s5
	s_mov_b32 s5, 0
	global_store_b8 v[4:5], v7, off
.LBB9_676:
	s_and_b32 vcc_lo, exec_lo, s5
	s_cbranch_vccz .LBB9_686
; %bb.677:
	s_wait_xcnt 0x0
	v_cvt_f32_f64_e32 v3, v[42:43]
	s_mov_b32 s5, exec_lo
                                        ; implicit-def: $vgpr6
	s_delay_alu instid0(VALU_DEP_1) | instskip(NEXT) | instid1(VALU_DEP_1)
	v_and_b32_e32 v7, 0x7fffffff, v3
	v_cmpx_gt_u32_e32 0x43f00000, v7
	s_xor_b32 s5, exec_lo, s5
	s_cbranch_execz .LBB9_683
; %bb.678:
	s_mov_b32 s6, exec_lo
                                        ; implicit-def: $vgpr6
	v_cmpx_lt_u32_e32 0x3c7fffff, v7
	s_xor_b32 s6, exec_lo, s6
; %bb.679:
	v_bfe_u32 v6, v3, 20, 1
	s_delay_alu instid0(VALU_DEP_1) | instskip(NEXT) | instid1(VALU_DEP_1)
	v_add3_u32 v6, v3, v6, 0x407ffff
	v_and_b32_e32 v7, 0xff00000, v6
	v_lshrrev_b32_e32 v6, 20, v6
	s_delay_alu instid0(VALU_DEP_2) | instskip(NEXT) | instid1(VALU_DEP_2)
	v_cmp_ne_u32_e32 vcc_lo, 0x7f00000, v7
	v_cndmask_b32_e32 v6, 0x7e, v6, vcc_lo
; %bb.680:
	s_and_not1_saveexec_b32 s6, s6
; %bb.681:
	v_add_f32_e64 v6, 0x46800000, |v3|
; %bb.682:
	s_or_b32 exec_lo, exec_lo, s6
                                        ; implicit-def: $vgpr7
.LBB9_683:
	s_and_not1_saveexec_b32 s5, s5
; %bb.684:
	v_mov_b32_e32 v6, 0x7f
	v_cmp_lt_u32_e32 vcc_lo, 0x7f800000, v7
	s_delay_alu instid0(VALU_DEP_2)
	v_cndmask_b32_e32 v6, 0x7e, v6, vcc_lo
; %bb.685:
	s_or_b32 exec_lo, exec_lo, s5
	v_lshrrev_b32_e32 v3, 24, v3
	s_delay_alu instid0(VALU_DEP_1)
	v_and_or_b32 v3, 0x80, v3, v6
	global_store_b8 v[4:5], v3, off
.LBB9_686:
	s_mov_b32 s5, 0
.LBB9_687:
	s_delay_alu instid0(SALU_CYCLE_1)
	s_and_not1_b32 vcc_lo, exec_lo, s5
	s_cbranch_vccnz .LBB9_697
; %bb.688:
	s_wait_xcnt 0x0
	v_cvt_f32_f64_e32 v3, v[42:43]
	s_mov_b32 s5, exec_lo
                                        ; implicit-def: $vgpr6
	s_delay_alu instid0(VALU_DEP_1) | instskip(NEXT) | instid1(VALU_DEP_1)
	v_and_b32_e32 v7, 0x7fffffff, v3
	v_cmpx_gt_u32_e32 0x47800000, v7
	s_xor_b32 s5, exec_lo, s5
	s_cbranch_execz .LBB9_694
; %bb.689:
	s_mov_b32 s6, exec_lo
                                        ; implicit-def: $vgpr6
	v_cmpx_lt_u32_e32 0x387fffff, v7
	s_xor_b32 s6, exec_lo, s6
; %bb.690:
	v_bfe_u32 v6, v3, 21, 1
	s_delay_alu instid0(VALU_DEP_1) | instskip(NEXT) | instid1(VALU_DEP_1)
	v_add3_u32 v6, v3, v6, 0x80fffff
	v_lshrrev_b32_e32 v6, 21, v6
; %bb.691:
	s_and_not1_saveexec_b32 s6, s6
; %bb.692:
	v_add_f32_e64 v6, 0x43000000, |v3|
; %bb.693:
	s_or_b32 exec_lo, exec_lo, s6
                                        ; implicit-def: $vgpr7
.LBB9_694:
	s_and_not1_saveexec_b32 s5, s5
; %bb.695:
	v_mov_b32_e32 v6, 0x7f
	v_cmp_lt_u32_e32 vcc_lo, 0x7f800000, v7
	s_delay_alu instid0(VALU_DEP_2)
	v_cndmask_b32_e32 v6, 0x7c, v6, vcc_lo
; %bb.696:
	s_or_b32 exec_lo, exec_lo, s5
	v_lshrrev_b32_e32 v3, 24, v3
	s_delay_alu instid0(VALU_DEP_1)
	v_and_or_b32 v3, 0x80, v3, v6
	global_store_b8 v[4:5], v3, off
.LBB9_697:
	s_mov_b32 s5, 0
	s_mov_b32 s6, -1
.LBB9_698:
	s_and_not1_b32 vcc_lo, exec_lo, s5
	s_mov_b32 s5, 0
	s_cbranch_vccnz .LBB9_705
; %bb.699:
	s_cmp_gt_i32 s4, 14
	s_mov_b32 s5, -1
	s_cbranch_scc0 .LBB9_703
; %bb.700:
	s_cmp_eq_u32 s4, 15
	s_mov_b32 s0, -1
	s_cbranch_scc0 .LBB9_702
; %bb.701:
	s_wait_xcnt 0x0
	v_cvt_f32_f64_e32 v3, v[42:43]
	s_mov_b32 s0, 0
	s_mov_b32 s6, -1
	s_delay_alu instid0(VALU_DEP_1) | instskip(SKIP_1) | instid1(VALU_DEP_2)
	v_bfe_u32 v6, v3, 16, 1
	v_cmp_o_f32_e32 vcc_lo, v3, v3
	v_add3_u32 v6, v3, v6, 0x7fff
	s_delay_alu instid0(VALU_DEP_1) | instskip(NEXT) | instid1(VALU_DEP_1)
	v_lshrrev_b32_e32 v6, 16, v6
	v_cndmask_b32_e32 v3, 0x7fc0, v6, vcc_lo
	global_store_b16 v[4:5], v3, off
.LBB9_702:
	s_mov_b32 s5, 0
.LBB9_703:
	s_delay_alu instid0(SALU_CYCLE_1)
	s_and_b32 vcc_lo, exec_lo, s5
	s_mov_b32 s5, 0
	s_cbranch_vccz .LBB9_705
; %bb.704:
	s_cmp_lg_u32 s4, 11
	s_mov_b32 s5, -1
	s_cselect_b32 s0, -1, 0
.LBB9_705:
	s_delay_alu instid0(SALU_CYCLE_1)
	s_and_b32 vcc_lo, exec_lo, s0
	s_cbranch_vccnz .LBB9_996
; %bb.706:
	s_and_not1_b32 vcc_lo, exec_lo, s5
	s_cbranch_vccnz .LBB9_708
.LBB9_707:
	v_cmp_neq_f64_e32 vcc_lo, 0, v[42:43]
	s_mov_b32 s6, -1
	s_wait_xcnt 0x0
	v_cndmask_b32_e64 v3, 0, 1, vcc_lo
	global_store_b8 v[4:5], v3, off
.LBB9_708:
.LBB9_709:
	s_and_not1_b32 vcc_lo, exec_lo, s6
	s_cbranch_vccz .LBB9_749
	s_branch .LBB9_943
.LBB9_710:
	s_mov_b32 s6, 0
	s_cbranch_execz .LBB9_709
; %bb.711:
	s_and_b32 s0, 0xffff, s1
	s_mov_b32 s4, -1
	s_cmp_lt_i32 s0, 5
	s_cbranch_scc1 .LBB9_732
; %bb.712:
	s_cmp_lt_i32 s0, 8
	s_cbranch_scc1 .LBB9_722
; %bb.713:
	;; [unrolled: 3-line block ×3, first 2 shown]
	s_cmp_gt_i32 s0, 9
	s_cbranch_scc0 .LBB9_716
; %bb.715:
	v_mov_b32_e32 v44, 0
	s_mov_b32 s4, 0
	s_delay_alu instid0(VALU_DEP_1)
	v_mov_b32_e32 v45, v44
	global_store_b128 v[4:5], v[42:45], off
.LBB9_716:
	s_and_not1_b32 vcc_lo, exec_lo, s4
	s_cbranch_vccnz .LBB9_718
; %bb.717:
	s_wait_xcnt 0x0
	v_cvt_f32_f64_e32 v6, v[42:43]
	v_mov_b32_e32 v7, 0
	global_store_b64 v[4:5], v[6:7], off
.LBB9_718:
	s_mov_b32 s4, 0
.LBB9_719:
	s_delay_alu instid0(SALU_CYCLE_1)
	s_and_not1_b32 vcc_lo, exec_lo, s4
	s_cbranch_vccnz .LBB9_721
; %bb.720:
	s_wait_xcnt 0x0
	v_and_or_b32 v3, 0x1ff, v43, v42
	v_lshrrev_b32_e32 v6, 8, v43
	v_bfe_u32 v7, v43, 20, 11
	s_delay_alu instid0(VALU_DEP_3) | instskip(NEXT) | instid1(VALU_DEP_2)
	v_cmp_ne_u32_e32 vcc_lo, 0, v3
	v_sub_nc_u32_e32 v8, 0x3f1, v7
	v_add_nc_u32_e32 v7, 0xfffffc10, v7
	v_cndmask_b32_e64 v3, 0, 1, vcc_lo
	s_delay_alu instid0(VALU_DEP_1) | instskip(NEXT) | instid1(VALU_DEP_4)
	v_and_or_b32 v3, 0xffe, v6, v3
	v_med3_i32 v6, v8, 0, 13
	s_delay_alu instid0(VALU_DEP_2) | instskip(NEXT) | instid1(VALU_DEP_1)
	v_or_b32_e32 v8, 0x1000, v3
	v_lshrrev_b32_e32 v9, v6, v8
	s_delay_alu instid0(VALU_DEP_1) | instskip(NEXT) | instid1(VALU_DEP_1)
	v_lshlrev_b32_e32 v6, v6, v9
	v_cmp_ne_u32_e32 vcc_lo, v6, v8
	v_lshl_or_b32 v8, v7, 12, v3
	v_cndmask_b32_e64 v6, 0, 1, vcc_lo
	v_cmp_gt_i32_e32 vcc_lo, 1, v7
	s_delay_alu instid0(VALU_DEP_2) | instskip(NEXT) | instid1(VALU_DEP_1)
	v_or_b32_e32 v6, v9, v6
	v_cndmask_b32_e32 v6, v8, v6, vcc_lo
	s_delay_alu instid0(VALU_DEP_1) | instskip(NEXT) | instid1(VALU_DEP_1)
	v_dual_lshrrev_b32 v6, 2, v6 :: v_dual_bitop2_b32 v8, 7, v6 bitop3:0x40
	v_cmp_lt_i32_e32 vcc_lo, 5, v8
	v_cndmask_b32_e64 v9, 0, 1, vcc_lo
	v_cmp_eq_u32_e32 vcc_lo, 3, v8
	v_cndmask_b32_e64 v8, 0, 1, vcc_lo
	v_cmp_ne_u32_e32 vcc_lo, 0, v3
	s_delay_alu instid0(VALU_DEP_2) | instskip(NEXT) | instid1(VALU_DEP_1)
	v_or_b32_e32 v8, v8, v9
	v_dual_mov_b32 v9, 0x7e00 :: v_dual_add_nc_u32 v6, v6, v8
	s_delay_alu instid0(VALU_DEP_1) | instskip(SKIP_2) | instid1(VALU_DEP_4)
	v_cndmask_b32_e32 v3, 0x7c00, v9, vcc_lo
	v_cmp_gt_i32_e32 vcc_lo, 31, v7
	v_lshrrev_b32_e32 v8, 16, v43
	v_cndmask_b32_e32 v6, 0x7c00, v6, vcc_lo
	v_cmp_eq_u32_e32 vcc_lo, 0x40f, v7
	s_delay_alu instid0(VALU_DEP_2) | instskip(NEXT) | instid1(VALU_DEP_4)
	v_cndmask_b32_e32 v3, v6, v3, vcc_lo
	v_and_b32_e32 v6, 0x8000, v8
	s_delay_alu instid0(VALU_DEP_1)
	v_bitop3_b32 v3, v6, 0xffff, v3 bitop3:0xc8
	global_store_b32 v[4:5], v3, off
.LBB9_721:
	s_mov_b32 s4, 0
.LBB9_722:
	s_delay_alu instid0(SALU_CYCLE_1)
	s_and_not1_b32 vcc_lo, exec_lo, s4
	s_cbranch_vccnz .LBB9_731
; %bb.723:
	s_cmp_lt_i32 s0, 6
	s_mov_b32 s4, -1
	s_cbranch_scc1 .LBB9_729
; %bb.724:
	s_cmp_gt_i32 s0, 6
	s_cbranch_scc0 .LBB9_726
; %bb.725:
	s_mov_b32 s4, 0
	global_store_b64 v[4:5], v[42:43], off
.LBB9_726:
	s_and_not1_b32 vcc_lo, exec_lo, s4
	s_cbranch_vccnz .LBB9_728
; %bb.727:
	s_wait_xcnt 0x0
	v_cvt_f32_f64_e32 v3, v[42:43]
	global_store_b32 v[4:5], v3, off
.LBB9_728:
	s_mov_b32 s4, 0
.LBB9_729:
	s_delay_alu instid0(SALU_CYCLE_1)
	s_and_not1_b32 vcc_lo, exec_lo, s4
	s_cbranch_vccnz .LBB9_731
; %bb.730:
	s_wait_xcnt 0x0
	v_and_or_b32 v3, 0x1ff, v43, v42
	v_lshrrev_b32_e32 v6, 8, v43
	v_bfe_u32 v7, v43, 20, 11
	s_delay_alu instid0(VALU_DEP_3) | instskip(NEXT) | instid1(VALU_DEP_2)
	v_cmp_ne_u32_e32 vcc_lo, 0, v3
	v_sub_nc_u32_e32 v8, 0x3f1, v7
	v_add_nc_u32_e32 v7, 0xfffffc10, v7
	v_cndmask_b32_e64 v3, 0, 1, vcc_lo
	s_delay_alu instid0(VALU_DEP_1) | instskip(NEXT) | instid1(VALU_DEP_4)
	v_and_or_b32 v3, 0xffe, v6, v3
	v_med3_i32 v6, v8, 0, 13
	s_delay_alu instid0(VALU_DEP_2) | instskip(NEXT) | instid1(VALU_DEP_1)
	v_or_b32_e32 v8, 0x1000, v3
	v_lshrrev_b32_e32 v9, v6, v8
	s_delay_alu instid0(VALU_DEP_1) | instskip(NEXT) | instid1(VALU_DEP_1)
	v_lshlrev_b32_e32 v6, v6, v9
	v_cmp_ne_u32_e32 vcc_lo, v6, v8
	v_lshl_or_b32 v8, v7, 12, v3
	v_cndmask_b32_e64 v6, 0, 1, vcc_lo
	v_cmp_gt_i32_e32 vcc_lo, 1, v7
	s_delay_alu instid0(VALU_DEP_2) | instskip(NEXT) | instid1(VALU_DEP_1)
	v_or_b32_e32 v6, v9, v6
	v_cndmask_b32_e32 v6, v8, v6, vcc_lo
	s_delay_alu instid0(VALU_DEP_1) | instskip(NEXT) | instid1(VALU_DEP_1)
	v_dual_lshrrev_b32 v6, 2, v6 :: v_dual_bitop2_b32 v8, 7, v6 bitop3:0x40
	v_cmp_lt_i32_e32 vcc_lo, 5, v8
	v_cndmask_b32_e64 v9, 0, 1, vcc_lo
	v_cmp_eq_u32_e32 vcc_lo, 3, v8
	v_cndmask_b32_e64 v8, 0, 1, vcc_lo
	v_cmp_ne_u32_e32 vcc_lo, 0, v3
	s_delay_alu instid0(VALU_DEP_2) | instskip(NEXT) | instid1(VALU_DEP_1)
	v_or_b32_e32 v8, v8, v9
	v_dual_mov_b32 v9, 0x7e00 :: v_dual_add_nc_u32 v6, v6, v8
	s_delay_alu instid0(VALU_DEP_1) | instskip(SKIP_1) | instid1(VALU_DEP_3)
	v_cndmask_b32_e32 v3, 0x7c00, v9, vcc_lo
	v_cmp_gt_i32_e32 vcc_lo, 31, v7
	v_cndmask_b32_e32 v6, 0x7c00, v6, vcc_lo
	v_cmp_eq_u32_e32 vcc_lo, 0x40f, v7
	s_delay_alu instid0(VALU_DEP_2) | instskip(SKIP_1) | instid1(VALU_DEP_1)
	v_cndmask_b32_e32 v3, v6, v3, vcc_lo
	v_lshrrev_b32_e32 v6, 16, v43
	v_and_or_b32 v3, 0x8000, v6, v3
	global_store_b16 v[4:5], v3, off
.LBB9_731:
	s_mov_b32 s4, 0
.LBB9_732:
	s_delay_alu instid0(SALU_CYCLE_1)
	s_and_not1_b32 vcc_lo, exec_lo, s4
	s_cbranch_vccnz .LBB9_748
; %bb.733:
	s_cmp_lt_i32 s0, 2
	s_mov_b32 s4, -1
	s_cbranch_scc1 .LBB9_743
; %bb.734:
	s_cmp_lt_i32 s0, 3
	s_cbranch_scc1 .LBB9_740
; %bb.735:
	s_cmp_gt_i32 s0, 3
	s_cbranch_scc0 .LBB9_737
; %bb.736:
	s_wait_xcnt 0x0
	v_trunc_f64_e32 v[6:7], v[42:43]
	s_mov_b32 s4, 0
	s_delay_alu instid0(VALU_DEP_1) | instskip(NEXT) | instid1(VALU_DEP_1)
	v_ldexp_f64 v[8:9], v[6:7], 0xffffffe0
	v_floor_f64_e32 v[8:9], v[8:9]
	s_delay_alu instid0(VALU_DEP_1) | instskip(SKIP_1) | instid1(VALU_DEP_2)
	v_fmamk_f64 v[6:7], v[8:9], 0xc1f00000, v[6:7]
	v_cvt_i32_f64_e32 v9, v[8:9]
	v_cvt_u32_f64_e32 v8, v[6:7]
	global_store_b64 v[4:5], v[8:9], off
.LBB9_737:
	s_and_not1_b32 vcc_lo, exec_lo, s4
	s_cbranch_vccnz .LBB9_739
; %bb.738:
	s_wait_xcnt 0x0
	v_cvt_i32_f64_e32 v3, v[42:43]
	global_store_b32 v[4:5], v3, off
.LBB9_739:
	s_mov_b32 s4, 0
.LBB9_740:
	s_delay_alu instid0(SALU_CYCLE_1)
	s_and_not1_b32 vcc_lo, exec_lo, s4
	s_cbranch_vccnz .LBB9_742
; %bb.741:
	s_wait_xcnt 0x0
	v_cvt_i32_f64_e32 v3, v[42:43]
	global_store_b16 v[4:5], v3, off
.LBB9_742:
	s_mov_b32 s4, 0
.LBB9_743:
	s_delay_alu instid0(SALU_CYCLE_1)
	s_and_not1_b32 vcc_lo, exec_lo, s4
	s_cbranch_vccnz .LBB9_748
; %bb.744:
	s_cmp_gt_i32 s0, 0
	s_mov_b32 s0, -1
	s_cbranch_scc0 .LBB9_746
; %bb.745:
	s_wait_xcnt 0x0
	v_cvt_i32_f64_e32 v3, v[42:43]
	s_mov_b32 s0, 0
	global_store_b8 v[4:5], v3, off
.LBB9_746:
	s_and_not1_b32 vcc_lo, exec_lo, s0
	s_cbranch_vccnz .LBB9_748
; %bb.747:
	s_wait_xcnt 0x0
	v_trunc_f64_e32 v[6:7], v[42:43]
	s_delay_alu instid0(VALU_DEP_1) | instskip(NEXT) | instid1(VALU_DEP_1)
	v_ldexp_f64 v[8:9], v[6:7], 0xffffffe0
	v_floor_f64_e32 v[8:9], v[8:9]
	s_delay_alu instid0(VALU_DEP_1) | instskip(NEXT) | instid1(VALU_DEP_1)
	v_fmamk_f64 v[6:7], v[8:9], 0xc1f00000, v[6:7]
	v_cvt_u32_f64_e32 v3, v[6:7]
	global_store_b8 v[4:5], v3, off
.LBB9_748:
.LBB9_749:
	v_add_nc_u32_e32 v2, s3, v2
	s_cmp_lt_i32 s1, 11
	s_wait_xcnt 0x0
	s_delay_alu instid0(VALU_DEP_1) | instskip(NEXT) | instid1(VALU_DEP_1)
	v_ashrrev_i32_e32 v3, 31, v2
	v_add_nc_u64_e32 v[4:5], s[12:13], v[2:3]
	s_cbranch_scc1 .LBB9_904
; %bb.750:
	s_and_b32 s4, 0xffff, s1
	s_mov_b32 s7, -1
	s_mov_b32 s5, 0
	s_cmp_gt_i32 s4, 25
	s_mov_b32 s6, 0
	s_mov_b32 s0, 0
	s_cbranch_scc0 .LBB9_783
; %bb.751:
	s_cmp_gt_i32 s4, 28
	s_cbranch_scc0 .LBB9_766
; %bb.752:
	s_cmp_gt_i32 s4, 43
	s_cbranch_scc0 .LBB9_762
; %bb.753:
	s_cmp_gt_i32 s4, 45
	s_cbranch_scc0 .LBB9_756
; %bb.754:
	s_mov_b32 s0, -1
	s_mov_b32 s7, 0
	s_cmp_eq_u32 s4, 46
	s_cbranch_scc0 .LBB9_756
; %bb.755:
	v_cvt_f32_f64_e32 v3, v[40:41]
	s_mov_b32 s0, 0
	s_mov_b32 s6, -1
	s_delay_alu instid0(VALU_DEP_1) | instskip(SKIP_1) | instid1(VALU_DEP_2)
	v_bfe_u32 v6, v3, 16, 1
	v_cmp_o_f32_e32 vcc_lo, v3, v3
	v_add3_u32 v6, v3, v6, 0x7fff
	s_delay_alu instid0(VALU_DEP_1) | instskip(NEXT) | instid1(VALU_DEP_1)
	v_lshrrev_b32_e32 v6, 16, v6
	v_cndmask_b32_e32 v3, 0x7fc0, v6, vcc_lo
	global_store_b32 v[4:5], v3, off
.LBB9_756:
	s_and_b32 vcc_lo, exec_lo, s7
	s_cbranch_vccz .LBB9_761
; %bb.757:
	s_cmp_eq_u32 s4, 44
	s_mov_b32 s0, -1
	s_cbranch_scc0 .LBB9_761
; %bb.758:
	s_wait_xcnt 0x0
	v_cvt_f32_f64_e32 v3, v[40:41]
	v_mov_b32_e32 v6, 0xff
	s_mov_b32 s6, exec_lo
	s_delay_alu instid0(VALU_DEP_2) | instskip(NEXT) | instid1(VALU_DEP_1)
	v_bfe_u32 v7, v3, 23, 8
	v_cmpx_ne_u32_e32 0xff, v7
	s_cbranch_execz .LBB9_760
; %bb.759:
	v_and_b32_e32 v6, 0x400000, v3
	v_and_or_b32 v7, 0x3fffff, v3, v7
	v_lshrrev_b32_e32 v3, 23, v3
	s_delay_alu instid0(VALU_DEP_3) | instskip(NEXT) | instid1(VALU_DEP_3)
	v_cmp_ne_u32_e32 vcc_lo, 0, v6
	v_cmp_ne_u32_e64 s0, 0, v7
	s_and_b32 s0, vcc_lo, s0
	s_delay_alu instid0(SALU_CYCLE_1) | instskip(NEXT) | instid1(VALU_DEP_1)
	v_cndmask_b32_e64 v6, 0, 1, s0
	v_add_nc_u32_e32 v6, v3, v6
.LBB9_760:
	s_or_b32 exec_lo, exec_lo, s6
	s_mov_b32 s0, 0
	s_mov_b32 s6, -1
	global_store_b8 v[4:5], v6, off
.LBB9_761:
	s_mov_b32 s7, 0
.LBB9_762:
	s_delay_alu instid0(SALU_CYCLE_1)
	s_and_b32 vcc_lo, exec_lo, s7
	s_cbranch_vccz .LBB9_765
; %bb.763:
	s_cmp_eq_u32 s4, 29
	s_mov_b32 s0, -1
	s_cbranch_scc0 .LBB9_765
; %bb.764:
	s_wait_xcnt 0x0
	v_trunc_f64_e32 v[6:7], v[40:41]
	s_mov_b32 s0, 0
	s_mov_b32 s6, -1
	s_delay_alu instid0(VALU_DEP_1) | instskip(NEXT) | instid1(VALU_DEP_1)
	v_ldexp_f64 v[8:9], v[6:7], 0xffffffe0
	v_floor_f64_e32 v[8:9], v[8:9]
	s_delay_alu instid0(VALU_DEP_1) | instskip(SKIP_1) | instid1(VALU_DEP_2)
	v_fmamk_f64 v[6:7], v[8:9], 0xc1f00000, v[6:7]
	v_cvt_u32_f64_e32 v9, v[8:9]
	v_cvt_u32_f64_e32 v8, v[6:7]
	global_store_b64 v[4:5], v[8:9], off
.LBB9_765:
	s_mov_b32 s7, 0
.LBB9_766:
	s_delay_alu instid0(SALU_CYCLE_1)
	s_and_b32 vcc_lo, exec_lo, s7
	s_cbranch_vccz .LBB9_782
; %bb.767:
	s_cmp_lt_i32 s4, 27
	s_mov_b32 s6, -1
	s_cbranch_scc1 .LBB9_773
; %bb.768:
	s_wait_xcnt 0x0
	v_cvt_u32_f64_e32 v3, v[40:41]
	s_cmp_gt_i32 s4, 27
	s_cbranch_scc0 .LBB9_770
; %bb.769:
	s_mov_b32 s6, 0
	global_store_b32 v[4:5], v3, off
.LBB9_770:
	s_and_not1_b32 vcc_lo, exec_lo, s6
	s_cbranch_vccnz .LBB9_772
; %bb.771:
	global_store_b16 v[4:5], v3, off
.LBB9_772:
	s_mov_b32 s6, 0
.LBB9_773:
	s_delay_alu instid0(SALU_CYCLE_1)
	s_and_not1_b32 vcc_lo, exec_lo, s6
	s_cbranch_vccnz .LBB9_781
; %bb.774:
	s_wait_xcnt 0x0
	v_cvt_f32_f64_e32 v3, v[40:41]
	v_mov_b32_e32 v7, 0x80
	s_mov_b32 s6, exec_lo
	s_delay_alu instid0(VALU_DEP_2) | instskip(NEXT) | instid1(VALU_DEP_1)
	v_and_b32_e32 v6, 0x7fffffff, v3
	v_cmpx_gt_u32_e32 0x43800000, v6
	s_cbranch_execz .LBB9_780
; %bb.775:
	v_cmp_lt_u32_e32 vcc_lo, 0x3bffffff, v6
	s_mov_b32 s7, 0
                                        ; implicit-def: $vgpr6
	s_and_saveexec_b32 s8, vcc_lo
	s_delay_alu instid0(SALU_CYCLE_1)
	s_xor_b32 s8, exec_lo, s8
	s_cbranch_execz .LBB9_999
; %bb.776:
	v_bfe_u32 v6, v3, 20, 1
	s_mov_b32 s7, exec_lo
	s_delay_alu instid0(VALU_DEP_1) | instskip(NEXT) | instid1(VALU_DEP_1)
	v_add3_u32 v6, v3, v6, 0x487ffff
	v_lshrrev_b32_e32 v6, 20, v6
	s_and_not1_saveexec_b32 s8, s8
	s_cbranch_execnz .LBB9_1000
.LBB9_777:
	s_or_b32 exec_lo, exec_lo, s8
	v_mov_b32_e32 v7, 0
	s_and_saveexec_b32 s8, s7
.LBB9_778:
	v_lshrrev_b32_e32 v3, 24, v3
	s_delay_alu instid0(VALU_DEP_1)
	v_and_or_b32 v7, 0x80, v3, v6
.LBB9_779:
	s_or_b32 exec_lo, exec_lo, s8
.LBB9_780:
	s_delay_alu instid0(SALU_CYCLE_1)
	s_or_b32 exec_lo, exec_lo, s6
	global_store_b8 v[4:5], v7, off
.LBB9_781:
	s_mov_b32 s6, -1
.LBB9_782:
	s_mov_b32 s7, 0
.LBB9_783:
	s_delay_alu instid0(SALU_CYCLE_1)
	s_and_b32 vcc_lo, exec_lo, s7
	s_cbranch_vccz .LBB9_823
; %bb.784:
	s_cmp_gt_i32 s4, 22
	s_mov_b32 s5, -1
	s_cbranch_scc0 .LBB9_816
; %bb.785:
	s_cmp_lt_i32 s4, 24
	s_cbranch_scc1 .LBB9_805
; %bb.786:
	s_cmp_gt_i32 s4, 24
	s_cbranch_scc0 .LBB9_794
; %bb.787:
	s_wait_xcnt 0x0
	v_cvt_f32_f64_e32 v3, v[40:41]
	v_mov_b32_e32 v7, 0x80
	s_mov_b32 s5, exec_lo
	s_delay_alu instid0(VALU_DEP_2) | instskip(NEXT) | instid1(VALU_DEP_1)
	v_and_b32_e32 v6, 0x7fffffff, v3
	v_cmpx_gt_u32_e32 0x47800000, v6
	s_cbranch_execz .LBB9_793
; %bb.788:
	v_cmp_lt_u32_e32 vcc_lo, 0x37ffffff, v6
	s_mov_b32 s6, 0
                                        ; implicit-def: $vgpr6
	s_and_saveexec_b32 s7, vcc_lo
	s_delay_alu instid0(SALU_CYCLE_1)
	s_xor_b32 s7, exec_lo, s7
	s_cbranch_execz .LBB9_1002
; %bb.789:
	v_bfe_u32 v6, v3, 21, 1
	s_mov_b32 s6, exec_lo
	s_delay_alu instid0(VALU_DEP_1) | instskip(NEXT) | instid1(VALU_DEP_1)
	v_add3_u32 v6, v3, v6, 0x88fffff
	v_lshrrev_b32_e32 v6, 21, v6
	s_and_not1_saveexec_b32 s7, s7
	s_cbranch_execnz .LBB9_1003
.LBB9_790:
	s_or_b32 exec_lo, exec_lo, s7
	v_mov_b32_e32 v7, 0
	s_and_saveexec_b32 s7, s6
.LBB9_791:
	v_lshrrev_b32_e32 v3, 24, v3
	s_delay_alu instid0(VALU_DEP_1)
	v_and_or_b32 v7, 0x80, v3, v6
.LBB9_792:
	s_or_b32 exec_lo, exec_lo, s7
.LBB9_793:
	s_delay_alu instid0(SALU_CYCLE_1)
	s_or_b32 exec_lo, exec_lo, s5
	s_mov_b32 s5, 0
	global_store_b8 v[4:5], v7, off
.LBB9_794:
	s_and_b32 vcc_lo, exec_lo, s5
	s_cbranch_vccz .LBB9_804
; %bb.795:
	s_wait_xcnt 0x0
	v_cvt_f32_f64_e32 v3, v[40:41]
	s_mov_b32 s5, exec_lo
                                        ; implicit-def: $vgpr6
	s_delay_alu instid0(VALU_DEP_1) | instskip(NEXT) | instid1(VALU_DEP_1)
	v_and_b32_e32 v7, 0x7fffffff, v3
	v_cmpx_gt_u32_e32 0x43f00000, v7
	s_xor_b32 s5, exec_lo, s5
	s_cbranch_execz .LBB9_801
; %bb.796:
	s_mov_b32 s6, exec_lo
                                        ; implicit-def: $vgpr6
	v_cmpx_lt_u32_e32 0x3c7fffff, v7
	s_xor_b32 s6, exec_lo, s6
; %bb.797:
	v_bfe_u32 v6, v3, 20, 1
	s_delay_alu instid0(VALU_DEP_1) | instskip(NEXT) | instid1(VALU_DEP_1)
	v_add3_u32 v6, v3, v6, 0x407ffff
	v_and_b32_e32 v7, 0xff00000, v6
	v_lshrrev_b32_e32 v6, 20, v6
	s_delay_alu instid0(VALU_DEP_2) | instskip(NEXT) | instid1(VALU_DEP_2)
	v_cmp_ne_u32_e32 vcc_lo, 0x7f00000, v7
	v_cndmask_b32_e32 v6, 0x7e, v6, vcc_lo
; %bb.798:
	s_and_not1_saveexec_b32 s6, s6
; %bb.799:
	v_add_f32_e64 v6, 0x46800000, |v3|
; %bb.800:
	s_or_b32 exec_lo, exec_lo, s6
                                        ; implicit-def: $vgpr7
.LBB9_801:
	s_and_not1_saveexec_b32 s5, s5
; %bb.802:
	v_mov_b32_e32 v6, 0x7f
	v_cmp_lt_u32_e32 vcc_lo, 0x7f800000, v7
	s_delay_alu instid0(VALU_DEP_2)
	v_cndmask_b32_e32 v6, 0x7e, v6, vcc_lo
; %bb.803:
	s_or_b32 exec_lo, exec_lo, s5
	v_lshrrev_b32_e32 v3, 24, v3
	s_delay_alu instid0(VALU_DEP_1)
	v_and_or_b32 v3, 0x80, v3, v6
	global_store_b8 v[4:5], v3, off
.LBB9_804:
	s_mov_b32 s5, 0
.LBB9_805:
	s_delay_alu instid0(SALU_CYCLE_1)
	s_and_not1_b32 vcc_lo, exec_lo, s5
	s_cbranch_vccnz .LBB9_815
; %bb.806:
	s_wait_xcnt 0x0
	v_cvt_f32_f64_e32 v3, v[40:41]
	s_mov_b32 s5, exec_lo
                                        ; implicit-def: $vgpr6
	s_delay_alu instid0(VALU_DEP_1) | instskip(NEXT) | instid1(VALU_DEP_1)
	v_and_b32_e32 v7, 0x7fffffff, v3
	v_cmpx_gt_u32_e32 0x47800000, v7
	s_xor_b32 s5, exec_lo, s5
	s_cbranch_execz .LBB9_812
; %bb.807:
	s_mov_b32 s6, exec_lo
                                        ; implicit-def: $vgpr6
	v_cmpx_lt_u32_e32 0x387fffff, v7
	s_xor_b32 s6, exec_lo, s6
; %bb.808:
	v_bfe_u32 v6, v3, 21, 1
	s_delay_alu instid0(VALU_DEP_1) | instskip(NEXT) | instid1(VALU_DEP_1)
	v_add3_u32 v6, v3, v6, 0x80fffff
	v_lshrrev_b32_e32 v6, 21, v6
; %bb.809:
	s_and_not1_saveexec_b32 s6, s6
; %bb.810:
	v_add_f32_e64 v6, 0x43000000, |v3|
; %bb.811:
	s_or_b32 exec_lo, exec_lo, s6
                                        ; implicit-def: $vgpr7
.LBB9_812:
	s_and_not1_saveexec_b32 s5, s5
; %bb.813:
	v_mov_b32_e32 v6, 0x7f
	v_cmp_lt_u32_e32 vcc_lo, 0x7f800000, v7
	s_delay_alu instid0(VALU_DEP_2)
	v_cndmask_b32_e32 v6, 0x7c, v6, vcc_lo
; %bb.814:
	s_or_b32 exec_lo, exec_lo, s5
	v_lshrrev_b32_e32 v3, 24, v3
	s_delay_alu instid0(VALU_DEP_1)
	v_and_or_b32 v3, 0x80, v3, v6
	global_store_b8 v[4:5], v3, off
.LBB9_815:
	s_mov_b32 s5, 0
	s_mov_b32 s6, -1
.LBB9_816:
	s_and_not1_b32 vcc_lo, exec_lo, s5
	s_mov_b32 s5, 0
	s_cbranch_vccnz .LBB9_823
; %bb.817:
	s_cmp_gt_i32 s4, 14
	s_mov_b32 s5, -1
	s_cbranch_scc0 .LBB9_821
; %bb.818:
	s_cmp_eq_u32 s4, 15
	s_mov_b32 s0, -1
	s_cbranch_scc0 .LBB9_820
; %bb.819:
	s_wait_xcnt 0x0
	v_cvt_f32_f64_e32 v3, v[40:41]
	s_mov_b32 s0, 0
	s_mov_b32 s6, -1
	s_delay_alu instid0(VALU_DEP_1) | instskip(SKIP_1) | instid1(VALU_DEP_2)
	v_bfe_u32 v6, v3, 16, 1
	v_cmp_o_f32_e32 vcc_lo, v3, v3
	v_add3_u32 v6, v3, v6, 0x7fff
	s_delay_alu instid0(VALU_DEP_1) | instskip(NEXT) | instid1(VALU_DEP_1)
	v_lshrrev_b32_e32 v6, 16, v6
	v_cndmask_b32_e32 v3, 0x7fc0, v6, vcc_lo
	global_store_b16 v[4:5], v3, off
.LBB9_820:
	s_mov_b32 s5, 0
.LBB9_821:
	s_delay_alu instid0(SALU_CYCLE_1)
	s_and_b32 vcc_lo, exec_lo, s5
	s_mov_b32 s5, 0
	s_cbranch_vccz .LBB9_823
; %bb.822:
	s_cmp_lg_u32 s4, 11
	s_mov_b32 s5, -1
	s_cselect_b32 s0, -1, 0
.LBB9_823:
	s_delay_alu instid0(SALU_CYCLE_1)
	s_and_b32 vcc_lo, exec_lo, s0
	s_cbranch_vccnz .LBB9_1001
; %bb.824:
	s_and_not1_b32 vcc_lo, exec_lo, s5
	s_cbranch_vccnz .LBB9_826
.LBB9_825:
	v_cmp_neq_f64_e32 vcc_lo, 0, v[40:41]
	s_mov_b32 s6, -1
	s_wait_xcnt 0x0
	v_cndmask_b32_e64 v3, 0, 1, vcc_lo
	global_store_b8 v[4:5], v3, off
.LBB9_826:
.LBB9_827:
	s_and_not1_b32 vcc_lo, exec_lo, s6
	s_cbranch_vccnz .LBB9_943
.LBB9_828:
	v_add_nc_u32_e32 v2, s3, v2
	s_cmp_lt_i32 s1, 11
	s_wait_xcnt 0x0
	s_delay_alu instid0(VALU_DEP_1) | instskip(NEXT) | instid1(VALU_DEP_1)
	v_ashrrev_i32_e32 v3, 31, v2
	v_add_nc_u64_e32 v[4:5], s[12:13], v[2:3]
	s_cbranch_scc1 .LBB9_988
; %bb.829:
	s_and_b32 s3, 0xffff, s1
	s_mov_b32 s5, -1
	s_mov_b32 s4, 0
	s_cmp_gt_i32 s3, 25
	s_mov_b32 s0, 0
	s_cbranch_scc0 .LBB9_862
; %bb.830:
	s_cmp_gt_i32 s3, 28
	s_cbranch_scc0 .LBB9_846
; %bb.831:
	s_cmp_gt_i32 s3, 43
	;; [unrolled: 3-line block ×3, first 2 shown]
	s_cbranch_scc0 .LBB9_836
; %bb.833:
	s_cmp_eq_u32 s3, 46
	s_mov_b32 s0, -1
	s_cbranch_scc0 .LBB9_835
; %bb.834:
	v_cvt_f32_f64_e32 v2, v[0:1]
	s_mov_b32 s0, 0
	s_delay_alu instid0(VALU_DEP_1) | instskip(SKIP_1) | instid1(VALU_DEP_2)
	v_bfe_u32 v3, v2, 16, 1
	v_cmp_o_f32_e32 vcc_lo, v2, v2
	v_add3_u32 v3, v2, v3, 0x7fff
	s_delay_alu instid0(VALU_DEP_1) | instskip(NEXT) | instid1(VALU_DEP_1)
	v_lshrrev_b32_e32 v3, 16, v3
	v_cndmask_b32_e32 v2, 0x7fc0, v3, vcc_lo
	global_store_b32 v[4:5], v2, off
.LBB9_835:
	s_mov_b32 s5, 0
.LBB9_836:
	s_delay_alu instid0(SALU_CYCLE_1)
	s_and_b32 vcc_lo, exec_lo, s5
	s_cbranch_vccz .LBB9_841
; %bb.837:
	s_cmp_eq_u32 s3, 44
	s_mov_b32 s0, -1
	s_cbranch_scc0 .LBB9_841
; %bb.838:
	s_wait_xcnt 0x0
	v_cvt_f32_f64_e32 v2, v[0:1]
	v_mov_b32_e32 v3, 0xff
	s_mov_b32 s5, exec_lo
	s_delay_alu instid0(VALU_DEP_2) | instskip(NEXT) | instid1(VALU_DEP_1)
	v_bfe_u32 v6, v2, 23, 8
	v_cmpx_ne_u32_e32 0xff, v6
	s_cbranch_execz .LBB9_840
; %bb.839:
	v_and_b32_e32 v3, 0x400000, v2
	v_and_or_b32 v6, 0x3fffff, v2, v6
	v_lshrrev_b32_e32 v2, 23, v2
	s_delay_alu instid0(VALU_DEP_3) | instskip(NEXT) | instid1(VALU_DEP_3)
	v_cmp_ne_u32_e32 vcc_lo, 0, v3
	v_cmp_ne_u32_e64 s0, 0, v6
	s_and_b32 s0, vcc_lo, s0
	s_delay_alu instid0(SALU_CYCLE_1) | instskip(NEXT) | instid1(VALU_DEP_1)
	v_cndmask_b32_e64 v3, 0, 1, s0
	v_add_nc_u32_e32 v3, v2, v3
.LBB9_840:
	s_or_b32 exec_lo, exec_lo, s5
	s_mov_b32 s0, 0
	global_store_b8 v[4:5], v3, off
.LBB9_841:
	s_mov_b32 s5, 0
.LBB9_842:
	s_delay_alu instid0(SALU_CYCLE_1)
	s_and_b32 vcc_lo, exec_lo, s5
	s_cbranch_vccz .LBB9_845
; %bb.843:
	s_cmp_eq_u32 s3, 29
	s_mov_b32 s0, -1
	s_cbranch_scc0 .LBB9_845
; %bb.844:
	s_wait_xcnt 0x0
	v_trunc_f64_e32 v[2:3], v[0:1]
	s_mov_b32 s0, 0
	s_delay_alu instid0(VALU_DEP_1) | instskip(NEXT) | instid1(VALU_DEP_1)
	v_ldexp_f64 v[6:7], v[2:3], 0xffffffe0
	v_floor_f64_e32 v[6:7], v[6:7]
	s_delay_alu instid0(VALU_DEP_1) | instskip(SKIP_1) | instid1(VALU_DEP_2)
	v_fmamk_f64 v[2:3], v[6:7], 0xc1f00000, v[2:3]
	v_cvt_u32_f64_e32 v7, v[6:7]
	v_cvt_u32_f64_e32 v6, v[2:3]
	global_store_b64 v[4:5], v[6:7], off
.LBB9_845:
	s_mov_b32 s5, 0
.LBB9_846:
	s_delay_alu instid0(SALU_CYCLE_1)
	s_and_b32 vcc_lo, exec_lo, s5
	s_cbranch_vccz .LBB9_861
; %bb.847:
	s_cmp_lt_i32 s3, 27
	s_mov_b32 s5, -1
	s_cbranch_scc1 .LBB9_853
; %bb.848:
	s_wait_xcnt 0x0
	v_cvt_u32_f64_e32 v2, v[0:1]
	s_cmp_gt_i32 s3, 27
	s_cbranch_scc0 .LBB9_850
; %bb.849:
	s_mov_b32 s5, 0
	global_store_b32 v[4:5], v2, off
.LBB9_850:
	s_and_not1_b32 vcc_lo, exec_lo, s5
	s_cbranch_vccnz .LBB9_852
; %bb.851:
	global_store_b16 v[4:5], v2, off
.LBB9_852:
	s_mov_b32 s5, 0
.LBB9_853:
	s_delay_alu instid0(SALU_CYCLE_1)
	s_and_not1_b32 vcc_lo, exec_lo, s5
	s_cbranch_vccnz .LBB9_861
; %bb.854:
	s_wait_xcnt 0x0
	v_cvt_f32_f64_e32 v2, v[0:1]
	v_mov_b32_e32 v6, 0x80
	s_mov_b32 s5, exec_lo
	s_delay_alu instid0(VALU_DEP_2) | instskip(NEXT) | instid1(VALU_DEP_1)
	v_and_b32_e32 v3, 0x7fffffff, v2
	v_cmpx_gt_u32_e32 0x43800000, v3
	s_cbranch_execz .LBB9_860
; %bb.855:
	v_cmp_lt_u32_e32 vcc_lo, 0x3bffffff, v3
	s_mov_b32 s6, 0
                                        ; implicit-def: $vgpr3
	s_and_saveexec_b32 s7, vcc_lo
	s_delay_alu instid0(SALU_CYCLE_1)
	s_xor_b32 s7, exec_lo, s7
	s_cbranch_execz .LBB9_1004
; %bb.856:
	v_bfe_u32 v3, v2, 20, 1
	s_mov_b32 s6, exec_lo
	s_delay_alu instid0(VALU_DEP_1) | instskip(NEXT) | instid1(VALU_DEP_1)
	v_add3_u32 v3, v2, v3, 0x487ffff
	v_lshrrev_b32_e32 v3, 20, v3
	s_and_not1_saveexec_b32 s7, s7
	s_cbranch_execnz .LBB9_1005
.LBB9_857:
	s_or_b32 exec_lo, exec_lo, s7
	v_mov_b32_e32 v6, 0
	s_and_saveexec_b32 s7, s6
.LBB9_858:
	v_lshrrev_b32_e32 v2, 24, v2
	s_delay_alu instid0(VALU_DEP_1)
	v_and_or_b32 v6, 0x80, v2, v3
.LBB9_859:
	s_or_b32 exec_lo, exec_lo, s7
.LBB9_860:
	s_delay_alu instid0(SALU_CYCLE_1)
	s_or_b32 exec_lo, exec_lo, s5
	global_store_b8 v[4:5], v6, off
.LBB9_861:
	s_mov_b32 s5, 0
.LBB9_862:
	s_delay_alu instid0(SALU_CYCLE_1)
	s_and_b32 vcc_lo, exec_lo, s5
	s_cbranch_vccz .LBB9_902
; %bb.863:
	s_cmp_gt_i32 s3, 22
	s_mov_b32 s4, -1
	s_cbranch_scc0 .LBB9_895
; %bb.864:
	s_cmp_lt_i32 s3, 24
	s_cbranch_scc1 .LBB9_884
; %bb.865:
	s_cmp_gt_i32 s3, 24
	s_cbranch_scc0 .LBB9_873
; %bb.866:
	s_wait_xcnt 0x0
	v_cvt_f32_f64_e32 v2, v[0:1]
	v_mov_b32_e32 v6, 0x80
	s_mov_b32 s4, exec_lo
	s_delay_alu instid0(VALU_DEP_2) | instskip(NEXT) | instid1(VALU_DEP_1)
	v_and_b32_e32 v3, 0x7fffffff, v2
	v_cmpx_gt_u32_e32 0x47800000, v3
	s_cbranch_execz .LBB9_872
; %bb.867:
	v_cmp_lt_u32_e32 vcc_lo, 0x37ffffff, v3
	s_mov_b32 s5, 0
                                        ; implicit-def: $vgpr3
	s_and_saveexec_b32 s6, vcc_lo
	s_delay_alu instid0(SALU_CYCLE_1)
	s_xor_b32 s6, exec_lo, s6
	s_cbranch_execz .LBB9_1009
; %bb.868:
	v_bfe_u32 v3, v2, 21, 1
	s_mov_b32 s5, exec_lo
	s_delay_alu instid0(VALU_DEP_1) | instskip(NEXT) | instid1(VALU_DEP_1)
	v_add3_u32 v3, v2, v3, 0x88fffff
	v_lshrrev_b32_e32 v3, 21, v3
	s_and_not1_saveexec_b32 s6, s6
	s_cbranch_execnz .LBB9_1010
.LBB9_869:
	s_or_b32 exec_lo, exec_lo, s6
	v_mov_b32_e32 v6, 0
	s_and_saveexec_b32 s6, s5
.LBB9_870:
	v_lshrrev_b32_e32 v2, 24, v2
	s_delay_alu instid0(VALU_DEP_1)
	v_and_or_b32 v6, 0x80, v2, v3
.LBB9_871:
	s_or_b32 exec_lo, exec_lo, s6
.LBB9_872:
	s_delay_alu instid0(SALU_CYCLE_1)
	s_or_b32 exec_lo, exec_lo, s4
	s_mov_b32 s4, 0
	global_store_b8 v[4:5], v6, off
.LBB9_873:
	s_and_b32 vcc_lo, exec_lo, s4
	s_cbranch_vccz .LBB9_883
; %bb.874:
	s_wait_xcnt 0x0
	v_cvt_f32_f64_e32 v2, v[0:1]
	s_mov_b32 s4, exec_lo
                                        ; implicit-def: $vgpr3
	s_delay_alu instid0(VALU_DEP_1) | instskip(NEXT) | instid1(VALU_DEP_1)
	v_and_b32_e32 v6, 0x7fffffff, v2
	v_cmpx_gt_u32_e32 0x43f00000, v6
	s_xor_b32 s4, exec_lo, s4
	s_cbranch_execz .LBB9_880
; %bb.875:
	s_mov_b32 s5, exec_lo
                                        ; implicit-def: $vgpr3
	v_cmpx_lt_u32_e32 0x3c7fffff, v6
	s_xor_b32 s5, exec_lo, s5
; %bb.876:
	v_bfe_u32 v3, v2, 20, 1
	s_delay_alu instid0(VALU_DEP_1) | instskip(NEXT) | instid1(VALU_DEP_1)
	v_add3_u32 v3, v2, v3, 0x407ffff
	v_and_b32_e32 v6, 0xff00000, v3
	v_lshrrev_b32_e32 v3, 20, v3
	s_delay_alu instid0(VALU_DEP_2) | instskip(NEXT) | instid1(VALU_DEP_2)
	v_cmp_ne_u32_e32 vcc_lo, 0x7f00000, v6
	v_cndmask_b32_e32 v3, 0x7e, v3, vcc_lo
; %bb.877:
	s_and_not1_saveexec_b32 s5, s5
; %bb.878:
	v_add_f32_e64 v3, 0x46800000, |v2|
; %bb.879:
	s_or_b32 exec_lo, exec_lo, s5
                                        ; implicit-def: $vgpr6
.LBB9_880:
	s_and_not1_saveexec_b32 s4, s4
; %bb.881:
	v_mov_b32_e32 v3, 0x7f
	v_cmp_lt_u32_e32 vcc_lo, 0x7f800000, v6
	s_delay_alu instid0(VALU_DEP_2)
	v_cndmask_b32_e32 v3, 0x7e, v3, vcc_lo
; %bb.882:
	s_or_b32 exec_lo, exec_lo, s4
	v_lshrrev_b32_e32 v2, 24, v2
	s_delay_alu instid0(VALU_DEP_1)
	v_and_or_b32 v2, 0x80, v2, v3
	global_store_b8 v[4:5], v2, off
.LBB9_883:
	s_mov_b32 s4, 0
.LBB9_884:
	s_delay_alu instid0(SALU_CYCLE_1)
	s_and_not1_b32 vcc_lo, exec_lo, s4
	s_cbranch_vccnz .LBB9_894
; %bb.885:
	s_wait_xcnt 0x0
	v_cvt_f32_f64_e32 v2, v[0:1]
	s_mov_b32 s4, exec_lo
                                        ; implicit-def: $vgpr3
	s_delay_alu instid0(VALU_DEP_1) | instskip(NEXT) | instid1(VALU_DEP_1)
	v_and_b32_e32 v6, 0x7fffffff, v2
	v_cmpx_gt_u32_e32 0x47800000, v6
	s_xor_b32 s4, exec_lo, s4
	s_cbranch_execz .LBB9_891
; %bb.886:
	s_mov_b32 s5, exec_lo
                                        ; implicit-def: $vgpr3
	v_cmpx_lt_u32_e32 0x387fffff, v6
	s_xor_b32 s5, exec_lo, s5
; %bb.887:
	v_bfe_u32 v3, v2, 21, 1
	s_delay_alu instid0(VALU_DEP_1) | instskip(NEXT) | instid1(VALU_DEP_1)
	v_add3_u32 v3, v2, v3, 0x80fffff
	v_lshrrev_b32_e32 v3, 21, v3
; %bb.888:
	s_and_not1_saveexec_b32 s5, s5
; %bb.889:
	v_add_f32_e64 v3, 0x43000000, |v2|
; %bb.890:
	s_or_b32 exec_lo, exec_lo, s5
                                        ; implicit-def: $vgpr6
.LBB9_891:
	s_and_not1_saveexec_b32 s4, s4
; %bb.892:
	v_mov_b32_e32 v3, 0x7f
	v_cmp_lt_u32_e32 vcc_lo, 0x7f800000, v6
	s_delay_alu instid0(VALU_DEP_2)
	v_cndmask_b32_e32 v3, 0x7c, v3, vcc_lo
; %bb.893:
	s_or_b32 exec_lo, exec_lo, s4
	v_lshrrev_b32_e32 v2, 24, v2
	s_delay_alu instid0(VALU_DEP_1)
	v_and_or_b32 v2, 0x80, v2, v3
	global_store_b8 v[4:5], v2, off
.LBB9_894:
	s_mov_b32 s4, 0
.LBB9_895:
	s_delay_alu instid0(SALU_CYCLE_1)
	s_and_not1_b32 vcc_lo, exec_lo, s4
	s_mov_b32 s4, 0
	s_cbranch_vccnz .LBB9_902
; %bb.896:
	s_cmp_gt_i32 s3, 14
	s_mov_b32 s4, -1
	s_cbranch_scc0 .LBB9_900
; %bb.897:
	s_cmp_eq_u32 s3, 15
	s_mov_b32 s0, -1
	s_cbranch_scc0 .LBB9_899
; %bb.898:
	s_wait_xcnt 0x0
	v_cvt_f32_f64_e32 v2, v[0:1]
	s_mov_b32 s0, 0
	s_delay_alu instid0(VALU_DEP_1) | instskip(SKIP_1) | instid1(VALU_DEP_2)
	v_bfe_u32 v3, v2, 16, 1
	v_cmp_o_f32_e32 vcc_lo, v2, v2
	v_add3_u32 v3, v2, v3, 0x7fff
	s_delay_alu instid0(VALU_DEP_1) | instskip(NEXT) | instid1(VALU_DEP_1)
	v_lshrrev_b32_e32 v3, 16, v3
	v_cndmask_b32_e32 v2, 0x7fc0, v3, vcc_lo
	global_store_b16 v[4:5], v2, off
.LBB9_899:
	s_mov_b32 s4, 0
.LBB9_900:
	s_delay_alu instid0(SALU_CYCLE_1)
	s_and_b32 vcc_lo, exec_lo, s4
	s_mov_b32 s4, 0
	s_cbranch_vccz .LBB9_902
; %bb.901:
	s_cmp_lg_u32 s3, 11
	s_mov_b32 s4, -1
	s_cselect_b32 s0, -1, 0
.LBB9_902:
	s_delay_alu instid0(SALU_CYCLE_1)
	s_and_b32 vcc_lo, exec_lo, s0
	s_cbranch_vccnz .LBB9_1006
.LBB9_903:
	s_mov_b32 s0, 0
	s_branch .LBB9_944
.LBB9_904:
	s_mov_b32 s6, 0
	s_cbranch_execz .LBB9_827
; %bb.905:
	s_and_b32 s0, 0xffff, s1
	s_mov_b32 s4, -1
	s_cmp_lt_i32 s0, 5
	s_cbranch_scc1 .LBB9_926
; %bb.906:
	s_cmp_lt_i32 s0, 8
	s_cbranch_scc1 .LBB9_916
; %bb.907:
	;; [unrolled: 3-line block ×3, first 2 shown]
	s_cmp_gt_i32 s0, 9
	s_cbranch_scc0 .LBB9_910
; %bb.909:
	v_mov_b32_e32 v42, 0
	s_mov_b32 s4, 0
	s_delay_alu instid0(VALU_DEP_1)
	v_mov_b32_e32 v43, v42
	global_store_b128 v[4:5], v[40:43], off
.LBB9_910:
	s_and_not1_b32 vcc_lo, exec_lo, s4
	s_cbranch_vccnz .LBB9_912
; %bb.911:
	s_wait_xcnt 0x0
	v_cvt_f32_f64_e32 v6, v[40:41]
	v_mov_b32_e32 v7, 0
	global_store_b64 v[4:5], v[6:7], off
.LBB9_912:
	s_mov_b32 s4, 0
.LBB9_913:
	s_delay_alu instid0(SALU_CYCLE_1)
	s_and_not1_b32 vcc_lo, exec_lo, s4
	s_cbranch_vccnz .LBB9_915
; %bb.914:
	s_wait_xcnt 0x0
	v_and_or_b32 v3, 0x1ff, v41, v40
	v_lshrrev_b32_e32 v6, 8, v41
	v_bfe_u32 v7, v41, 20, 11
	s_delay_alu instid0(VALU_DEP_3) | instskip(NEXT) | instid1(VALU_DEP_2)
	v_cmp_ne_u32_e32 vcc_lo, 0, v3
	v_sub_nc_u32_e32 v8, 0x3f1, v7
	v_add_nc_u32_e32 v7, 0xfffffc10, v7
	v_cndmask_b32_e64 v3, 0, 1, vcc_lo
	s_delay_alu instid0(VALU_DEP_1) | instskip(NEXT) | instid1(VALU_DEP_4)
	v_and_or_b32 v3, 0xffe, v6, v3
	v_med3_i32 v6, v8, 0, 13
	s_delay_alu instid0(VALU_DEP_2) | instskip(NEXT) | instid1(VALU_DEP_1)
	v_or_b32_e32 v8, 0x1000, v3
	v_lshrrev_b32_e32 v9, v6, v8
	s_delay_alu instid0(VALU_DEP_1) | instskip(NEXT) | instid1(VALU_DEP_1)
	v_lshlrev_b32_e32 v6, v6, v9
	v_cmp_ne_u32_e32 vcc_lo, v6, v8
	v_lshl_or_b32 v8, v7, 12, v3
	v_cndmask_b32_e64 v6, 0, 1, vcc_lo
	v_cmp_gt_i32_e32 vcc_lo, 1, v7
	s_delay_alu instid0(VALU_DEP_2) | instskip(NEXT) | instid1(VALU_DEP_1)
	v_or_b32_e32 v6, v9, v6
	v_cndmask_b32_e32 v6, v8, v6, vcc_lo
	s_delay_alu instid0(VALU_DEP_1) | instskip(NEXT) | instid1(VALU_DEP_1)
	v_dual_lshrrev_b32 v6, 2, v6 :: v_dual_bitop2_b32 v8, 7, v6 bitop3:0x40
	v_cmp_lt_i32_e32 vcc_lo, 5, v8
	v_cndmask_b32_e64 v9, 0, 1, vcc_lo
	v_cmp_eq_u32_e32 vcc_lo, 3, v8
	v_cndmask_b32_e64 v8, 0, 1, vcc_lo
	v_cmp_ne_u32_e32 vcc_lo, 0, v3
	s_delay_alu instid0(VALU_DEP_2) | instskip(NEXT) | instid1(VALU_DEP_1)
	v_or_b32_e32 v8, v8, v9
	v_dual_mov_b32 v9, 0x7e00 :: v_dual_add_nc_u32 v6, v6, v8
	s_delay_alu instid0(VALU_DEP_1) | instskip(SKIP_2) | instid1(VALU_DEP_4)
	v_cndmask_b32_e32 v3, 0x7c00, v9, vcc_lo
	v_cmp_gt_i32_e32 vcc_lo, 31, v7
	v_lshrrev_b32_e32 v8, 16, v41
	v_cndmask_b32_e32 v6, 0x7c00, v6, vcc_lo
	v_cmp_eq_u32_e32 vcc_lo, 0x40f, v7
	s_delay_alu instid0(VALU_DEP_2) | instskip(NEXT) | instid1(VALU_DEP_4)
	v_cndmask_b32_e32 v3, v6, v3, vcc_lo
	v_and_b32_e32 v6, 0x8000, v8
	s_delay_alu instid0(VALU_DEP_1)
	v_bitop3_b32 v3, v6, 0xffff, v3 bitop3:0xc8
	global_store_b32 v[4:5], v3, off
.LBB9_915:
	s_mov_b32 s4, 0
.LBB9_916:
	s_delay_alu instid0(SALU_CYCLE_1)
	s_and_not1_b32 vcc_lo, exec_lo, s4
	s_cbranch_vccnz .LBB9_925
; %bb.917:
	s_cmp_lt_i32 s0, 6
	s_mov_b32 s4, -1
	s_cbranch_scc1 .LBB9_923
; %bb.918:
	s_cmp_gt_i32 s0, 6
	s_cbranch_scc0 .LBB9_920
; %bb.919:
	s_mov_b32 s4, 0
	global_store_b64 v[4:5], v[40:41], off
.LBB9_920:
	s_and_not1_b32 vcc_lo, exec_lo, s4
	s_cbranch_vccnz .LBB9_922
; %bb.921:
	s_wait_xcnt 0x0
	v_cvt_f32_f64_e32 v3, v[40:41]
	global_store_b32 v[4:5], v3, off
.LBB9_922:
	s_mov_b32 s4, 0
.LBB9_923:
	s_delay_alu instid0(SALU_CYCLE_1)
	s_and_not1_b32 vcc_lo, exec_lo, s4
	s_cbranch_vccnz .LBB9_925
; %bb.924:
	s_wait_xcnt 0x0
	v_and_or_b32 v3, 0x1ff, v41, v40
	v_lshrrev_b32_e32 v6, 8, v41
	v_bfe_u32 v7, v41, 20, 11
	s_delay_alu instid0(VALU_DEP_3) | instskip(NEXT) | instid1(VALU_DEP_2)
	v_cmp_ne_u32_e32 vcc_lo, 0, v3
	v_sub_nc_u32_e32 v8, 0x3f1, v7
	v_add_nc_u32_e32 v7, 0xfffffc10, v7
	v_cndmask_b32_e64 v3, 0, 1, vcc_lo
	s_delay_alu instid0(VALU_DEP_1) | instskip(NEXT) | instid1(VALU_DEP_4)
	v_and_or_b32 v3, 0xffe, v6, v3
	v_med3_i32 v6, v8, 0, 13
	s_delay_alu instid0(VALU_DEP_2) | instskip(NEXT) | instid1(VALU_DEP_1)
	v_or_b32_e32 v8, 0x1000, v3
	v_lshrrev_b32_e32 v9, v6, v8
	s_delay_alu instid0(VALU_DEP_1) | instskip(NEXT) | instid1(VALU_DEP_1)
	v_lshlrev_b32_e32 v6, v6, v9
	v_cmp_ne_u32_e32 vcc_lo, v6, v8
	v_lshl_or_b32 v8, v7, 12, v3
	v_cndmask_b32_e64 v6, 0, 1, vcc_lo
	v_cmp_gt_i32_e32 vcc_lo, 1, v7
	s_delay_alu instid0(VALU_DEP_2) | instskip(NEXT) | instid1(VALU_DEP_1)
	v_or_b32_e32 v6, v9, v6
	v_cndmask_b32_e32 v6, v8, v6, vcc_lo
	s_delay_alu instid0(VALU_DEP_1) | instskip(NEXT) | instid1(VALU_DEP_1)
	v_dual_lshrrev_b32 v6, 2, v6 :: v_dual_bitop2_b32 v8, 7, v6 bitop3:0x40
	v_cmp_lt_i32_e32 vcc_lo, 5, v8
	v_cndmask_b32_e64 v9, 0, 1, vcc_lo
	v_cmp_eq_u32_e32 vcc_lo, 3, v8
	v_cndmask_b32_e64 v8, 0, 1, vcc_lo
	v_cmp_ne_u32_e32 vcc_lo, 0, v3
	s_delay_alu instid0(VALU_DEP_2) | instskip(NEXT) | instid1(VALU_DEP_1)
	v_or_b32_e32 v8, v8, v9
	v_dual_mov_b32 v9, 0x7e00 :: v_dual_add_nc_u32 v6, v6, v8
	s_delay_alu instid0(VALU_DEP_1) | instskip(SKIP_1) | instid1(VALU_DEP_3)
	v_cndmask_b32_e32 v3, 0x7c00, v9, vcc_lo
	v_cmp_gt_i32_e32 vcc_lo, 31, v7
	v_cndmask_b32_e32 v6, 0x7c00, v6, vcc_lo
	v_cmp_eq_u32_e32 vcc_lo, 0x40f, v7
	s_delay_alu instid0(VALU_DEP_2) | instskip(NEXT) | instid1(VALU_DEP_1)
	v_dual_cndmask_b32 v3, v6, v3 :: v_dual_lshrrev_b32 v6, 16, v41
	v_and_or_b32 v3, 0x8000, v6, v3
	global_store_b16 v[4:5], v3, off
.LBB9_925:
	s_mov_b32 s4, 0
.LBB9_926:
	s_delay_alu instid0(SALU_CYCLE_1)
	s_and_not1_b32 vcc_lo, exec_lo, s4
	s_cbranch_vccnz .LBB9_942
; %bb.927:
	s_cmp_lt_i32 s0, 2
	s_mov_b32 s4, -1
	s_cbranch_scc1 .LBB9_937
; %bb.928:
	s_cmp_lt_i32 s0, 3
	s_cbranch_scc1 .LBB9_934
; %bb.929:
	s_cmp_gt_i32 s0, 3
	s_cbranch_scc0 .LBB9_931
; %bb.930:
	s_wait_xcnt 0x0
	v_trunc_f64_e32 v[6:7], v[40:41]
	s_mov_b32 s4, 0
	s_delay_alu instid0(VALU_DEP_1) | instskip(NEXT) | instid1(VALU_DEP_1)
	v_ldexp_f64 v[8:9], v[6:7], 0xffffffe0
	v_floor_f64_e32 v[8:9], v[8:9]
	s_delay_alu instid0(VALU_DEP_1) | instskip(SKIP_1) | instid1(VALU_DEP_2)
	v_fmamk_f64 v[6:7], v[8:9], 0xc1f00000, v[6:7]
	v_cvt_i32_f64_e32 v9, v[8:9]
	v_cvt_u32_f64_e32 v8, v[6:7]
	global_store_b64 v[4:5], v[8:9], off
.LBB9_931:
	s_and_not1_b32 vcc_lo, exec_lo, s4
	s_cbranch_vccnz .LBB9_933
; %bb.932:
	s_wait_xcnt 0x0
	v_cvt_i32_f64_e32 v3, v[40:41]
	global_store_b32 v[4:5], v3, off
.LBB9_933:
	s_mov_b32 s4, 0
.LBB9_934:
	s_delay_alu instid0(SALU_CYCLE_1)
	s_and_not1_b32 vcc_lo, exec_lo, s4
	s_cbranch_vccnz .LBB9_936
; %bb.935:
	s_wait_xcnt 0x0
	v_cvt_i32_f64_e32 v3, v[40:41]
	global_store_b16 v[4:5], v3, off
.LBB9_936:
	s_mov_b32 s4, 0
.LBB9_937:
	s_delay_alu instid0(SALU_CYCLE_1)
	s_and_not1_b32 vcc_lo, exec_lo, s4
	s_cbranch_vccnz .LBB9_942
; %bb.938:
	s_cmp_gt_i32 s0, 0
	s_mov_b32 s0, -1
	s_cbranch_scc0 .LBB9_940
; %bb.939:
	s_wait_xcnt 0x0
	v_cvt_i32_f64_e32 v3, v[40:41]
	s_mov_b32 s0, 0
	global_store_b8 v[4:5], v3, off
.LBB9_940:
	s_and_not1_b32 vcc_lo, exec_lo, s0
	s_cbranch_vccnz .LBB9_942
; %bb.941:
	s_wait_xcnt 0x0
	v_trunc_f64_e32 v[6:7], v[40:41]
	s_delay_alu instid0(VALU_DEP_1) | instskip(NEXT) | instid1(VALU_DEP_1)
	v_ldexp_f64 v[8:9], v[6:7], 0xffffffe0
	v_floor_f64_e32 v[8:9], v[8:9]
	s_delay_alu instid0(VALU_DEP_1) | instskip(NEXT) | instid1(VALU_DEP_1)
	v_fmamk_f64 v[6:7], v[8:9], 0xc1f00000, v[6:7]
	v_cvt_u32_f64_e32 v3, v[6:7]
	global_store_b8 v[4:5], v3, off
.LBB9_942:
	s_branch .LBB9_828
.LBB9_943:
	s_mov_b32 s0, 0
	s_mov_b32 s4, 0
                                        ; implicit-def: $sgpr1
                                        ; implicit-def: $vgpr4_vgpr5
.LBB9_944:
	s_and_not1_b32 s3, s20, exec_lo
	s_and_b32 s2, s2, exec_lo
	s_and_b32 s0, s0, exec_lo
	;; [unrolled: 1-line block ×3, first 2 shown]
	s_or_b32 s20, s3, s2
.LBB9_945:
	s_wait_xcnt 0x0
	s_or_b32 exec_lo, exec_lo, s19
	s_and_saveexec_b32 s2, s20
	s_cbranch_execz .LBB9_948
; %bb.946:
	; divergent unreachable
	s_or_b32 exec_lo, exec_lo, s2
	s_and_saveexec_b32 s2, s18
	s_delay_alu instid0(SALU_CYCLE_1)
	s_xor_b32 s2, exec_lo, s2
	s_cbranch_execnz .LBB9_949
.LBB9_947:
	s_or_b32 exec_lo, exec_lo, s2
	s_and_saveexec_b32 s2, s0
	s_cbranch_execnz .LBB9_950
	s_branch .LBB9_987
.LBB9_948:
	s_or_b32 exec_lo, exec_lo, s2
	s_and_saveexec_b32 s2, s18
	s_delay_alu instid0(SALU_CYCLE_1)
	s_xor_b32 s2, exec_lo, s2
	s_cbranch_execz .LBB9_947
.LBB9_949:
	v_cmp_neq_f64_e32 vcc_lo, 0, v[0:1]
	v_cndmask_b32_e64 v2, 0, 1, vcc_lo
	global_store_b8 v[4:5], v2, off
	s_wait_xcnt 0x0
	s_or_b32 exec_lo, exec_lo, s2
	s_and_saveexec_b32 s2, s0
	s_cbranch_execz .LBB9_987
.LBB9_950:
	s_sext_i32_i16 s2, s1
	s_mov_b32 s0, -1
	s_cmp_lt_i32 s2, 5
	s_cbranch_scc1 .LBB9_971
; %bb.951:
	s_cmp_lt_i32 s2, 8
	s_cbranch_scc1 .LBB9_961
; %bb.952:
	;; [unrolled: 3-line block ×3, first 2 shown]
	s_cmp_gt_i32 s2, 9
	s_cbranch_scc0 .LBB9_955
; %bb.954:
	v_mov_b32_e32 v2, 0
	s_mov_b32 s0, 0
	s_delay_alu instid0(VALU_DEP_1)
	v_mov_b32_e32 v3, v2
	global_store_b128 v[4:5], v[0:3], off
.LBB9_955:
	s_and_not1_b32 vcc_lo, exec_lo, s0
	s_cbranch_vccnz .LBB9_957
; %bb.956:
	s_wait_xcnt 0x0
	v_cvt_f32_f64_e32 v2, v[0:1]
	v_mov_b32_e32 v3, 0
	global_store_b64 v[4:5], v[2:3], off
.LBB9_957:
	s_mov_b32 s0, 0
.LBB9_958:
	s_delay_alu instid0(SALU_CYCLE_1)
	s_and_not1_b32 vcc_lo, exec_lo, s0
	s_cbranch_vccnz .LBB9_960
; %bb.959:
	s_wait_xcnt 0x0
	v_and_or_b32 v2, 0x1ff, v1, v0
	v_lshrrev_b32_e32 v3, 8, v1
	v_bfe_u32 v6, v1, 20, 11
	s_delay_alu instid0(VALU_DEP_3) | instskip(NEXT) | instid1(VALU_DEP_2)
	v_cmp_ne_u32_e32 vcc_lo, 0, v2
	v_sub_nc_u32_e32 v7, 0x3f1, v6
	v_cndmask_b32_e64 v2, 0, 1, vcc_lo
	s_delay_alu instid0(VALU_DEP_1) | instskip(NEXT) | instid1(VALU_DEP_3)
	v_and_or_b32 v2, 0xffe, v3, v2
	v_med3_i32 v3, v7, 0, 13
	s_delay_alu instid0(VALU_DEP_2) | instskip(NEXT) | instid1(VALU_DEP_1)
	v_or_b32_e32 v7, 0x1000, v2
	v_lshrrev_b32_e32 v8, v3, v7
	s_delay_alu instid0(VALU_DEP_1) | instskip(NEXT) | instid1(VALU_DEP_1)
	v_lshlrev_b32_e32 v3, v3, v8
	v_cmp_ne_u32_e32 vcc_lo, v3, v7
	v_cndmask_b32_e64 v3, 0, 1, vcc_lo
	s_delay_alu instid0(VALU_DEP_1) | instskip(SKIP_1) | instid1(VALU_DEP_1)
	v_or_b32_e32 v3, v8, v3
	v_add_nc_u32_e32 v6, 0xfffffc10, v6
	v_lshl_or_b32 v7, v6, 12, v2
	v_cmp_gt_i32_e32 vcc_lo, 1, v6
	s_delay_alu instid0(VALU_DEP_2) | instskip(NEXT) | instid1(VALU_DEP_1)
	v_cndmask_b32_e32 v3, v7, v3, vcc_lo
	v_dual_lshrrev_b32 v3, 2, v3 :: v_dual_bitop2_b32 v7, 7, v3 bitop3:0x40
	s_delay_alu instid0(VALU_DEP_1) | instskip(SKIP_4) | instid1(VALU_DEP_2)
	v_cmp_lt_i32_e32 vcc_lo, 5, v7
	v_cndmask_b32_e64 v8, 0, 1, vcc_lo
	v_cmp_eq_u32_e32 vcc_lo, 3, v7
	v_cndmask_b32_e64 v7, 0, 1, vcc_lo
	v_cmp_ne_u32_e32 vcc_lo, 0, v2
	v_or_b32_e32 v7, v7, v8
	s_delay_alu instid0(VALU_DEP_1) | instskip(NEXT) | instid1(VALU_DEP_1)
	v_dual_mov_b32 v8, 0x7e00 :: v_dual_add_nc_u32 v3, v3, v7
	v_cndmask_b32_e32 v2, 0x7c00, v8, vcc_lo
	v_cmp_gt_i32_e32 vcc_lo, 31, v6
	v_lshrrev_b32_e32 v7, 16, v1
	s_delay_alu instid0(VALU_DEP_4) | instskip(SKIP_1) | instid1(VALU_DEP_2)
	v_cndmask_b32_e32 v3, 0x7c00, v3, vcc_lo
	v_cmp_eq_u32_e32 vcc_lo, 0x40f, v6
	v_cndmask_b32_e32 v2, v3, v2, vcc_lo
	s_delay_alu instid0(VALU_DEP_4) | instskip(NEXT) | instid1(VALU_DEP_1)
	v_and_b32_e32 v3, 0x8000, v7
	v_bitop3_b32 v2, v3, 0xffff, v2 bitop3:0xc8
	global_store_b32 v[4:5], v2, off
.LBB9_960:
	s_mov_b32 s0, 0
.LBB9_961:
	s_delay_alu instid0(SALU_CYCLE_1)
	s_and_not1_b32 vcc_lo, exec_lo, s0
	s_cbranch_vccnz .LBB9_970
; %bb.962:
	s_sext_i32_i16 s2, s1
	s_mov_b32 s0, -1
	s_cmp_lt_i32 s2, 6
	s_cbranch_scc1 .LBB9_968
; %bb.963:
	s_cmp_gt_i32 s2, 6
	s_cbranch_scc0 .LBB9_965
; %bb.964:
	s_mov_b32 s0, 0
	global_store_b64 v[4:5], v[0:1], off
.LBB9_965:
	s_and_not1_b32 vcc_lo, exec_lo, s0
	s_cbranch_vccnz .LBB9_967
; %bb.966:
	s_wait_xcnt 0x0
	v_cvt_f32_f64_e32 v2, v[0:1]
	global_store_b32 v[4:5], v2, off
.LBB9_967:
	s_mov_b32 s0, 0
.LBB9_968:
	s_delay_alu instid0(SALU_CYCLE_1)
	s_and_not1_b32 vcc_lo, exec_lo, s0
	s_cbranch_vccnz .LBB9_970
; %bb.969:
	s_wait_xcnt 0x0
	v_and_or_b32 v2, 0x1ff, v1, v0
	v_lshrrev_b32_e32 v3, 8, v1
	v_bfe_u32 v6, v1, 20, 11
	s_delay_alu instid0(VALU_DEP_3) | instskip(NEXT) | instid1(VALU_DEP_2)
	v_cmp_ne_u32_e32 vcc_lo, 0, v2
	v_sub_nc_u32_e32 v7, 0x3f1, v6
	v_cndmask_b32_e64 v2, 0, 1, vcc_lo
	s_delay_alu instid0(VALU_DEP_1) | instskip(NEXT) | instid1(VALU_DEP_3)
	v_and_or_b32 v2, 0xffe, v3, v2
	v_med3_i32 v3, v7, 0, 13
	s_delay_alu instid0(VALU_DEP_2) | instskip(NEXT) | instid1(VALU_DEP_1)
	v_or_b32_e32 v7, 0x1000, v2
	v_lshrrev_b32_e32 v8, v3, v7
	s_delay_alu instid0(VALU_DEP_1) | instskip(NEXT) | instid1(VALU_DEP_1)
	v_lshlrev_b32_e32 v3, v3, v8
	v_cmp_ne_u32_e32 vcc_lo, v3, v7
	v_cndmask_b32_e64 v3, 0, 1, vcc_lo
	s_delay_alu instid0(VALU_DEP_1) | instskip(SKIP_1) | instid1(VALU_DEP_1)
	v_or_b32_e32 v3, v8, v3
	v_add_nc_u32_e32 v6, 0xfffffc10, v6
	v_lshl_or_b32 v7, v6, 12, v2
	v_cmp_gt_i32_e32 vcc_lo, 1, v6
	s_delay_alu instid0(VALU_DEP_2) | instskip(NEXT) | instid1(VALU_DEP_1)
	v_cndmask_b32_e32 v3, v7, v3, vcc_lo
	v_dual_lshrrev_b32 v3, 2, v3 :: v_dual_bitop2_b32 v7, 7, v3 bitop3:0x40
	s_delay_alu instid0(VALU_DEP_1) | instskip(SKIP_4) | instid1(VALU_DEP_2)
	v_cmp_lt_i32_e32 vcc_lo, 5, v7
	v_cndmask_b32_e64 v8, 0, 1, vcc_lo
	v_cmp_eq_u32_e32 vcc_lo, 3, v7
	v_cndmask_b32_e64 v7, 0, 1, vcc_lo
	v_cmp_ne_u32_e32 vcc_lo, 0, v2
	v_or_b32_e32 v7, v7, v8
	s_delay_alu instid0(VALU_DEP_1) | instskip(NEXT) | instid1(VALU_DEP_1)
	v_dual_mov_b32 v8, 0x7e00 :: v_dual_add_nc_u32 v3, v3, v7
	v_cndmask_b32_e32 v2, 0x7c00, v8, vcc_lo
	v_cmp_gt_i32_e32 vcc_lo, 31, v6
	s_delay_alu instid0(VALU_DEP_3) | instskip(SKIP_1) | instid1(VALU_DEP_2)
	v_cndmask_b32_e32 v3, 0x7c00, v3, vcc_lo
	v_cmp_eq_u32_e32 vcc_lo, 0x40f, v6
	v_dual_cndmask_b32 v2, v3, v2 :: v_dual_lshrrev_b32 v3, 16, v1
	s_delay_alu instid0(VALU_DEP_1)
	v_and_or_b32 v2, 0x8000, v3, v2
	global_store_b16 v[4:5], v2, off
.LBB9_970:
	s_mov_b32 s0, 0
.LBB9_971:
	s_delay_alu instid0(SALU_CYCLE_1)
	s_and_not1_b32 vcc_lo, exec_lo, s0
	s_cbranch_vccnz .LBB9_987
; %bb.972:
	s_sext_i32_i16 s2, s1
	s_mov_b32 s0, -1
	s_cmp_lt_i32 s2, 2
	s_cbranch_scc1 .LBB9_982
; %bb.973:
	s_cmp_lt_i32 s2, 3
	s_cbranch_scc1 .LBB9_979
; %bb.974:
	s_cmp_gt_i32 s2, 3
	s_cbranch_scc0 .LBB9_976
; %bb.975:
	s_wait_xcnt 0x0
	v_trunc_f64_e32 v[2:3], v[0:1]
	s_mov_b32 s0, 0
	s_delay_alu instid0(VALU_DEP_1) | instskip(NEXT) | instid1(VALU_DEP_1)
	v_ldexp_f64 v[6:7], v[2:3], 0xffffffe0
	v_floor_f64_e32 v[6:7], v[6:7]
	s_delay_alu instid0(VALU_DEP_1) | instskip(SKIP_1) | instid1(VALU_DEP_2)
	v_fmamk_f64 v[2:3], v[6:7], 0xc1f00000, v[2:3]
	v_cvt_i32_f64_e32 v7, v[6:7]
	v_cvt_u32_f64_e32 v6, v[2:3]
	global_store_b64 v[4:5], v[6:7], off
.LBB9_976:
	s_and_not1_b32 vcc_lo, exec_lo, s0
	s_cbranch_vccnz .LBB9_978
; %bb.977:
	s_wait_xcnt 0x0
	v_cvt_i32_f64_e32 v2, v[0:1]
	global_store_b32 v[4:5], v2, off
.LBB9_978:
	s_mov_b32 s0, 0
.LBB9_979:
	s_delay_alu instid0(SALU_CYCLE_1)
	s_and_not1_b32 vcc_lo, exec_lo, s0
	s_cbranch_vccnz .LBB9_981
; %bb.980:
	s_wait_xcnt 0x0
	v_cvt_i32_f64_e32 v2, v[0:1]
	global_store_b16 v[4:5], v2, off
.LBB9_981:
	s_mov_b32 s0, 0
.LBB9_982:
	s_delay_alu instid0(SALU_CYCLE_1)
	s_and_not1_b32 vcc_lo, exec_lo, s0
	s_cbranch_vccnz .LBB9_987
; %bb.983:
	s_sext_i32_i16 s0, s1
	s_delay_alu instid0(SALU_CYCLE_1)
	s_cmp_gt_i32 s0, 0
	s_mov_b32 s0, -1
	s_cbranch_scc0 .LBB9_985
; %bb.984:
	s_wait_xcnt 0x0
	v_cvt_i32_f64_e32 v2, v[0:1]
	s_mov_b32 s0, 0
	global_store_b8 v[4:5], v2, off
.LBB9_985:
	s_and_not1_b32 vcc_lo, exec_lo, s0
	s_cbranch_vccnz .LBB9_987
; %bb.986:
	s_wait_xcnt 0x0
	v_trunc_f64_e32 v[0:1], v[0:1]
	s_delay_alu instid0(VALU_DEP_1) | instskip(NEXT) | instid1(VALU_DEP_1)
	v_ldexp_f64 v[2:3], v[0:1], 0xffffffe0
	v_floor_f64_e32 v[2:3], v[2:3]
	s_delay_alu instid0(VALU_DEP_1) | instskip(NEXT) | instid1(VALU_DEP_1)
	v_fmamk_f64 v[0:1], v[2:3], 0xc1f00000, v[0:1]
	v_cvt_u32_f64_e32 v0, v[0:1]
	global_store_b8 v[4:5], v0, off
	s_endpgm
.LBB9_987:
	s_endpgm
.LBB9_988:
	s_mov_b32 s4, 0
	s_mov_b32 s0, -1
	s_branch .LBB9_944
.LBB9_989:
	s_and_not1_saveexec_b32 s6, s6
	s_cbranch_execz .LBB9_541
.LBB9_990:
	v_add_f32_e64 v6, 0x46000000, |v3|
	s_and_not1_b32 s5, s5, exec_lo
	s_delay_alu instid0(VALU_DEP_1) | instskip(NEXT) | instid1(VALU_DEP_1)
	v_and_b32_e32 v6, 0xff, v6
	v_cmp_ne_u32_e32 vcc_lo, 0, v6
	s_and_b32 s7, vcc_lo, exec_lo
	s_delay_alu instid0(SALU_CYCLE_1)
	s_or_b32 s5, s5, s7
	s_or_b32 exec_lo, exec_lo, s6
	v_mov_b32_e32 v7, 0
	s_and_saveexec_b32 s6, s5
	s_cbranch_execnz .LBB9_542
	s_branch .LBB9_543
.LBB9_991:
	s_or_b32 s2, s20, exec_lo
	s_trap 2
	s_cbranch_execz .LBB9_589
	s_branch .LBB9_590
.LBB9_992:
	s_and_not1_saveexec_b32 s5, s5
	s_cbranch_execz .LBB9_554
.LBB9_993:
	v_add_f32_e64 v6, 0x42800000, |v3|
	s_and_not1_b32 s4, s4, exec_lo
	s_delay_alu instid0(VALU_DEP_1) | instskip(NEXT) | instid1(VALU_DEP_1)
	v_and_b32_e32 v6, 0xff, v6
	v_cmp_ne_u32_e32 vcc_lo, 0, v6
	s_and_b32 s6, vcc_lo, exec_lo
	s_delay_alu instid0(SALU_CYCLE_1)
	s_or_b32 s4, s4, s6
	s_or_b32 exec_lo, exec_lo, s5
	v_mov_b32_e32 v7, 0
	s_and_saveexec_b32 s5, s4
	s_cbranch_execnz .LBB9_555
	s_branch .LBB9_556
.LBB9_994:
	s_and_not1_saveexec_b32 s8, s8
	s_cbranch_execz .LBB9_659
.LBB9_995:
	v_add_f32_e64 v6, 0x46000000, |v3|
	s_and_not1_b32 s7, s7, exec_lo
	s_delay_alu instid0(VALU_DEP_1) | instskip(NEXT) | instid1(VALU_DEP_1)
	v_and_b32_e32 v6, 0xff, v6
	v_cmp_ne_u32_e32 vcc_lo, 0, v6
	s_and_b32 s9, vcc_lo, exec_lo
	s_delay_alu instid0(SALU_CYCLE_1)
	s_or_b32 s7, s7, s9
	s_or_b32 exec_lo, exec_lo, s8
	v_mov_b32_e32 v7, 0
	s_and_saveexec_b32 s8, s7
	s_cbranch_execnz .LBB9_660
	s_branch .LBB9_661
.LBB9_996:
	s_or_b32 s2, s2, exec_lo
	s_trap 2
	s_cbranch_execz .LBB9_707
	s_branch .LBB9_708
.LBB9_997:
	s_and_not1_saveexec_b32 s7, s7
	s_cbranch_execz .LBB9_672
.LBB9_998:
	v_add_f32_e64 v6, 0x42800000, |v3|
	s_and_not1_b32 s6, s6, exec_lo
	s_delay_alu instid0(VALU_DEP_1) | instskip(NEXT) | instid1(VALU_DEP_1)
	v_and_b32_e32 v6, 0xff, v6
	v_cmp_ne_u32_e32 vcc_lo, 0, v6
	s_and_b32 s8, vcc_lo, exec_lo
	s_delay_alu instid0(SALU_CYCLE_1)
	s_or_b32 s6, s6, s8
	s_or_b32 exec_lo, exec_lo, s7
	v_mov_b32_e32 v7, 0
	s_and_saveexec_b32 s7, s6
	s_cbranch_execnz .LBB9_673
	s_branch .LBB9_674
.LBB9_999:
	s_and_not1_saveexec_b32 s8, s8
	s_cbranch_execz .LBB9_777
.LBB9_1000:
	v_add_f32_e64 v6, 0x46000000, |v3|
	s_and_not1_b32 s7, s7, exec_lo
	s_delay_alu instid0(VALU_DEP_1) | instskip(NEXT) | instid1(VALU_DEP_1)
	v_and_b32_e32 v6, 0xff, v6
	v_cmp_ne_u32_e32 vcc_lo, 0, v6
	s_and_b32 s9, vcc_lo, exec_lo
	s_delay_alu instid0(SALU_CYCLE_1)
	s_or_b32 s7, s7, s9
	s_or_b32 exec_lo, exec_lo, s8
	v_mov_b32_e32 v7, 0
	s_and_saveexec_b32 s8, s7
	s_cbranch_execnz .LBB9_778
	s_branch .LBB9_779
.LBB9_1001:
	s_or_b32 s2, s2, exec_lo
	s_trap 2
	s_cbranch_execz .LBB9_825
	s_branch .LBB9_826
.LBB9_1002:
	s_and_not1_saveexec_b32 s7, s7
	s_cbranch_execz .LBB9_790
.LBB9_1003:
	v_add_f32_e64 v6, 0x42800000, |v3|
	s_and_not1_b32 s6, s6, exec_lo
	s_delay_alu instid0(VALU_DEP_1) | instskip(NEXT) | instid1(VALU_DEP_1)
	v_and_b32_e32 v6, 0xff, v6
	v_cmp_ne_u32_e32 vcc_lo, 0, v6
	s_and_b32 s8, vcc_lo, exec_lo
	s_delay_alu instid0(SALU_CYCLE_1)
	s_or_b32 s6, s6, s8
	s_or_b32 exec_lo, exec_lo, s7
	v_mov_b32_e32 v7, 0
	s_and_saveexec_b32 s7, s6
	s_cbranch_execnz .LBB9_791
	s_branch .LBB9_792
.LBB9_1004:
	s_and_not1_saveexec_b32 s7, s7
	s_cbranch_execz .LBB9_857
.LBB9_1005:
	v_add_f32_e64 v3, 0x46000000, |v2|
	s_and_not1_b32 s6, s6, exec_lo
	s_delay_alu instid0(VALU_DEP_1) | instskip(NEXT) | instid1(VALU_DEP_1)
	v_and_b32_e32 v3, 0xff, v3
	v_cmp_ne_u32_e32 vcc_lo, 0, v3
	s_and_b32 s8, vcc_lo, exec_lo
	s_delay_alu instid0(SALU_CYCLE_1)
	s_or_b32 s6, s6, s8
	s_or_b32 exec_lo, exec_lo, s7
	v_mov_b32_e32 v6, 0
	s_and_saveexec_b32 s7, s6
	s_cbranch_execnz .LBB9_858
	s_branch .LBB9_859
.LBB9_1006:
	s_mov_b32 s4, 0
	s_or_b32 s2, s2, exec_lo
	s_trap 2
	s_branch .LBB9_903
.LBB9_1007:
	s_and_not1_saveexec_b32 s5, s5
	s_cbranch_execz .LBB9_422
.LBB9_1008:
	v_add_f32_e64 v3, 0x46000000, |v2|
	s_and_not1_b32 s4, s4, exec_lo
	s_delay_alu instid0(VALU_DEP_1) | instskip(NEXT) | instid1(VALU_DEP_1)
	v_and_b32_e32 v3, 0xff, v3
	v_cmp_ne_u32_e32 vcc_lo, 0, v3
	s_and_b32 s6, vcc_lo, exec_lo
	s_delay_alu instid0(SALU_CYCLE_1)
	s_or_b32 s4, s4, s6
	s_or_b32 exec_lo, exec_lo, s5
	v_mov_b32_e32 v6, 0
	s_and_saveexec_b32 s5, s4
	s_cbranch_execnz .LBB9_423
	s_branch .LBB9_424
.LBB9_1009:
	s_and_not1_saveexec_b32 s6, s6
	s_cbranch_execz .LBB9_869
.LBB9_1010:
	v_add_f32_e64 v3, 0x42800000, |v2|
	s_and_not1_b32 s5, s5, exec_lo
	s_delay_alu instid0(VALU_DEP_1) | instskip(NEXT) | instid1(VALU_DEP_1)
	v_and_b32_e32 v3, 0xff, v3
	v_cmp_ne_u32_e32 vcc_lo, 0, v3
	s_and_b32 s7, vcc_lo, exec_lo
	s_delay_alu instid0(SALU_CYCLE_1)
	s_or_b32 s5, s5, s7
	s_or_b32 exec_lo, exec_lo, s6
	v_mov_b32_e32 v6, 0
	s_and_saveexec_b32 s6, s5
	s_cbranch_execnz .LBB9_870
	s_branch .LBB9_871
.LBB9_1011:
	s_and_not1_saveexec_b32 s6, s6
	s_cbranch_execz .LBB9_434
.LBB9_1012:
	v_add_f32_e64 v3, 0x42800000, |v2|
	s_and_not1_b32 s5, s5, exec_lo
	s_delay_alu instid0(VALU_DEP_1) | instskip(NEXT) | instid1(VALU_DEP_1)
	v_and_b32_e32 v3, 0xff, v3
	v_cmp_ne_u32_e32 vcc_lo, 0, v3
	s_and_b32 s7, vcc_lo, exec_lo
	s_delay_alu instid0(SALU_CYCLE_1)
	s_or_b32 s5, s5, s7
	s_or_b32 exec_lo, exec_lo, s6
	v_mov_b32_e32 v6, 0
	s_and_saveexec_b32 s6, s5
	s_cbranch_execnz .LBB9_435
	s_branch .LBB9_436
	.section	.rodata,"a",@progbits
	.p2align	6, 0x0
	.amdhsa_kernel _ZN2at6native32elementwise_kernel_manual_unrollILi128ELi4EZNS0_15gpu_kernel_implIZZZNS0_12_GLOBAL__N_121bessel_y1_kernel_cudaERNS_18TensorIteratorBaseEENKUlvE_clEvENKUlvE_clEvEUldE_EEvS5_RKT_EUlibE_EEviT1_
		.amdhsa_group_segment_fixed_size 0
		.amdhsa_private_segment_fixed_size 0
		.amdhsa_kernarg_size 40
		.amdhsa_user_sgpr_count 2
		.amdhsa_user_sgpr_dispatch_ptr 0
		.amdhsa_user_sgpr_queue_ptr 0
		.amdhsa_user_sgpr_kernarg_segment_ptr 1
		.amdhsa_user_sgpr_dispatch_id 0
		.amdhsa_user_sgpr_kernarg_preload_length 0
		.amdhsa_user_sgpr_kernarg_preload_offset 0
		.amdhsa_user_sgpr_private_segment_size 0
		.amdhsa_wavefront_size32 1
		.amdhsa_uses_dynamic_stack 0
		.amdhsa_enable_private_segment 0
		.amdhsa_system_sgpr_workgroup_id_x 1
		.amdhsa_system_sgpr_workgroup_id_y 0
		.amdhsa_system_sgpr_workgroup_id_z 0
		.amdhsa_system_sgpr_workgroup_info 0
		.amdhsa_system_vgpr_workitem_id 0
		.amdhsa_next_free_vgpr 84
		.amdhsa_next_free_sgpr 33
		.amdhsa_named_barrier_count 0
		.amdhsa_reserve_vcc 1
		.amdhsa_float_round_mode_32 0
		.amdhsa_float_round_mode_16_64 0
		.amdhsa_float_denorm_mode_32 3
		.amdhsa_float_denorm_mode_16_64 3
		.amdhsa_fp16_overflow 0
		.amdhsa_memory_ordered 1
		.amdhsa_forward_progress 1
		.amdhsa_inst_pref_size 183
		.amdhsa_round_robin_scheduling 0
		.amdhsa_exception_fp_ieee_invalid_op 0
		.amdhsa_exception_fp_denorm_src 0
		.amdhsa_exception_fp_ieee_div_zero 0
		.amdhsa_exception_fp_ieee_overflow 0
		.amdhsa_exception_fp_ieee_underflow 0
		.amdhsa_exception_fp_ieee_inexact 0
		.amdhsa_exception_int_div_zero 0
	.end_amdhsa_kernel
	.section	.text._ZN2at6native32elementwise_kernel_manual_unrollILi128ELi4EZNS0_15gpu_kernel_implIZZZNS0_12_GLOBAL__N_121bessel_y1_kernel_cudaERNS_18TensorIteratorBaseEENKUlvE_clEvENKUlvE_clEvEUldE_EEvS5_RKT_EUlibE_EEviT1_,"axG",@progbits,_ZN2at6native32elementwise_kernel_manual_unrollILi128ELi4EZNS0_15gpu_kernel_implIZZZNS0_12_GLOBAL__N_121bessel_y1_kernel_cudaERNS_18TensorIteratorBaseEENKUlvE_clEvENKUlvE_clEvEUldE_EEvS5_RKT_EUlibE_EEviT1_,comdat
.Lfunc_end9:
	.size	_ZN2at6native32elementwise_kernel_manual_unrollILi128ELi4EZNS0_15gpu_kernel_implIZZZNS0_12_GLOBAL__N_121bessel_y1_kernel_cudaERNS_18TensorIteratorBaseEENKUlvE_clEvENKUlvE_clEvEUldE_EEvS5_RKT_EUlibE_EEviT1_, .Lfunc_end9-_ZN2at6native32elementwise_kernel_manual_unrollILi128ELi4EZNS0_15gpu_kernel_implIZZZNS0_12_GLOBAL__N_121bessel_y1_kernel_cudaERNS_18TensorIteratorBaseEENKUlvE_clEvENKUlvE_clEvEUldE_EEvS5_RKT_EUlibE_EEviT1_
                                        ; -- End function
	.set _ZN2at6native32elementwise_kernel_manual_unrollILi128ELi4EZNS0_15gpu_kernel_implIZZZNS0_12_GLOBAL__N_121bessel_y1_kernel_cudaERNS_18TensorIteratorBaseEENKUlvE_clEvENKUlvE_clEvEUldE_EEvS5_RKT_EUlibE_EEviT1_.num_vgpr, max(57, .L_ZN2at6native6invokeIZZZNS0_12_GLOBAL__N_121bessel_y1_kernel_cudaERNS_18TensorIteratorBaseEENKUlvE_clEvENKUlvE_clEvEUldE_i15function_traitsIS7_EEENT1_11result_typeERKT_PrKPcPKT0_PKN3c1010ScalarTypeEi.num_vgpr)
	.set _ZN2at6native32elementwise_kernel_manual_unrollILi128ELi4EZNS0_15gpu_kernel_implIZZZNS0_12_GLOBAL__N_121bessel_y1_kernel_cudaERNS_18TensorIteratorBaseEENKUlvE_clEvENKUlvE_clEvEUldE_EEvS5_RKT_EUlibE_EEviT1_.num_agpr, max(0, .L_ZN2at6native6invokeIZZZNS0_12_GLOBAL__N_121bessel_y1_kernel_cudaERNS_18TensorIteratorBaseEENKUlvE_clEvENKUlvE_clEvEUldE_i15function_traitsIS7_EEENT1_11result_typeERKT_PrKPcPKT0_PKN3c1010ScalarTypeEi.num_agpr)
	.set _ZN2at6native32elementwise_kernel_manual_unrollILi128ELi4EZNS0_15gpu_kernel_implIZZZNS0_12_GLOBAL__N_121bessel_y1_kernel_cudaERNS_18TensorIteratorBaseEENKUlvE_clEvENKUlvE_clEvEUldE_EEvS5_RKT_EUlibE_EEviT1_.numbered_sgpr, max(33, .L_ZN2at6native6invokeIZZZNS0_12_GLOBAL__N_121bessel_y1_kernel_cudaERNS_18TensorIteratorBaseEENKUlvE_clEvENKUlvE_clEvEUldE_i15function_traitsIS7_EEENT1_11result_typeERKT_PrKPcPKT0_PKN3c1010ScalarTypeEi.numbered_sgpr)
	.set _ZN2at6native32elementwise_kernel_manual_unrollILi128ELi4EZNS0_15gpu_kernel_implIZZZNS0_12_GLOBAL__N_121bessel_y1_kernel_cudaERNS_18TensorIteratorBaseEENKUlvE_clEvENKUlvE_clEvEUldE_EEvS5_RKT_EUlibE_EEviT1_.num_named_barrier, max(0, .L_ZN2at6native6invokeIZZZNS0_12_GLOBAL__N_121bessel_y1_kernel_cudaERNS_18TensorIteratorBaseEENKUlvE_clEvENKUlvE_clEvEUldE_i15function_traitsIS7_EEENT1_11result_typeERKT_PrKPcPKT0_PKN3c1010ScalarTypeEi.num_named_barrier)
	.set _ZN2at6native32elementwise_kernel_manual_unrollILi128ELi4EZNS0_15gpu_kernel_implIZZZNS0_12_GLOBAL__N_121bessel_y1_kernel_cudaERNS_18TensorIteratorBaseEENKUlvE_clEvENKUlvE_clEvEUldE_EEvS5_RKT_EUlibE_EEviT1_.private_seg_size, 0+max(.L_ZN2at6native6invokeIZZZNS0_12_GLOBAL__N_121bessel_y1_kernel_cudaERNS_18TensorIteratorBaseEENKUlvE_clEvENKUlvE_clEvEUldE_i15function_traitsIS7_EEENT1_11result_typeERKT_PrKPcPKT0_PKN3c1010ScalarTypeEi.private_seg_size)
	.set _ZN2at6native32elementwise_kernel_manual_unrollILi128ELi4EZNS0_15gpu_kernel_implIZZZNS0_12_GLOBAL__N_121bessel_y1_kernel_cudaERNS_18TensorIteratorBaseEENKUlvE_clEvENKUlvE_clEvEUldE_EEvS5_RKT_EUlibE_EEviT1_.uses_vcc, or(1, .L_ZN2at6native6invokeIZZZNS0_12_GLOBAL__N_121bessel_y1_kernel_cudaERNS_18TensorIteratorBaseEENKUlvE_clEvENKUlvE_clEvEUldE_i15function_traitsIS7_EEENT1_11result_typeERKT_PrKPcPKT0_PKN3c1010ScalarTypeEi.uses_vcc)
	.set _ZN2at6native32elementwise_kernel_manual_unrollILi128ELi4EZNS0_15gpu_kernel_implIZZZNS0_12_GLOBAL__N_121bessel_y1_kernel_cudaERNS_18TensorIteratorBaseEENKUlvE_clEvENKUlvE_clEvEUldE_EEvS5_RKT_EUlibE_EEviT1_.uses_flat_scratch, or(0, .L_ZN2at6native6invokeIZZZNS0_12_GLOBAL__N_121bessel_y1_kernel_cudaERNS_18TensorIteratorBaseEENKUlvE_clEvENKUlvE_clEvEUldE_i15function_traitsIS7_EEENT1_11result_typeERKT_PrKPcPKT0_PKN3c1010ScalarTypeEi.uses_flat_scratch)
	.set _ZN2at6native32elementwise_kernel_manual_unrollILi128ELi4EZNS0_15gpu_kernel_implIZZZNS0_12_GLOBAL__N_121bessel_y1_kernel_cudaERNS_18TensorIteratorBaseEENKUlvE_clEvENKUlvE_clEvEUldE_EEvS5_RKT_EUlibE_EEviT1_.has_dyn_sized_stack, or(0, .L_ZN2at6native6invokeIZZZNS0_12_GLOBAL__N_121bessel_y1_kernel_cudaERNS_18TensorIteratorBaseEENKUlvE_clEvENKUlvE_clEvEUldE_i15function_traitsIS7_EEENT1_11result_typeERKT_PrKPcPKT0_PKN3c1010ScalarTypeEi.has_dyn_sized_stack)
	.set _ZN2at6native32elementwise_kernel_manual_unrollILi128ELi4EZNS0_15gpu_kernel_implIZZZNS0_12_GLOBAL__N_121bessel_y1_kernel_cudaERNS_18TensorIteratorBaseEENKUlvE_clEvENKUlvE_clEvEUldE_EEvS5_RKT_EUlibE_EEviT1_.has_recursion, or(0, .L_ZN2at6native6invokeIZZZNS0_12_GLOBAL__N_121bessel_y1_kernel_cudaERNS_18TensorIteratorBaseEENKUlvE_clEvENKUlvE_clEvEUldE_i15function_traitsIS7_EEENT1_11result_typeERKT_PrKPcPKT0_PKN3c1010ScalarTypeEi.has_recursion)
	.set _ZN2at6native32elementwise_kernel_manual_unrollILi128ELi4EZNS0_15gpu_kernel_implIZZZNS0_12_GLOBAL__N_121bessel_y1_kernel_cudaERNS_18TensorIteratorBaseEENKUlvE_clEvENKUlvE_clEvEUldE_EEvS5_RKT_EUlibE_EEviT1_.has_indirect_call, or(0, .L_ZN2at6native6invokeIZZZNS0_12_GLOBAL__N_121bessel_y1_kernel_cudaERNS_18TensorIteratorBaseEENKUlvE_clEvENKUlvE_clEvEUldE_i15function_traitsIS7_EEENT1_11result_typeERKT_PrKPcPKT0_PKN3c1010ScalarTypeEi.has_indirect_call)
	.section	.AMDGPU.csdata,"",@progbits
; Kernel info:
; codeLenInByte = 23340
; TotalNumSgprs: 35
; NumVgprs: 84
; ScratchSize: 0
; MemoryBound: 0
; FloatMode: 240
; IeeeMode: 1
; LDSByteSize: 0 bytes/workgroup (compile time only)
; SGPRBlocks: 0
; VGPRBlocks: 5
; NumSGPRsForWavesPerEU: 35
; NumVGPRsForWavesPerEU: 84
; NamedBarCnt: 0
; Occupancy: 10
; WaveLimiterHint : 0
; COMPUTE_PGM_RSRC2:SCRATCH_EN: 0
; COMPUTE_PGM_RSRC2:USER_SGPR: 2
; COMPUTE_PGM_RSRC2:TRAP_HANDLER: 0
; COMPUTE_PGM_RSRC2:TGID_X_EN: 1
; COMPUTE_PGM_RSRC2:TGID_Y_EN: 0
; COMPUTE_PGM_RSRC2:TGID_Z_EN: 0
; COMPUTE_PGM_RSRC2:TIDIG_COMP_CNT: 0
	.text
	.p2align	2                               ; -- Begin function _ZN2at6native6invokeIZZZNS0_12_GLOBAL__N_121bessel_y1_kernel_cudaERNS_18TensorIteratorBaseEENKUlvE_clEvENKUlvE_clEvEUldE_j15function_traitsIS7_EEENT1_11result_typeERKT_PrKPcPKT0_PKN3c1010ScalarTypeEi
	.type	_ZN2at6native6invokeIZZZNS0_12_GLOBAL__N_121bessel_y1_kernel_cudaERNS_18TensorIteratorBaseEENKUlvE_clEvENKUlvE_clEvEUldE_j15function_traitsIS7_EEENT1_11result_typeERKT_PrKPcPKT0_PKN3c1010ScalarTypeEi,@function
_ZN2at6native6invokeIZZZNS0_12_GLOBAL__N_121bessel_y1_kernel_cudaERNS_18TensorIteratorBaseEENKUlvE_clEvENKUlvE_clEvEUldE_j15function_traitsIS7_EEENT1_11result_typeERKT_PrKPcPKT0_PKN3c1010ScalarTypeEi: ; @_ZN2at6native6invokeIZZZNS0_12_GLOBAL__N_121bessel_y1_kernel_cudaERNS_18TensorIteratorBaseEENKUlvE_clEvENKUlvE_clEvEUldE_j15function_traitsIS7_EEENT1_11result_typeERKT_PrKPcPKT0_PKN3c1010ScalarTypeEi
; %bb.0:
	s_wait_loadcnt_dscnt 0x0
	s_wait_kmcnt 0x0
	v_dual_mov_b32 v4, v3 :: v_dual_mov_b32 v3, 0
	s_mov_b32 s1, 0
	s_mov_b32 s0, exec_lo
	s_delay_alu instid0(VALU_DEP_1) | instskip(NEXT) | instid1(VALU_DEP_2)
	v_and_b32_e32 v4, 0xff, v4
	v_add_nc_u64_e32 v[0:1], v[0:1], v[2:3]
                                        ; implicit-def: $vgpr2_vgpr3
	s_delay_alu instid0(VALU_DEP_2)
	v_cmpx_lt_i16_e32 10, v4
	s_xor_b32 s0, exec_lo, s0
	s_cbranch_execz .LBB10_49
; %bb.1:
	s_mov_b32 s4, 0
	s_mov_b32 s3, 0
	s_mov_b32 s2, exec_lo
                                        ; implicit-def: $vgpr2_vgpr3
	v_cmpx_lt_i16_e32 25, v4
	s_xor_b32 s2, exec_lo, s2
	s_cbranch_execz .LBB10_92
; %bb.2:
	s_mov_b32 s5, 0
	s_mov_b32 s3, exec_lo
                                        ; implicit-def: $vgpr2_vgpr3
	v_cmpx_lt_i16_e32 28, v4
	s_xor_b32 s3, exec_lo, s3
	s_cbranch_execz .LBB10_18
; %bb.3:
	s_mov_b32 s6, 0
	s_mov_b32 s7, 0
	s_mov_b32 s4, exec_lo
                                        ; implicit-def: $vgpr2_vgpr3
	v_cmpx_lt_i16_e32 43, v4
	s_xor_b32 s4, exec_lo, s4
	s_cbranch_execz .LBB10_13
; %bb.4:
	s_mov_b32 s7, exec_lo
                                        ; implicit-def: $vgpr2_vgpr3
	v_cmpx_lt_i16_e32 45, v4
	s_xor_b32 s7, exec_lo, s7
	s_cbranch_execz .LBB10_8
; %bb.5:
	s_mov_b32 s8, -1
	s_mov_b32 s6, exec_lo
                                        ; implicit-def: $vgpr2_vgpr3
	v_cmpx_eq_u16_e32 46, v4
	s_cbranch_execz .LBB10_7
; %bb.6:
	flat_load_b32 v2, v[0:1]
	s_mov_b32 s5, exec_lo
	s_xor_b32 s8, exec_lo, -1
	s_wait_loadcnt_dscnt 0x0
	v_lshlrev_b32_e32 v2, 16, v2
	s_delay_alu instid0(VALU_DEP_1)
	v_cvt_f64_f32_e32 v[2:3], v2
.LBB10_7:
	s_wait_xcnt 0x0
	s_or_b32 exec_lo, exec_lo, s6
	s_delay_alu instid0(SALU_CYCLE_1)
	s_and_b32 s6, s5, exec_lo
	s_and_b32 s5, s8, exec_lo
                                        ; implicit-def: $vgpr4
.LBB10_8:
	s_and_not1_saveexec_b32 s7, s7
	s_cbranch_execz .LBB10_12
; %bb.9:
	s_mov_b32 s9, -1
	s_mov_b32 s10, s6
	s_mov_b32 s8, exec_lo
                                        ; implicit-def: $vgpr2_vgpr3
	v_cmpx_eq_u16_e32 44, v4
	s_cbranch_execz .LBB10_11
; %bb.10:
	flat_load_u8 v4, v[0:1]
	s_or_b32 s10, s6, exec_lo
	s_xor_b32 s9, exec_lo, -1
	s_wait_loadcnt_dscnt 0x0
	v_cmp_ne_u32_e32 vcc_lo, 0xff, v4
	v_lshlrev_b32_e32 v2, 23, v4
	s_delay_alu instid0(VALU_DEP_1) | instskip(NEXT) | instid1(VALU_DEP_1)
	v_cvt_f64_f32_e32 v[2:3], v2
	v_cndmask_b32_e32 v2, 0x20000000, v2, vcc_lo
	s_delay_alu instid0(VALU_DEP_2) | instskip(SKIP_1) | instid1(VALU_DEP_2)
	v_cndmask_b32_e32 v3, 0x7ff80000, v3, vcc_lo
	v_cmp_ne_u32_e32 vcc_lo, 0, v4
	v_cndmask_b32_e32 v3, 0x38000000, v3, vcc_lo
	s_delay_alu instid0(VALU_DEP_4)
	v_cndmask_b32_e32 v2, 0, v2, vcc_lo
.LBB10_11:
	s_wait_xcnt 0x0
	s_or_b32 exec_lo, exec_lo, s8
	s_delay_alu instid0(SALU_CYCLE_1)
	s_and_not1_b32 s6, s6, exec_lo
	s_and_b32 s8, s10, exec_lo
	s_and_not1_b32 s5, s5, exec_lo
	s_and_b32 s9, s9, exec_lo
	s_or_b32 s6, s6, s8
	s_or_b32 s5, s5, s9
.LBB10_12:
	s_or_b32 exec_lo, exec_lo, s7
	s_delay_alu instid0(SALU_CYCLE_1)
	s_and_b32 s7, s6, exec_lo
	s_and_b32 s6, s5, exec_lo
                                        ; implicit-def: $vgpr4
.LBB10_13:
	s_and_not1_saveexec_b32 s4, s4
	s_cbranch_execz .LBB10_17
; %bb.14:
	s_mov_b32 s5, -1
	s_mov_b32 s8, s7
	s_mov_b32 s9, exec_lo
                                        ; implicit-def: $vgpr2_vgpr3
	v_cmpx_eq_u16_e32 29, v4
	s_cbranch_execz .LBB10_16
; %bb.15:
	flat_load_b64 v[2:3], v[0:1]
	s_or_b32 s8, s7, exec_lo
	s_xor_b32 s5, exec_lo, -1
	s_wait_loadcnt_dscnt 0x0
	v_cvt_f64_u32_e32 v[4:5], v3
	v_cvt_f64_u32_e32 v[2:3], v2
	s_delay_alu instid0(VALU_DEP_2) | instskip(NEXT) | instid1(VALU_DEP_1)
	v_ldexp_f64 v[4:5], v[4:5], 32
	v_add_f64_e32 v[2:3], v[4:5], v[2:3]
.LBB10_16:
	s_wait_xcnt 0x0
	s_or_b32 exec_lo, exec_lo, s9
	s_delay_alu instid0(SALU_CYCLE_1)
	s_and_not1_b32 s7, s7, exec_lo
	s_and_b32 s8, s8, exec_lo
	s_and_not1_b32 s6, s6, exec_lo
	s_and_b32 s5, s5, exec_lo
	s_or_b32 s7, s7, s8
	s_or_b32 s6, s6, s5
.LBB10_17:
	s_or_b32 exec_lo, exec_lo, s4
	s_delay_alu instid0(SALU_CYCLE_1)
	s_and_b32 s5, s7, exec_lo
	s_and_b32 s4, s6, exec_lo
                                        ; implicit-def: $vgpr4
.LBB10_18:
	s_and_not1_saveexec_b32 s3, s3
	s_cbranch_execz .LBB10_34
; %bb.19:
	s_mov_b32 s6, exec_lo
                                        ; implicit-def: $vgpr2_vgpr3
	v_cmpx_lt_i16_e32 26, v4
	s_xor_b32 s6, exec_lo, s6
	s_cbranch_execz .LBB10_25
; %bb.20:
	s_mov_b32 s7, exec_lo
                                        ; implicit-def: $vgpr2_vgpr3
	v_cmpx_lt_i16_e32 27, v4
	s_xor_b32 s7, exec_lo, s7
	s_cbranch_execz .LBB10_22
; %bb.21:
	flat_load_b32 v2, v[0:1]
	s_wait_loadcnt_dscnt 0x0
	v_cvt_f64_u32_e32 v[2:3], v2
.LBB10_22:
	s_wait_xcnt 0x0
	s_and_not1_saveexec_b32 s7, s7
	s_cbranch_execz .LBB10_24
; %bb.23:
	flat_load_u16 v2, v[0:1]
	s_wait_loadcnt_dscnt 0x0
	v_cvt_f64_u32_e32 v[2:3], v2
.LBB10_24:
	s_wait_xcnt 0x0
	s_or_b32 exec_lo, exec_lo, s7
.LBB10_25:
	s_and_not1_saveexec_b32 s6, s6
	s_cbranch_execz .LBB10_33
; %bb.26:
	flat_load_u8 v4, v[0:1]
	s_mov_b32 s7, 0
	s_mov_b32 s8, exec_lo
	s_wait_loadcnt_dscnt 0x0
	v_cmpx_lt_i16_e32 0x7f, v4
	s_xor_b32 s8, exec_lo, s8
	s_cbranch_execz .LBB10_127
; %bb.27:
	s_mov_b32 s7, -1
	s_mov_b32 s9, exec_lo
	v_cmpx_eq_u16_e32 0x80, v4
; %bb.28:
	s_xor_b32 s7, exec_lo, -1
; %bb.29:
	s_or_b32 exec_lo, exec_lo, s9
	s_delay_alu instid0(SALU_CYCLE_1)
	s_and_b32 s7, s7, exec_lo
	s_or_saveexec_b32 s8, s8
	v_mov_b64_e32 v[2:3], 0x7ff8000020000000
	s_xor_b32 exec_lo, exec_lo, s8
	s_cbranch_execnz .LBB10_128
.LBB10_30:
	s_or_b32 exec_lo, exec_lo, s8
	s_and_saveexec_b32 s8, s7
	s_cbranch_execz .LBB10_32
.LBB10_31:
	v_and_b32_e32 v2, 0xffff, v4
	s_delay_alu instid0(VALU_DEP_1) | instskip(SKIP_1) | instid1(VALU_DEP_2)
	v_and_b32_e32 v3, 7, v2
	v_bfe_u32 v7, v2, 3, 4
	v_clz_i32_u32_e32 v5, v3
	s_delay_alu instid0(VALU_DEP_2) | instskip(NEXT) | instid1(VALU_DEP_2)
	v_cmp_eq_u32_e32 vcc_lo, 0, v7
	v_min_u32_e32 v5, 32, v5
	s_delay_alu instid0(VALU_DEP_1) | instskip(NEXT) | instid1(VALU_DEP_1)
	v_subrev_nc_u32_e32 v6, 28, v5
	v_dual_lshlrev_b32 v2, v6, v2 :: v_dual_sub_nc_u32 v5, 29, v5
	s_delay_alu instid0(VALU_DEP_1) | instskip(NEXT) | instid1(VALU_DEP_2)
	v_dual_lshlrev_b32 v4, 24, v4 :: v_dual_bitop2_b32 v2, 7, v2 bitop3:0x40
	v_cndmask_b32_e32 v5, v7, v5, vcc_lo
	s_delay_alu instid0(VALU_DEP_2) | instskip(NEXT) | instid1(VALU_DEP_3)
	v_cndmask_b32_e32 v2, v3, v2, vcc_lo
	v_and_b32_e32 v3, 0x80000000, v4
	s_delay_alu instid0(VALU_DEP_3) | instskip(NEXT) | instid1(VALU_DEP_3)
	v_lshl_add_u32 v4, v5, 23, 0x3b800000
	v_lshlrev_b32_e32 v2, 20, v2
	s_delay_alu instid0(VALU_DEP_1) | instskip(NEXT) | instid1(VALU_DEP_1)
	v_or3_b32 v2, v3, v4, v2
	v_cvt_f64_f32_e32 v[2:3], v2
.LBB10_32:
	s_or_b32 exec_lo, exec_lo, s8
.LBB10_33:
	s_delay_alu instid0(SALU_CYCLE_1) | instskip(NEXT) | instid1(SALU_CYCLE_1)
	s_or_b32 exec_lo, exec_lo, s6
	s_or_b32 s5, s5, exec_lo
.LBB10_34:
	s_or_b32 exec_lo, exec_lo, s3
	s_delay_alu instid0(SALU_CYCLE_1)
	s_and_b32 s3, s5, exec_lo
	s_and_b32 s4, s4, exec_lo
                                        ; implicit-def: $vgpr4
	s_and_not1_saveexec_b32 s2, s2
	s_cbranch_execnz .LBB10_93
.LBB10_35:
	s_or_b32 exec_lo, exec_lo, s2
	s_and_saveexec_b32 s2, s4
	s_cbranch_execnz .LBB10_118
.LBB10_36:
	s_or_b32 exec_lo, exec_lo, s2
	s_and_saveexec_b32 s2, s1
	s_delay_alu instid0(SALU_CYCLE_1)
	s_xor_b32 s1, exec_lo, s2
	s_cbranch_execz .LBB10_38
.LBB10_37:
	flat_load_u8 v0, v[0:1]
	v_mov_b32_e32 v2, 0
	s_or_b32 s3, s3, exec_lo
	s_wait_loadcnt_dscnt 0x0
	v_cmp_ne_u16_e32 vcc_lo, 0, v0
	v_cndmask_b32_e64 v3, 0, 0x3ff00000, vcc_lo
.LBB10_38:
	s_wait_xcnt 0x0
	s_or_b32 exec_lo, exec_lo, s1
	s_delay_alu instid0(SALU_CYCLE_1)
	s_and_b32 s1, s3, exec_lo
                                        ; implicit-def: $vgpr4
                                        ; implicit-def: $vgpr0_vgpr1
	s_and_not1_saveexec_b32 s0, s0
	s_cbranch_execnz .LBB10_50
.LBB10_39:
	s_or_b32 exec_lo, exec_lo, s0
                                        ; implicit-def: $vgpr0_vgpr1
	s_and_saveexec_b32 s3, s1
	s_cbranch_execz .LBB10_91
.LBB10_40:
                                        ; implicit-def: $vgpr0_vgpr1
	s_mov_b32 s0, exec_lo
	s_wait_loadcnt_dscnt 0x0
	s_delay_alu instid0(VALU_DEP_1)
	v_cmpx_ge_f64_e32 0x40140000, v[2:3]
	s_xor_b32 s1, exec_lo, s0
	s_cbranch_execz .LBB10_46
; %bb.41:
	v_mov_b64_e32 v[0:1], 0xfff0000000000000
	s_mov_b32 s2, exec_lo
	v_cmpx_neq_f64_e32 0, v[2:3]
	s_cbranch_execz .LBB10_45
; %bb.42:
	v_mov_b64_e32 v[0:1], 0x7ff8000000000000
	s_mov_b32 s4, exec_lo
	v_cmpx_nge_f64_e32 0, v[2:3]
	s_cbranch_execz .LBB10_44
; %bb.43:
	v_frexp_mant_f64_e32 v[0:1], v[2:3]
	s_mov_b64 s[6:7], 0x3fe5555555555555
	s_delay_alu instid0(VALU_DEP_1) | instid1(SALU_CYCLE_1)
	v_cmp_gt_f64_e32 vcc_lo, s[6:7], v[0:1]
	s_mov_b64 s[6:7], 0x3fc3ab76bf559e2b
	v_cndmask_b32_e64 v4, 0, 1, vcc_lo
	s_delay_alu instid0(VALU_DEP_1) | instskip(NEXT) | instid1(VALU_DEP_1)
	v_ldexp_f64 v[0:1], v[0:1], v4
	v_add_f64_e32 v[4:5], 1.0, v[0:1]
	v_add_f64_e32 v[10:11], -1.0, v[0:1]
	s_delay_alu instid0(VALU_DEP_2) | instskip(SKIP_1) | instid1(VALU_DEP_1)
	v_rcp_f64_e32 v[6:7], v[4:5]
	v_add_f64_e32 v[12:13], -1.0, v[4:5]
	v_add_f64_e64 v[0:1], v[0:1], -v[12:13]
	s_delay_alu instid0(TRANS32_DEP_1) | instskip(NEXT) | instid1(VALU_DEP_1)
	v_fma_f64 v[8:9], -v[4:5], v[6:7], 1.0
	v_fmac_f64_e32 v[6:7], v[8:9], v[6:7]
	s_delay_alu instid0(VALU_DEP_1) | instskip(NEXT) | instid1(VALU_DEP_1)
	v_fma_f64 v[8:9], -v[4:5], v[6:7], 1.0
	v_fmac_f64_e32 v[6:7], v[8:9], v[6:7]
	s_delay_alu instid0(VALU_DEP_1) | instskip(NEXT) | instid1(VALU_DEP_1)
	v_mul_f64_e32 v[8:9], v[10:11], v[6:7]
	v_mul_f64_e32 v[14:15], v[4:5], v[8:9]
	s_delay_alu instid0(VALU_DEP_1) | instskip(NEXT) | instid1(VALU_DEP_1)
	v_fma_f64 v[4:5], v[8:9], v[4:5], -v[14:15]
	v_fmac_f64_e32 v[4:5], v[8:9], v[0:1]
	s_delay_alu instid0(VALU_DEP_1) | instskip(NEXT) | instid1(VALU_DEP_1)
	v_add_f64_e32 v[0:1], v[14:15], v[4:5]
	v_add_f64_e64 v[12:13], v[10:11], -v[0:1]
	v_add_f64_e64 v[14:15], v[0:1], -v[14:15]
	s_delay_alu instid0(VALU_DEP_2) | instskip(NEXT) | instid1(VALU_DEP_2)
	v_add_f64_e64 v[10:11], v[10:11], -v[12:13]
	v_add_f64_e64 v[4:5], v[14:15], -v[4:5]
	v_frexp_exp_i32_f64_e32 v14, v[2:3]
	s_delay_alu instid0(VALU_DEP_3) | instskip(NEXT) | instid1(VALU_DEP_2)
	v_add_f64_e64 v[0:1], v[10:11], -v[0:1]
	v_subrev_co_ci_u32_e64 v14, null, 0, v14, vcc_lo
	s_delay_alu instid0(VALU_DEP_1) | instskip(NEXT) | instid1(VALU_DEP_3)
	v_cvt_f64_i32_e32 v[14:15], v14
	v_add_f64_e32 v[0:1], v[4:5], v[0:1]
	s_delay_alu instid0(VALU_DEP_2) | instskip(NEXT) | instid1(VALU_DEP_2)
	v_mul_f64_e32 v[20:21], 0x3fe62e42fefa39ef, v[14:15]
	v_add_f64_e32 v[0:1], v[12:13], v[0:1]
	s_delay_alu instid0(VALU_DEP_1) | instskip(NEXT) | instid1(VALU_DEP_1)
	v_mul_f64_e32 v[0:1], v[6:7], v[0:1]
	v_add_f64_e32 v[4:5], v[8:9], v[0:1]
	s_delay_alu instid0(VALU_DEP_1) | instskip(NEXT) | instid1(VALU_DEP_1)
	v_mul_f64_e32 v[6:7], v[4:5], v[4:5]
	v_fmaak_f64 v[10:11], s[6:7], v[6:7], 0x3fc385386b47b09a
	v_mul_f64_e32 v[12:13], v[4:5], v[6:7]
	s_mov_b64 s[6:7], 0x3fe62e42fefa39ef
	s_delay_alu instid0(SALU_CYCLE_1) | instskip(NEXT) | instid1(VALU_DEP_3)
	v_fma_f64 v[24:25], v[14:15], s[6:7], -v[20:21]
	v_fmaak_f64 v[10:11], v[6:7], v[10:11], 0x3fc7474dd7f4df2e
	s_delay_alu instid0(VALU_DEP_1) | instskip(NEXT) | instid1(VALU_DEP_1)
	v_fmaak_f64 v[10:11], v[6:7], v[10:11], 0x3fcc71c016291751
	v_fmaak_f64 v[10:11], v[6:7], v[10:11], 0x3fd249249b27acf1
	s_delay_alu instid0(VALU_DEP_1) | instskip(NEXT) | instid1(VALU_DEP_1)
	v_fmaak_f64 v[10:11], v[6:7], v[10:11], 0x3fd99999998ef7b6
	v_fmaak_f64 v[6:7], v[6:7], v[10:11], 0x3fe5555555555780
	v_ldexp_f64 v[10:11], v[4:5], 1
	v_add_f64_e64 v[4:5], v[4:5], -v[8:9]
	v_fmamk_f64 v[14:15], v[14:15], 0x3c7abc9e3b39803f, v[24:25]
	s_delay_alu instid0(VALU_DEP_4) | instskip(SKIP_1) | instid1(VALU_DEP_3)
	v_mul_f64_e32 v[6:7], v[12:13], v[6:7]
	v_mul_f64_e32 v[12:13], v[2:3], v[2:3]
	v_add_f64_e32 v[24:25], v[20:21], v[14:15]
	v_add_f64_e64 v[0:1], v[0:1], -v[4:5]
	s_delay_alu instid0(VALU_DEP_4) | instskip(NEXT) | instid1(VALU_DEP_4)
	v_add_f64_e32 v[8:9], v[10:11], v[6:7]
	v_fmaak_f64 v[16:17], 0, v[12:13], 0x40829269a93f7ac2
	v_fmaak_f64 v[18:19], 0, v[12:13], 0x408366b11b7086e7
	;; [unrolled: 1-line block ×3, first 2 shown]
	v_add_f64_e64 v[20:21], v[24:25], -v[20:21]
	v_ldexp_f64 v[0:1], v[0:1], 1
	v_add_f64_e64 v[4:5], v[8:9], -v[10:11]
	v_fmaak_f64 v[10:11], v[12:13], v[16:17], 0x410cc160be58ef7f
	v_fmaak_f64 v[16:17], v[12:13], v[18:19], 0x410f5eda0dd701b2
	;; [unrolled: 1-line block ×3, first 2 shown]
	v_add_f64_e64 v[14:15], v[14:15], -v[20:21]
	s_delay_alu instid0(VALU_DEP_4) | instskip(NEXT) | instid1(VALU_DEP_4)
	v_fmaak_f64 v[10:11], v[12:13], v[10:11], 0x419184efa9c8acee
	v_fmaak_f64 v[16:17], v[12:13], v[16:17], 0x4193e954dc92a1b1
	s_delay_alu instid0(VALU_DEP_4) | instskip(NEXT) | instid1(VALU_DEP_3)
	v_fmaak_f64 v[18:19], v[12:13], v[18:19], 0xc262d72d58836521
	v_fmaak_f64 v[10:11], v[12:13], v[10:11], 0x421178c3906b7b83
	s_delay_alu instid0(VALU_DEP_3) | instskip(NEXT) | instid1(VALU_DEP_3)
	v_fmaak_f64 v[16:17], v[12:13], v[16:17], 0x4214a13f7befeac1
	v_fmaak_f64 v[18:19], v[12:13], v[18:19], 0x42da0954b0910fef
	s_delay_alu instid0(VALU_DEP_3) | instskip(NEXT) | instid1(VALU_DEP_3)
	;; [unrolled: 3-line block ×4, first 2 shown]
	v_fmaak_f64 v[16:17], v[12:13], v[16:17], 0x43064b0a3eccf45f
	v_fmaak_f64 v[18:19], v[12:13], v[18:19], 0x438679ad0b7366b1
	v_add_f64_e64 v[4:5], v[6:7], -v[4:5]
	v_fmaak_f64 v[6:7], v[12:13], v[22:23], 0x425a52ba0d438c6b
	v_fmaak_f64 v[10:11], v[12:13], v[10:11], 0x436e83e3c547a488
	;; [unrolled: 1-line block ×4, first 2 shown]
	s_delay_alu instid0(VALU_DEP_4) | instskip(NEXT) | instid1(VALU_DEP_4)
	v_fmaak_f64 v[6:7], v[12:13], v[6:7], 0xc2d08a92e6ccf175
	v_fmaak_f64 v[10:11], v[12:13], v[10:11], 0x43cb90f190f6747f
	s_delay_alu instid0(VALU_DEP_2) | instskip(SKIP_1) | instid1(VALU_DEP_3)
	v_fmaak_f64 v[6:7], v[12:13], v[6:7], 0x432a2b42a697c482
	v_fmaak_f64 v[12:13], v[12:13], v[16:17], 0x43d2779576702939
	v_div_scale_f64 v[16:17], null, v[10:11], v[10:11], v[18:19]
	v_div_scale_f64 v[52:53], vcc_lo, v[18:19], v[10:11], v[18:19]
	s_delay_alu instid0(VALU_DEP_3) | instskip(SKIP_1) | instid1(VALU_DEP_4)
	v_div_scale_f64 v[22:23], null, v[12:13], v[12:13], v[6:7]
	v_add_f64_e32 v[0:1], v[0:1], v[4:5]
	v_rcp_f64_e32 v[4:5], v[16:17]
	s_delay_alu instid0(VALU_DEP_2) | instskip(NEXT) | instid1(VALU_DEP_1)
	v_rcp_f64_e32 v[26:27], v[22:23]
	v_add_f64_e32 v[28:29], v[8:9], v[0:1]
	s_delay_alu instid0(TRANS32_DEP_2) | instskip(NEXT) | instid1(TRANS32_DEP_1)
	v_fma_f64 v[30:31], -v[16:17], v[4:5], 1.0
	v_fma_f64 v[32:33], -v[22:23], v[26:27], 1.0
	s_delay_alu instid0(VALU_DEP_3) | instskip(SKIP_1) | instid1(VALU_DEP_4)
	v_add_f64_e32 v[34:35], v[24:25], v[28:29]
	v_add_f64_e64 v[8:9], v[28:29], -v[8:9]
	v_fmac_f64_e32 v[4:5], v[4:5], v[30:31]
	v_div_scale_f64 v[30:31], null, v[2:3], v[2:3], -1.0
	v_fmac_f64_e32 v[26:27], v[26:27], v[32:33]
	v_add_f64_e64 v[32:33], v[34:35], -v[24:25]
	v_add_f64_e64 v[0:1], v[0:1], -v[8:9]
	v_fma_f64 v[36:37], -v[16:17], v[4:5], 1.0
	v_rcp_f64_e32 v[38:39], v[30:31]
	s_delay_alu instid0(VALU_DEP_4) | instskip(NEXT) | instid1(VALU_DEP_4)
	v_fma_f64 v[48:49], -v[22:23], v[26:27], 1.0
	v_add_f64_e64 v[50:51], v[34:35], -v[32:33]
	v_add_f64_e64 v[8:9], v[28:29], -v[32:33]
	s_delay_alu instid0(VALU_DEP_4) | instskip(SKIP_4) | instid1(TRANS32_DEP_1)
	v_fmac_f64_e32 v[4:5], v[4:5], v[36:37]
	v_div_scale_f64 v[36:37], s0, v[6:7], v[12:13], v[6:7]
	v_fmac_f64_e32 v[26:27], v[26:27], v[48:49]
	v_add_f64_e32 v[48:49], v[14:15], v[0:1]
	v_add_f64_e64 v[20:21], v[24:25], -v[50:51]
	v_fma_f64 v[24:25], -v[30:31], v[38:39], 1.0
	v_mul_f64_e32 v[28:29], v[52:53], v[4:5]
	v_mul_f64_e32 v[32:33], v[36:37], v[26:27]
	s_delay_alu instid0(VALU_DEP_4) | instskip(NEXT) | instid1(VALU_DEP_4)
	v_add_f64_e32 v[8:9], v[8:9], v[20:21]
	v_fmac_f64_e32 v[38:39], v[38:39], v[24:25]
	s_delay_alu instid0(VALU_DEP_4) | instskip(NEXT) | instid1(VALU_DEP_4)
	v_fma_f64 v[16:17], -v[16:17], v[28:29], v[52:53]
	v_fma_f64 v[20:21], -v[22:23], v[32:33], v[36:37]
	v_add_f64_e64 v[22:23], v[48:49], -v[14:15]
	v_add_f64_e32 v[8:9], v[48:49], v[8:9]
	v_fma_f64 v[24:25], -v[30:31], v[38:39], 1.0
	v_div_fmas_f64 v[4:5], v[16:17], v[4:5], v[28:29]
	s_mov_b32 vcc_lo, s0
	v_div_fmas_f64 v[16:17], v[20:21], v[26:27], v[32:33]
	v_add_f64_e64 v[20:21], v[48:49], -v[22:23]
	v_div_scale_f64 v[28:29], vcc_lo, -1.0, v[2:3], -1.0
	v_add_f64_e32 v[26:27], v[34:35], v[8:9]
	v_fmac_f64_e32 v[38:39], v[38:39], v[24:25]
	v_add_f64_e64 v[0:1], v[0:1], -v[22:23]
	v_div_fixup_f64 v[4:5], v[4:5], v[10:11], v[18:19]
	v_div_fixup_f64 v[6:7], v[16:17], v[12:13], v[6:7]
	v_add_f64_e64 v[12:13], v[14:15], -v[20:21]
	v_add_f64_e64 v[14:15], v[26:27], -v[34:35]
	v_mul_f64_e32 v[16:17], v[28:29], v[38:39]
	s_delay_alu instid0(VALU_DEP_4) | instskip(NEXT) | instid1(VALU_DEP_4)
	v_mul_f64_e32 v[6:7], v[2:3], v[6:7]
	v_add_f64_e32 v[0:1], v[0:1], v[12:13]
	s_delay_alu instid0(VALU_DEP_4) | instskip(NEXT) | instid1(VALU_DEP_4)
	v_add_f64_e64 v[8:9], v[8:9], -v[14:15]
	v_fma_f64 v[12:13], -v[30:31], v[16:17], v[28:29]
	v_fmaak_f64 v[14:15], v[2:3], v[2:3], 0xc02d5d2b4189822c
	s_delay_alu instid0(VALU_DEP_1) | instskip(NEXT) | instid1(VALU_DEP_4)
	v_mul_f64_e32 v[6:7], v[14:15], v[6:7]
	v_add_f64_e32 v[0:1], v[0:1], v[8:9]
	s_delay_alu instid0(VALU_DEP_4) | instskip(SKIP_1) | instid1(VALU_DEP_1)
	v_div_fmas_f64 v[8:9], v[12:13], v[38:39], v[16:17]
	v_fmaak_f64 v[12:13], v[2:3], v[2:3], 0xc0489bf66072a432
	v_mul_f64_e32 v[6:7], v[12:13], v[6:7]
	s_delay_alu instid0(VALU_DEP_4) | instskip(NEXT) | instid1(VALU_DEP_4)
	v_add_f64_e32 v[0:1], v[26:27], v[0:1]
	v_div_fixup_f64 v[8:9], v[8:9], v[2:3], -1.0
	s_delay_alu instid0(VALU_DEP_1) | instskip(NEXT) | instid1(VALU_DEP_1)
	v_fmac_f64_e32 v[8:9], v[6:7], v[0:1]
	v_mul_f64_e32 v[0:1], 0x3fe45f306dc9c883, v[8:9]
	s_delay_alu instid0(VALU_DEP_1)
	v_fmac_f64_e32 v[0:1], v[2:3], v[4:5]
.LBB10_44:
	s_or_b32 exec_lo, exec_lo, s4
.LBB10_45:
	s_delay_alu instid0(SALU_CYCLE_1)
	s_or_b32 exec_lo, exec_lo, s2
                                        ; implicit-def: $vgpr2_vgpr3
.LBB10_46:
	s_and_not1_saveexec_b32 s4, s1
	s_cbranch_execz .LBB10_126
; %bb.47:
	v_add_f64_e32 v[0:1], 0xc002d97c7f3321d2, v[2:3]
                                        ; implicit-def: $vgpr20
                                        ; implicit-def: $vgpr4_vgpr5
                                        ; implicit-def: $vgpr6_vgpr7
	s_delay_alu instid0(VALU_DEP_1)
	v_cmp_ngt_f64_e64 s0, 0x41d00000, |v[0:1]|
	v_trig_preop_f64 v[16:17], |v[0:1]|, 0
	v_trig_preop_f64 v[14:15], |v[0:1]|, 1
	v_ldexp_f64 v[18:19], |v[0:1]|, 0xffffff80
	v_trig_preop_f64 v[12:13], |v[0:1]|, 2
	v_and_b32_e32 v22, 0x7fffffff, v1
	s_and_saveexec_b32 s1, s0
	s_delay_alu instid0(SALU_CYCLE_1)
	s_xor_b32 s1, exec_lo, s1
	s_cbranch_execz .LBB10_119
; %bb.48:
	v_cmp_le_f64_e64 vcc_lo, 0x7b000000, |v[0:1]|
	s_mov_b64 s[6:7], 0x3ff921fb54442d18
	v_dual_mov_b32 v34, 0 :: v_dual_cndmask_b32 v5, v22, v19
	v_cndmask_b32_e32 v4, v0, v18, vcc_lo
	s_delay_alu instid0(VALU_DEP_1) | instskip(SKIP_2) | instid1(VALU_DEP_3)
	v_mul_f64_e32 v[6:7], v[16:17], v[4:5]
	v_mul_f64_e32 v[8:9], v[14:15], v[4:5]
	;; [unrolled: 1-line block ×3, first 2 shown]
	v_fma_f64 v[10:11], v[16:17], v[4:5], -v[6:7]
	s_delay_alu instid0(VALU_DEP_3) | instskip(NEXT) | instid1(VALU_DEP_3)
	v_fma_f64 v[32:33], v[14:15], v[4:5], -v[8:9]
	v_fma_f64 v[4:5], v[12:13], v[4:5], -v[30:31]
	s_delay_alu instid0(VALU_DEP_3) | instskip(NEXT) | instid1(VALU_DEP_1)
	v_add_f64_e32 v[20:21], v[8:9], v[10:11]
	v_add_f64_e64 v[24:25], v[20:21], -v[8:9]
	v_add_f64_e32 v[28:29], v[6:7], v[20:21]
	s_delay_alu instid0(VALU_DEP_2) | instskip(SKIP_1) | instid1(VALU_DEP_3)
	v_add_f64_e64 v[26:27], v[20:21], -v[24:25]
	v_add_f64_e64 v[10:11], v[10:11], -v[24:25]
	v_ldexp_f64 v[24:25], v[28:29], -2
	s_delay_alu instid0(VALU_DEP_3) | instskip(SKIP_1) | instid1(VALU_DEP_3)
	v_add_f64_e64 v[8:9], v[8:9], -v[26:27]
	v_add_f64_e32 v[26:27], v[30:31], v[32:33]
	v_cmp_neq_f64_e64 vcc_lo, 0x7ff00000, |v[24:25]|
	s_delay_alu instid0(VALU_DEP_3) | instskip(SKIP_1) | instid1(VALU_DEP_1)
	v_add_f64_e32 v[8:9], v[10:11], v[8:9]
	v_fract_f64_e32 v[10:11], v[24:25]
	v_ldexp_f64 v[10:11], v[10:11], 2
	s_delay_alu instid0(VALU_DEP_1) | instskip(SKIP_1) | instid1(VALU_DEP_3)
	v_cndmask_b32_e32 v11, 0, v11, vcc_lo
	v_add_f64_e64 v[6:7], v[28:29], -v[6:7]
	v_cndmask_b32_e32 v10, 0, v10, vcc_lo
	s_delay_alu instid0(VALU_DEP_2) | instskip(SKIP_1) | instid1(VALU_DEP_1)
	v_add_f64_e64 v[6:7], v[20:21], -v[6:7]
	v_add_f64_e32 v[20:21], v[26:27], v[8:9]
	v_add_f64_e32 v[24:25], v[6:7], v[20:21]
	v_add_f64_e64 v[36:37], v[20:21], -v[26:27]
	s_delay_alu instid0(VALU_DEP_2) | instskip(NEXT) | instid1(VALU_DEP_2)
	v_add_f64_e32 v[28:29], v[24:25], v[10:11]
	v_add_f64_e64 v[50:51], v[20:21], -v[36:37]
	v_add_f64_e64 v[8:9], v[8:9], -v[36:37]
	;; [unrolled: 1-line block ×3, first 2 shown]
	s_delay_alu instid0(VALU_DEP_4) | instskip(SKIP_1) | instid1(VALU_DEP_3)
	v_cmp_gt_f64_e32 vcc_lo, 0, v[28:29]
	v_add_f64_e64 v[28:29], v[26:27], -v[30:31]
	v_add_f64_e64 v[6:7], v[20:21], -v[6:7]
	v_cndmask_b32_e64 v35, 0, 0x40100000, vcc_lo
	s_delay_alu instid0(VALU_DEP_3) | instskip(SKIP_2) | instid1(VALU_DEP_4)
	v_add_f64_e64 v[48:49], v[26:27], -v[28:29]
	v_add_f64_e64 v[28:29], v[32:33], -v[28:29]
	;; [unrolled: 1-line block ×3, first 2 shown]
	v_add_f64_e32 v[10:11], v[10:11], v[34:35]
	s_delay_alu instid0(VALU_DEP_4) | instskip(NEXT) | instid1(VALU_DEP_3)
	v_add_f64_e64 v[32:33], v[30:31], -v[48:49]
	v_add_f64_e32 v[8:9], v[8:9], v[26:27]
	s_delay_alu instid0(VALU_DEP_3) | instskip(NEXT) | instid1(VALU_DEP_3)
	v_add_f64_e32 v[38:39], v[24:25], v[10:11]
	v_add_f64_e32 v[28:29], v[28:29], v[32:33]
	s_delay_alu instid0(VALU_DEP_2) | instskip(NEXT) | instid1(VALU_DEP_2)
	v_cvt_i32_f64_e32 v23, v[38:39]
	v_add_f64_e32 v[8:9], v[28:29], v[8:9]
	s_delay_alu instid0(VALU_DEP_2) | instskip(NEXT) | instid1(VALU_DEP_2)
	v_cvt_f64_i32_e32 v[36:37], v23
	v_add_f64_e32 v[4:5], v[4:5], v[8:9]
	s_delay_alu instid0(VALU_DEP_2) | instskip(NEXT) | instid1(VALU_DEP_2)
	v_add_f64_e64 v[10:11], v[10:11], -v[36:37]
	v_add_f64_e32 v[4:5], v[6:7], v[4:5]
	s_delay_alu instid0(VALU_DEP_2) | instskip(NEXT) | instid1(VALU_DEP_1)
	v_add_f64_e32 v[26:27], v[24:25], v[10:11]
	v_add_f64_e64 v[8:9], v[26:27], -v[10:11]
	v_cmp_le_f64_e32 vcc_lo, 0.5, v[26:27]
	s_delay_alu instid0(VALU_DEP_2) | instskip(SKIP_2) | instid1(VALU_DEP_3)
	v_add_f64_e64 v[6:7], v[24:25], -v[8:9]
	v_cndmask_b32_e64 v35, 0, 0x3ff00000, vcc_lo
	v_add_co_ci_u32_e64 v20, null, 0, v23, vcc_lo
	v_add_f64_e32 v[4:5], v[4:5], v[6:7]
	s_delay_alu instid0(VALU_DEP_3) | instskip(NEXT) | instid1(VALU_DEP_1)
	v_add_f64_e64 v[6:7], v[26:27], -v[34:35]
	v_add_f64_e32 v[8:9], v[6:7], v[4:5]
	s_delay_alu instid0(VALU_DEP_1) | instskip(SKIP_1) | instid1(VALU_DEP_2)
	v_mul_f64_e32 v[10:11], 0x3ff921fb54442d18, v[8:9]
	v_add_f64_e64 v[6:7], v[8:9], -v[6:7]
	v_fma_f64 v[24:25], v[8:9], s[6:7], -v[10:11]
	s_delay_alu instid0(VALU_DEP_2) | instskip(NEXT) | instid1(VALU_DEP_2)
	v_add_f64_e64 v[4:5], v[4:5], -v[6:7]
	v_fmamk_f64 v[6:7], v[8:9], 0x3c91a62633145c07, v[24:25]
	s_delay_alu instid0(VALU_DEP_1) | instskip(NEXT) | instid1(VALU_DEP_1)
	v_fmac_f64_e32 v[6:7], 0x3ff921fb54442d18, v[4:5]
	v_add_f64_e32 v[4:5], v[10:11], v[6:7]
	s_delay_alu instid0(VALU_DEP_1) | instskip(NEXT) | instid1(VALU_DEP_1)
	v_add_f64_e64 v[8:9], v[4:5], -v[10:11]
	v_add_f64_e64 v[6:7], v[6:7], -v[8:9]
	s_and_not1_saveexec_b32 s1, s1
	s_cbranch_execz .LBB10_121
	s_branch .LBB10_120
.LBB10_49:
	s_and_not1_saveexec_b32 s0, s0
	s_cbranch_execz .LBB10_39
.LBB10_50:
	s_mov_b32 s2, exec_lo
                                        ; implicit-def: $vgpr2_vgpr3
	v_cmpx_lt_i16_e32 4, v4
	s_xor_b32 s2, exec_lo, s2
	s_cbranch_execz .LBB10_72
; %bb.51:
	s_mov_b32 s3, exec_lo
                                        ; implicit-def: $vgpr2_vgpr3
	v_cmpx_lt_i16_e32 7, v4
	s_xor_b32 s3, exec_lo, s3
	s_cbranch_execz .LBB10_61
; %bb.52:
	;; [unrolled: 6-line block ×4, first 2 shown]
	flat_load_b64 v[2:3], v[0:1]
                                        ; implicit-def: $vgpr0_vgpr1
.LBB10_55:
	s_wait_xcnt 0x0
	s_and_not1_saveexec_b32 s5, s5
	s_cbranch_execz .LBB10_57
; %bb.56:
	flat_load_b32 v0, v[0:1]
	s_wait_loadcnt_dscnt 0x0
	v_cvt_f64_f32_e32 v[2:3], v0
.LBB10_57:
	s_wait_xcnt 0x0
	s_or_b32 exec_lo, exec_lo, s5
                                        ; implicit-def: $vgpr0_vgpr1
.LBB10_58:
	s_and_not1_saveexec_b32 s4, s4
	s_cbranch_execz .LBB10_60
; %bb.59:
	flat_load_b32 v0, v[0:1]
	s_wait_loadcnt_dscnt 0x0
	v_cvt_f32_f16_e32 v0, v0
	s_delay_alu instid0(VALU_DEP_1)
	v_cvt_f64_f32_e32 v[2:3], v0
.LBB10_60:
	s_or_b32 exec_lo, exec_lo, s4
                                        ; implicit-def: $vgpr0_vgpr1
                                        ; implicit-def: $vgpr4
.LBB10_61:
	s_and_not1_saveexec_b32 s3, s3
	s_cbranch_execz .LBB10_71
; %bb.62:
	s_mov_b32 s4, exec_lo
                                        ; implicit-def: $vgpr2_vgpr3
	v_cmpx_lt_i16_e32 5, v4
	s_xor_b32 s4, exec_lo, s4
	s_cbranch_execz .LBB10_68
; %bb.63:
	s_mov_b32 s5, exec_lo
                                        ; implicit-def: $vgpr2_vgpr3
	v_cmpx_lt_i16_e32 6, v4
	s_xor_b32 s5, exec_lo, s5
	s_cbranch_execz .LBB10_65
; %bb.64:
	s_wait_loadcnt_dscnt 0x0
	flat_load_b64 v[2:3], v[0:1]
                                        ; implicit-def: $vgpr0_vgpr1
.LBB10_65:
	s_wait_xcnt 0x0
	s_and_not1_saveexec_b32 s5, s5
	s_cbranch_execz .LBB10_67
; %bb.66:
	flat_load_b32 v0, v[0:1]
	s_wait_loadcnt_dscnt 0x0
	v_cvt_f64_f32_e32 v[2:3], v0
.LBB10_67:
	s_wait_xcnt 0x0
	s_or_b32 exec_lo, exec_lo, s5
                                        ; implicit-def: $vgpr0_vgpr1
.LBB10_68:
	s_and_not1_saveexec_b32 s4, s4
	s_cbranch_execz .LBB10_70
; %bb.69:
	flat_load_u16 v0, v[0:1]
	s_wait_loadcnt_dscnt 0x0
	v_cvt_f32_f16_e32 v0, v0
	s_delay_alu instid0(VALU_DEP_1)
	v_cvt_f64_f32_e32 v[2:3], v0
.LBB10_70:
	s_or_b32 exec_lo, exec_lo, s4
.LBB10_71:
	s_delay_alu instid0(SALU_CYCLE_1)
	s_or_b32 exec_lo, exec_lo, s3
                                        ; implicit-def: $vgpr4
                                        ; implicit-def: $vgpr0_vgpr1
.LBB10_72:
	s_and_not1_saveexec_b32 s2, s2
	s_cbranch_execz .LBB10_90
; %bb.73:
	s_mov_b32 s3, exec_lo
                                        ; implicit-def: $vgpr2_vgpr3
	v_cmpx_lt_i16_e32 1, v4
	s_xor_b32 s3, exec_lo, s3
	s_cbranch_execz .LBB10_83
; %bb.74:
	s_mov_b32 s4, exec_lo
                                        ; implicit-def: $vgpr2_vgpr3
	v_cmpx_lt_i16_e32 2, v4
	s_xor_b32 s4, exec_lo, s4
	;; [unrolled: 6-line block ×3, first 2 shown]
	s_cbranch_execz .LBB10_77
; %bb.76:
	flat_load_b64 v[0:1], v[0:1]
	s_wait_loadcnt_dscnt 0x0
	v_cvt_f64_i32_e32 v[2:3], v1
	s_wait_xcnt 0x0
	v_cvt_f64_u32_e32 v[0:1], v0
	s_delay_alu instid0(VALU_DEP_2) | instskip(NEXT) | instid1(VALU_DEP_1)
	v_ldexp_f64 v[2:3], v[2:3], 32
	v_add_f64_e32 v[2:3], v[2:3], v[0:1]
                                        ; implicit-def: $vgpr0_vgpr1
.LBB10_77:
	s_and_not1_saveexec_b32 s5, s5
	s_cbranch_execz .LBB10_79
; %bb.78:
	flat_load_b32 v0, v[0:1]
	s_wait_loadcnt_dscnt 0x0
	v_cvt_f64_i32_e32 v[2:3], v0
.LBB10_79:
	s_wait_xcnt 0x0
	s_or_b32 exec_lo, exec_lo, s5
                                        ; implicit-def: $vgpr0_vgpr1
.LBB10_80:
	s_and_not1_saveexec_b32 s4, s4
	s_cbranch_execz .LBB10_82
; %bb.81:
	flat_load_i16 v0, v[0:1]
	s_wait_loadcnt_dscnt 0x0
	v_cvt_f64_i32_e32 v[2:3], v0
.LBB10_82:
	s_wait_xcnt 0x0
	s_or_b32 exec_lo, exec_lo, s4
                                        ; implicit-def: $vgpr0_vgpr1
                                        ; implicit-def: $vgpr4
.LBB10_83:
	s_and_not1_saveexec_b32 s3, s3
	s_cbranch_execz .LBB10_89
; %bb.84:
	s_mov_b32 s4, exec_lo
                                        ; implicit-def: $vgpr2_vgpr3
	v_cmpx_lt_i16_e32 0, v4
	s_xor_b32 s4, exec_lo, s4
	s_cbranch_execz .LBB10_86
; %bb.85:
	flat_load_i8 v0, v[0:1]
	s_wait_loadcnt_dscnt 0x0
	v_cvt_f64_i32_e32 v[2:3], v0
                                        ; implicit-def: $vgpr0_vgpr1
.LBB10_86:
	s_wait_xcnt 0x0
	s_and_not1_saveexec_b32 s4, s4
	s_cbranch_execz .LBB10_88
; %bb.87:
	flat_load_u8 v0, v[0:1]
	s_wait_loadcnt_dscnt 0x0
	v_cvt_f64_u32_e32 v[2:3], v0
.LBB10_88:
	s_wait_xcnt 0x0
	s_or_b32 exec_lo, exec_lo, s4
.LBB10_89:
	s_delay_alu instid0(SALU_CYCLE_1)
	s_or_b32 exec_lo, exec_lo, s3
.LBB10_90:
	s_delay_alu instid0(SALU_CYCLE_1) | instskip(NEXT) | instid1(SALU_CYCLE_1)
	s_or_b32 exec_lo, exec_lo, s2
	s_or_b32 s1, s1, exec_lo
	s_or_b32 exec_lo, exec_lo, s0
                                        ; implicit-def: $vgpr0_vgpr1
	s_and_saveexec_b32 s3, s1
	s_cbranch_execnz .LBB10_40
.LBB10_91:
	s_or_b32 exec_lo, exec_lo, s3
	s_wait_loadcnt_dscnt 0x0
	s_set_pc_i64 s[30:31]
.LBB10_92:
	s_and_not1_saveexec_b32 s2, s2
	s_cbranch_execz .LBB10_35
.LBB10_93:
	s_mov_b32 s5, s3
	s_mov_b32 s1, exec_lo
                                        ; implicit-def: $vgpr2_vgpr3
	v_cmpx_lt_i16_e32 22, v4
	s_xor_b32 s1, exec_lo, s1
	s_cbranch_execz .LBB10_109
; %bb.94:
	s_mov_b32 s5, exec_lo
                                        ; implicit-def: $vgpr2_vgpr3
	v_cmpx_lt_i16_e32 23, v4
	s_xor_b32 s5, exec_lo, s5
	s_cbranch_execz .LBB10_106
; %bb.95:
	;; [unrolled: 6-line block ×3, first 2 shown]
	flat_load_u8 v4, v[0:1]
	s_mov_b32 s7, 0
	s_mov_b32 s8, exec_lo
	s_wait_loadcnt_dscnt 0x0
	v_cmpx_lt_i16_e32 0x7f, v4
	s_xor_b32 s8, exec_lo, s8
	s_cbranch_execz .LBB10_129
; %bb.97:
	s_mov_b32 s7, -1
	s_mov_b32 s9, exec_lo
	v_cmpx_eq_u16_e32 0x80, v4
; %bb.98:
	s_xor_b32 s7, exec_lo, -1
; %bb.99:
	s_or_b32 exec_lo, exec_lo, s9
	s_delay_alu instid0(SALU_CYCLE_1)
	s_and_b32 s7, s7, exec_lo
	s_or_saveexec_b32 s8, s8
	v_mov_b64_e32 v[2:3], 0x7ff8000020000000
	s_xor_b32 exec_lo, exec_lo, s8
	s_cbranch_execnz .LBB10_130
.LBB10_100:
	s_or_b32 exec_lo, exec_lo, s8
	s_and_saveexec_b32 s8, s7
	s_cbranch_execz .LBB10_102
.LBB10_101:
	v_and_b32_e32 v2, 0xffff, v4
	s_delay_alu instid0(VALU_DEP_1) | instskip(SKIP_1) | instid1(VALU_DEP_2)
	v_and_b32_e32 v3, 3, v2
	v_bfe_u32 v7, v2, 2, 5
	v_clz_i32_u32_e32 v5, v3
	s_delay_alu instid0(VALU_DEP_2) | instskip(NEXT) | instid1(VALU_DEP_2)
	v_cmp_eq_u32_e32 vcc_lo, 0, v7
	v_min_u32_e32 v5, 32, v5
	s_delay_alu instid0(VALU_DEP_1) | instskip(NEXT) | instid1(VALU_DEP_1)
	v_subrev_nc_u32_e32 v6, 29, v5
	v_dual_lshlrev_b32 v2, v6, v2 :: v_dual_sub_nc_u32 v5, 30, v5
	s_delay_alu instid0(VALU_DEP_1) | instskip(NEXT) | instid1(VALU_DEP_2)
	v_dual_lshlrev_b32 v4, 24, v4 :: v_dual_bitop2_b32 v2, 3, v2 bitop3:0x40
	v_cndmask_b32_e32 v5, v7, v5, vcc_lo
	s_delay_alu instid0(VALU_DEP_2) | instskip(NEXT) | instid1(VALU_DEP_3)
	v_cndmask_b32_e32 v2, v3, v2, vcc_lo
	v_and_b32_e32 v3, 0x80000000, v4
	s_delay_alu instid0(VALU_DEP_3) | instskip(NEXT) | instid1(VALU_DEP_3)
	v_lshl_add_u32 v4, v5, 23, 0x37800000
	v_lshlrev_b32_e32 v2, 21, v2
	s_delay_alu instid0(VALU_DEP_1) | instskip(NEXT) | instid1(VALU_DEP_1)
	v_or3_b32 v2, v3, v4, v2
	v_cvt_f64_f32_e32 v[2:3], v2
.LBB10_102:
	s_or_b32 exec_lo, exec_lo, s8
.LBB10_103:
	s_and_not1_saveexec_b32 s6, s6
	s_cbranch_execz .LBB10_105
; %bb.104:
	flat_load_u8 v2, v[0:1]
	s_wait_loadcnt_dscnt 0x0
	v_lshlrev_b32_e32 v2, 24, v2
	s_delay_alu instid0(VALU_DEP_1) | instskip(NEXT) | instid1(VALU_DEP_1)
	v_and_b32_e32 v3, 0x7f000000, v2
	v_clz_i32_u32_e32 v4, v3
	v_cmp_ne_u32_e32 vcc_lo, 0, v3
	v_add_nc_u32_e32 v6, 0x1000000, v3
	s_delay_alu instid0(VALU_DEP_3) | instskip(NEXT) | instid1(VALU_DEP_1)
	v_min_u32_e32 v4, 32, v4
	v_sub_nc_u32_e64 v4, v4, 4 clamp
	s_delay_alu instid0(VALU_DEP_1) | instskip(NEXT) | instid1(VALU_DEP_1)
	v_dual_lshlrev_b32 v5, v4, v3 :: v_dual_lshlrev_b32 v4, 23, v4
	v_lshrrev_b32_e32 v5, 4, v5
	s_delay_alu instid0(VALU_DEP_1) | instskip(NEXT) | instid1(VALU_DEP_1)
	v_dual_sub_nc_u32 v4, v5, v4 :: v_dual_ashrrev_i32 v5, 8, v6
	v_add_nc_u32_e32 v4, 0x3c000000, v4
	s_delay_alu instid0(VALU_DEP_1) | instskip(NEXT) | instid1(VALU_DEP_1)
	v_and_or_b32 v4, 0x7f800000, v5, v4
	v_cndmask_b32_e32 v3, 0, v4, vcc_lo
	s_delay_alu instid0(VALU_DEP_1) | instskip(NEXT) | instid1(VALU_DEP_1)
	v_and_or_b32 v2, 0x80000000, v2, v3
	v_cvt_f64_f32_e32 v[2:3], v2
.LBB10_105:
	s_wait_xcnt 0x0
	s_or_b32 exec_lo, exec_lo, s6
.LBB10_106:
	s_and_not1_saveexec_b32 s5, s5
	s_cbranch_execz .LBB10_108
; %bb.107:
	flat_load_u8 v2, v[0:1]
	s_wait_loadcnt_dscnt 0x0
	v_lshlrev_b32_e32 v3, 25, v2
	v_lshlrev_b16 v2, 8, v2
	s_delay_alu instid0(VALU_DEP_1) | instskip(SKIP_1) | instid1(VALU_DEP_2)
	v_and_or_b32 v5, 0x7f00, v2, 0.5
	v_bfe_i32 v2, v2, 0, 16
	v_dual_add_f32 v5, -0.5, v5 :: v_dual_lshrrev_b32 v4, 4, v3
	v_cmp_gt_u32_e32 vcc_lo, 0x8000000, v3
	s_delay_alu instid0(VALU_DEP_2) | instskip(NEXT) | instid1(VALU_DEP_1)
	v_or_b32_e32 v4, 0x70000000, v4
	v_mul_f32_e32 v4, 0x7800000, v4
	s_delay_alu instid0(VALU_DEP_1) | instskip(NEXT) | instid1(VALU_DEP_1)
	v_cndmask_b32_e32 v3, v4, v5, vcc_lo
	v_and_or_b32 v2, 0x80000000, v2, v3
	s_delay_alu instid0(VALU_DEP_1)
	v_cvt_f64_f32_e32 v[2:3], v2
.LBB10_108:
	s_wait_xcnt 0x0
	s_or_b32 exec_lo, exec_lo, s5
	s_delay_alu instid0(SALU_CYCLE_1)
	s_or_b32 s5, s3, exec_lo
                                        ; implicit-def: $vgpr4
.LBB10_109:
	s_or_saveexec_b32 s1, s1
	s_mov_b32 s6, 0
	s_mov_b32 s7, s4
	s_xor_b32 exec_lo, exec_lo, s1
	s_cbranch_execz .LBB10_117
; %bb.110:
	s_mov_b32 s6, s4
	s_mov_b32 s7, s5
	s_mov_b32 s8, exec_lo
                                        ; implicit-def: $vgpr2_vgpr3
	v_cmpx_lt_i16_e32 14, v4
	s_xor_b32 s8, exec_lo, s8
	s_cbranch_execz .LBB10_114
; %bb.111:
	s_mov_b32 s6, -1
	s_mov_b32 s7, s5
	s_mov_b32 s9, exec_lo
                                        ; implicit-def: $vgpr2_vgpr3
	v_cmpx_eq_u16_e32 15, v4
	s_cbranch_execz .LBB10_113
; %bb.112:
	flat_load_u16 v2, v[0:1]
	s_or_b32 s7, s5, exec_lo
	s_xor_b32 s6, exec_lo, -1
	s_wait_loadcnt_dscnt 0x0
	v_lshlrev_b32_e32 v2, 16, v2
	s_delay_alu instid0(VALU_DEP_1)
	v_cvt_f64_f32_e32 v[2:3], v2
.LBB10_113:
	s_wait_xcnt 0x0
	s_or_b32 exec_lo, exec_lo, s9
	s_delay_alu instid0(SALU_CYCLE_1)
	s_and_not1_b32 s9, s5, exec_lo
	s_and_b32 s7, s7, exec_lo
	s_and_not1_b32 s10, s4, exec_lo
	s_and_b32 s6, s6, exec_lo
	s_or_b32 s7, s9, s7
	s_or_b32 s6, s10, s6
                                        ; implicit-def: $vgpr4
.LBB10_114:
	s_or_saveexec_b32 s8, s8
	s_mov_b32 s9, 0
	s_xor_b32 exec_lo, exec_lo, s8
; %bb.115:
	v_cmp_ne_u16_e32 vcc_lo, 11, v4
	s_and_not1_b32 s6, s6, exec_lo
	s_mov_b32 s9, exec_lo
	s_and_b32 s10, vcc_lo, exec_lo
	s_delay_alu instid0(SALU_CYCLE_1)
	s_or_b32 s6, s6, s10
; %bb.116:
	s_or_b32 exec_lo, exec_lo, s8
	s_delay_alu instid0(SALU_CYCLE_1)
	s_and_not1_b32 s5, s5, exec_lo
	s_and_b32 s7, s7, exec_lo
	s_and_b32 s8, s6, exec_lo
	s_or_b32 s5, s5, s7
	s_and_not1_b32 s7, s4, exec_lo
	s_and_b32 s6, s9, exec_lo
	s_or_b32 s7, s7, s8
.LBB10_117:
	s_or_b32 exec_lo, exec_lo, s1
	s_delay_alu instid0(SALU_CYCLE_1)
	s_and_not1_b32 s1, s3, exec_lo
	s_and_b32 s3, s5, exec_lo
	s_and_not1_b32 s4, s4, exec_lo
	s_and_b32 s5, s7, exec_lo
	s_or_b32 s3, s1, s3
	s_and_b32 s1, s6, exec_lo
	s_or_b32 s4, s4, s5
	s_or_b32 exec_lo, exec_lo, s2
	s_and_saveexec_b32 s2, s4
	s_cbranch_execz .LBB10_36
.LBB10_118:
	s_trap 2
	; divergent unreachable
	s_and_not1_b32 s1, s1, exec_lo
	s_or_b32 exec_lo, exec_lo, s2
	s_and_saveexec_b32 s2, s1
	s_delay_alu instid0(SALU_CYCLE_1)
	s_xor_b32 s1, exec_lo, s2
	s_cbranch_execnz .LBB10_37
	s_branch .LBB10_38
.LBB10_119:
	s_and_not1_saveexec_b32 s1, s1
	s_cbranch_execz .LBB10_121
.LBB10_120:
	s_mov_b64 s[6:7], 0x3fe45f306dc9c883
	s_delay_alu instid0(SALU_CYCLE_1) | instskip(SKIP_1) | instid1(VALU_DEP_1)
	v_mul_f64_e64 v[4:5], |v[0:1]|, s[6:7]
	s_mov_b64 s[6:7], 0xbff921fb54442d18
	v_rndne_f64_e32 v[8:9], v[4:5]
	s_delay_alu instid0(VALU_DEP_1) | instskip(SKIP_1) | instid1(VALU_DEP_2)
	v_fma_f64 v[4:5], v[8:9], s[6:7], |v[0:1]|
	v_mul_f64_e32 v[6:7], 0xbc91a62633145c00, v[8:9]
	v_fmamk_f64 v[24:25], v[8:9], 0xbc91a62633145c00, v[4:5]
	s_delay_alu instid0(VALU_DEP_2) | instskip(NEXT) | instid1(VALU_DEP_1)
	v_add_f64_e32 v[10:11], v[4:5], v[6:7]
	v_add_f64_e64 v[20:21], v[4:5], -v[10:11]
	s_delay_alu instid0(VALU_DEP_3) | instskip(NEXT) | instid1(VALU_DEP_2)
	v_add_f64_e64 v[4:5], v[10:11], -v[24:25]
	v_add_f64_e32 v[10:11], v[20:21], v[6:7]
	v_fmamk_f64 v[6:7], v[8:9], 0x3c91a62633145c00, v[6:7]
	v_cvt_i32_f64_e32 v20, v[8:9]
	s_delay_alu instid0(VALU_DEP_3) | instskip(NEXT) | instid1(VALU_DEP_1)
	v_add_f64_e32 v[4:5], v[4:5], v[10:11]
	v_add_f64_e64 v[4:5], v[4:5], -v[6:7]
	s_delay_alu instid0(VALU_DEP_1) | instskip(NEXT) | instid1(VALU_DEP_1)
	v_fmamk_f64 v[6:7], v[8:9], 0xb97b839a252049c0, v[4:5]
	v_add_f64_e32 v[4:5], v[24:25], v[6:7]
	s_delay_alu instid0(VALU_DEP_1) | instskip(NEXT) | instid1(VALU_DEP_1)
	v_add_f64_e64 v[10:11], v[4:5], -v[24:25]
	v_add_f64_e64 v[6:7], v[6:7], -v[10:11]
.LBB10_121:
	s_or_b32 exec_lo, exec_lo, s1
                                        ; implicit-def: $vgpr21
                                        ; implicit-def: $vgpr8_vgpr9
                                        ; implicit-def: $vgpr10_vgpr11
	s_and_saveexec_b32 s1, s0
	s_delay_alu instid0(SALU_CYCLE_1)
	s_xor_b32 s0, exec_lo, s1
	s_cbranch_execz .LBB10_123
; %bb.122:
	v_cmp_le_f64_e64 vcc_lo, 0x7b000000, |v[0:1]|
	s_mov_b64 s[6:7], 0x3ff921fb54442d18
	v_dual_mov_b32 v32, 0 :: v_dual_cndmask_b32 v9, v22, v19
	v_cndmask_b32_e32 v8, v0, v18, vcc_lo
	s_delay_alu instid0(VALU_DEP_1) | instskip(SKIP_2) | instid1(VALU_DEP_3)
	v_mul_f64_e32 v[10:11], v[16:17], v[8:9]
	v_mul_f64_e32 v[18:19], v[14:15], v[8:9]
	;; [unrolled: 1-line block ×3, first 2 shown]
	v_fma_f64 v[16:17], v[16:17], v[8:9], -v[10:11]
	s_delay_alu instid0(VALU_DEP_3) | instskip(NEXT) | instid1(VALU_DEP_3)
	v_fma_f64 v[14:15], v[14:15], v[8:9], -v[18:19]
	v_fma_f64 v[8:9], v[12:13], v[8:9], -v[30:31]
	s_delay_alu instid0(VALU_DEP_3) | instskip(NEXT) | instid1(VALU_DEP_1)
	v_add_f64_e32 v[22:23], v[18:19], v[16:17]
	v_add_f64_e64 v[24:25], v[22:23], -v[18:19]
	v_add_f64_e32 v[28:29], v[10:11], v[22:23]
	s_delay_alu instid0(VALU_DEP_2) | instskip(SKIP_1) | instid1(VALU_DEP_3)
	v_add_f64_e64 v[26:27], v[22:23], -v[24:25]
	v_add_f64_e64 v[16:17], v[16:17], -v[24:25]
	v_ldexp_f64 v[24:25], v[28:29], -2
	s_delay_alu instid0(VALU_DEP_3) | instskip(SKIP_1) | instid1(VALU_DEP_3)
	v_add_f64_e64 v[18:19], v[18:19], -v[26:27]
	v_add_f64_e32 v[26:27], v[30:31], v[14:15]
	v_cmp_neq_f64_e64 vcc_lo, 0x7ff00000, |v[24:25]|
	s_delay_alu instid0(VALU_DEP_3) | instskip(SKIP_1) | instid1(VALU_DEP_1)
	v_add_f64_e32 v[16:17], v[16:17], v[18:19]
	v_fract_f64_e32 v[18:19], v[24:25]
	v_ldexp_f64 v[18:19], v[18:19], 2
	s_delay_alu instid0(VALU_DEP_1) | instskip(SKIP_1) | instid1(VALU_DEP_3)
	v_cndmask_b32_e32 v19, 0, v19, vcc_lo
	v_add_f64_e64 v[10:11], v[28:29], -v[10:11]
	v_cndmask_b32_e32 v18, 0, v18, vcc_lo
	s_delay_alu instid0(VALU_DEP_2) | instskip(SKIP_1) | instid1(VALU_DEP_1)
	v_add_f64_e64 v[10:11], v[22:23], -v[10:11]
	v_add_f64_e32 v[22:23], v[26:27], v[16:17]
	v_add_f64_e32 v[24:25], v[10:11], v[22:23]
	v_add_f64_e64 v[34:35], v[22:23], -v[26:27]
	s_delay_alu instid0(VALU_DEP_2) | instskip(NEXT) | instid1(VALU_DEP_2)
	v_add_f64_e32 v[28:29], v[24:25], v[18:19]
	v_add_f64_e64 v[48:49], v[22:23], -v[34:35]
	v_add_f64_e64 v[16:17], v[16:17], -v[34:35]
	;; [unrolled: 1-line block ×3, first 2 shown]
	s_delay_alu instid0(VALU_DEP_4) | instskip(SKIP_1) | instid1(VALU_DEP_3)
	v_cmp_gt_f64_e32 vcc_lo, 0, v[28:29]
	v_add_f64_e64 v[28:29], v[26:27], -v[30:31]
	v_add_f64_e64 v[10:11], v[22:23], -v[10:11]
	v_cndmask_b32_e64 v33, 0, 0x40100000, vcc_lo
	s_delay_alu instid0(VALU_DEP_3) | instskip(SKIP_2) | instid1(VALU_DEP_4)
	v_add_f64_e64 v[38:39], v[26:27], -v[28:29]
	v_add_f64_e64 v[14:15], v[14:15], -v[28:29]
	;; [unrolled: 1-line block ×3, first 2 shown]
	v_add_f64_e32 v[18:19], v[18:19], v[32:33]
	s_delay_alu instid0(VALU_DEP_4) | instskip(NEXT) | instid1(VALU_DEP_3)
	v_add_f64_e64 v[28:29], v[30:31], -v[38:39]
	v_add_f64_e32 v[16:17], v[16:17], v[26:27]
	s_delay_alu instid0(VALU_DEP_3) | instskip(NEXT) | instid1(VALU_DEP_3)
	v_add_f64_e32 v[36:37], v[24:25], v[18:19]
	v_add_f64_e32 v[14:15], v[14:15], v[28:29]
	s_delay_alu instid0(VALU_DEP_2) | instskip(NEXT) | instid1(VALU_DEP_2)
	v_cvt_i32_f64_e32 v21, v[36:37]
	v_add_f64_e32 v[12:13], v[14:15], v[16:17]
	s_delay_alu instid0(VALU_DEP_2) | instskip(NEXT) | instid1(VALU_DEP_2)
	v_cvt_f64_i32_e32 v[34:35], v21
	v_add_f64_e32 v[8:9], v[8:9], v[12:13]
	s_delay_alu instid0(VALU_DEP_2) | instskip(NEXT) | instid1(VALU_DEP_2)
	v_add_f64_e64 v[18:19], v[18:19], -v[34:35]
	v_add_f64_e32 v[8:9], v[10:11], v[8:9]
	s_delay_alu instid0(VALU_DEP_2) | instskip(NEXT) | instid1(VALU_DEP_1)
	v_add_f64_e32 v[14:15], v[24:25], v[18:19]
	v_add_f64_e64 v[12:13], v[14:15], -v[18:19]
	v_cmp_le_f64_e32 vcc_lo, 0.5, v[14:15]
	s_delay_alu instid0(VALU_DEP_2) | instskip(SKIP_2) | instid1(VALU_DEP_3)
	v_add_f64_e64 v[10:11], v[24:25], -v[12:13]
	v_cndmask_b32_e64 v33, 0, 0x3ff00000, vcc_lo
	v_add_co_ci_u32_e64 v21, null, 0, v21, vcc_lo
	v_add_f64_e32 v[8:9], v[8:9], v[10:11]
	s_delay_alu instid0(VALU_DEP_3) | instskip(NEXT) | instid1(VALU_DEP_1)
	v_add_f64_e64 v[10:11], v[14:15], -v[32:33]
	v_add_f64_e32 v[12:13], v[10:11], v[8:9]
	s_delay_alu instid0(VALU_DEP_1) | instskip(SKIP_1) | instid1(VALU_DEP_2)
	v_mul_f64_e32 v[14:15], 0x3ff921fb54442d18, v[12:13]
	v_add_f64_e64 v[10:11], v[12:13], -v[10:11]
	v_fma_f64 v[16:17], v[12:13], s[6:7], -v[14:15]
	s_delay_alu instid0(VALU_DEP_2) | instskip(NEXT) | instid1(VALU_DEP_2)
	v_add_f64_e64 v[8:9], v[8:9], -v[10:11]
	v_fmamk_f64 v[10:11], v[12:13], 0x3c91a62633145c07, v[16:17]
	s_delay_alu instid0(VALU_DEP_1) | instskip(NEXT) | instid1(VALU_DEP_1)
	v_fmac_f64_e32 v[10:11], 0x3ff921fb54442d18, v[8:9]
	v_add_f64_e32 v[8:9], v[14:15], v[10:11]
	s_delay_alu instid0(VALU_DEP_1) | instskip(NEXT) | instid1(VALU_DEP_1)
	v_add_f64_e64 v[12:13], v[8:9], -v[14:15]
	v_add_f64_e64 v[10:11], v[10:11], -v[12:13]
	s_and_not1_saveexec_b32 s0, s0
	s_cbranch_execnz .LBB10_124
	s_branch .LBB10_125
.LBB10_123:
	s_and_not1_saveexec_b32 s0, s0
	s_cbranch_execz .LBB10_125
.LBB10_124:
	s_mov_b64 s[6:7], 0x3fe45f306dc9c883
	s_delay_alu instid0(SALU_CYCLE_1) | instskip(SKIP_1) | instid1(VALU_DEP_1)
	v_mul_f64_e64 v[8:9], |v[0:1]|, s[6:7]
	s_mov_b64 s[6:7], 0xbff921fb54442d18
	v_rndne_f64_e32 v[12:13], v[8:9]
	s_delay_alu instid0(VALU_DEP_1) | instskip(SKIP_2) | instid1(VALU_DEP_3)
	v_fma_f64 v[8:9], v[12:13], s[6:7], |v[0:1]|
	v_mul_f64_e32 v[10:11], 0xbc91a62633145c00, v[12:13]
	v_cvt_i32_f64_e32 v21, v[12:13]
	v_fmamk_f64 v[18:19], v[12:13], 0xbc91a62633145c00, v[8:9]
	s_delay_alu instid0(VALU_DEP_3) | instskip(NEXT) | instid1(VALU_DEP_1)
	v_add_f64_e32 v[14:15], v[8:9], v[10:11]
	v_add_f64_e64 v[16:17], v[8:9], -v[14:15]
	s_delay_alu instid0(VALU_DEP_3) | instskip(NEXT) | instid1(VALU_DEP_2)
	v_add_f64_e64 v[8:9], v[14:15], -v[18:19]
	v_add_f64_e32 v[14:15], v[16:17], v[10:11]
	v_fmamk_f64 v[10:11], v[12:13], 0x3c91a62633145c00, v[10:11]
	s_delay_alu instid0(VALU_DEP_2) | instskip(NEXT) | instid1(VALU_DEP_1)
	v_add_f64_e32 v[8:9], v[8:9], v[14:15]
	v_add_f64_e64 v[8:9], v[8:9], -v[10:11]
	s_delay_alu instid0(VALU_DEP_1) | instskip(NEXT) | instid1(VALU_DEP_1)
	v_fmamk_f64 v[10:11], v[12:13], 0xb97b839a252049c0, v[8:9]
	v_add_f64_e32 v[8:9], v[18:19], v[10:11]
	s_delay_alu instid0(VALU_DEP_1) | instskip(NEXT) | instid1(VALU_DEP_1)
	v_add_f64_e64 v[14:15], v[8:9], -v[18:19]
	v_add_f64_e64 v[10:11], v[10:11], -v[14:15]
.LBB10_125:
	s_or_b32 exec_lo, exec_lo, s0
	v_div_scale_f64 v[12:13], null, v[2:3], v[2:3], 0x40140000
	v_div_scale_f64 v[18:19], vcc_lo, 0x40140000, v[2:3], 0x40140000
	v_mul_f64_e32 v[26:27], v[4:5], v[4:5]
	v_mul_f64_e32 v[28:29], v[8:9], v[8:9]
	v_mov_b64_e32 v[34:35], 0x3e21eeb69037ab78
	v_mov_b64_e32 v[36:37], 0xbe5ae600b42fdfa7
	v_mul_f64_e32 v[50:51], 0.5, v[6:7]
	v_mov_b64_e32 v[70:71], 0xbe927e4fa17f65f6
	v_cmp_gt_f64_e64 s0, 0x10000000, v[2:3]
	v_rcp_f64_e32 v[14:15], v[12:13]
	v_mul_f64_e32 v[38:39], 0.5, v[26:27]
	v_fmamk_f64 v[48:49], v[26:27], 0xbda907db46cc5e42, v[34:35]
	v_fmac_f64_e32 v[34:35], 0xbda907db46cc5e42, v[28:29]
	v_mul_f64_e64 v[52:53], v[4:5], -v[26:27]
	v_fmamk_f64 v[64:65], v[26:27], 0x3de5e0b2f9a43bb8, v[36:37]
	v_fmac_f64_e32 v[36:37], 0x3de5e0b2f9a43bb8, v[28:29]
	v_mul_f64_e32 v[66:67], 0.5, v[28:29]
	v_cndmask_b32_e64 v82, 0, 0x100, s0
	v_fmaak_f64 v[48:49], v[26:27], v[48:49], 0xbe927e4fa17f65f6
	v_fmaak_f64 v[64:65], v[26:27], v[64:65], 0x3ec71de3796cde01
	s_delay_alu instid0(VALU_DEP_2) | instskip(NEXT) | instid1(VALU_DEP_2)
	v_fmaak_f64 v[48:49], v[26:27], v[48:49], 0x3efa01a019f4ec90
	v_fmaak_f64 v[64:65], v[26:27], v[64:65], 0xbf2a01a019e83e5c
	s_delay_alu instid0(VALU_DEP_2) | instskip(NEXT) | instid1(VALU_DEP_2)
	v_fmaak_f64 v[48:49], v[26:27], v[48:49], 0xbf56c16c16c16967
	v_fmaak_f64 v[64:65], v[26:27], v[64:65], 0x3f81111111110bb3
	s_delay_alu instid0(VALU_DEP_2) | instskip(SKIP_2) | instid1(TRANS32_DEP_1)
	v_fmaak_f64 v[48:49], v[26:27], v[48:49], 0x3fa5555555555555
	v_add_f64_e64 v[80:81], -v[38:39], 1.0
	v_fmac_f64_e32 v[70:71], v[28:29], v[34:35]
	v_fma_f64 v[16:17], -v[12:13], v[14:15], 1.0
	v_mov_b64_e32 v[34:35], 0x3ec71de3796cde01
	v_fmac_f64_e32 v[50:51], v[52:53], v[64:65]
	s_delay_alu instid0(VALU_DEP_2) | instskip(SKIP_2) | instid1(VALU_DEP_4)
	v_fmac_f64_e32 v[34:35], v[28:29], v[36:37]
	v_add_f64_e64 v[36:37], -v[66:67], 1.0
	v_fmac_f64_e32 v[14:15], v[14:15], v[16:17]
	v_fma_f64 v[50:51], v[26:27], v[50:51], -v[6:7]
	v_mul_f64_e32 v[26:27], v[26:27], v[26:27]
	s_delay_alu instid0(VALU_DEP_3) | instskip(NEXT) | instid1(VALU_DEP_3)
	v_fma_f64 v[16:17], -v[12:13], v[14:15], 1.0
	v_fmac_f64_e32 v[50:51], 0xbfc5555555555555, v[52:53]
	v_mov_b64_e32 v[52:53], 0x3f81111111110bb3
	s_delay_alu instid0(VALU_DEP_3) | instskip(NEXT) | instid1(VALU_DEP_1)
	v_fmac_f64_e32 v[14:15], v[14:15], v[16:17]
	v_mul_f64_e32 v[16:17], v[18:19], v[14:15]
	s_delay_alu instid0(VALU_DEP_1) | instskip(NEXT) | instid1(VALU_DEP_1)
	v_fma_f64 v[12:13], -v[12:13], v[16:17], v[18:19]
	v_div_fmas_f64 v[12:13], v[12:13], v[14:15], v[16:17]
	s_delay_alu instid0(VALU_DEP_1) | instskip(SKIP_2) | instid1(VALU_DEP_3)
	v_div_fixup_f64 v[12:13], v[12:13], v[2:3], 0x40140000
	v_ldexp_f64 v[2:3], v[2:3], v82
	v_add_f64_e64 v[82:83], -v[80:81], 1.0
	v_mul_f64_e32 v[14:15], v[12:13], v[12:13]
	s_delay_alu instid0(VALU_DEP_2) | instskip(SKIP_1) | instid1(VALU_DEP_3)
	v_add_f64_e64 v[38:39], v[82:83], -v[38:39]
	v_mov_b64_e32 v[82:83], 0xbf56c16c16c16967
	v_fmaak_f64 v[16:17], 0, v[14:15], 0x3faa27fa6b70ba40
	v_fmaak_f64 v[18:19], 0, v[14:15], 0x40528f3060895077
	;; [unrolled: 1-line block ×4, first 2 shown]
	v_fma_f64 v[6:7], v[4:5], -v[6:7], v[38:39]
	v_mov_b64_e32 v[38:39], 0x3fa5555555555555
	v_add_f64_e64 v[4:5], v[4:5], -v[50:51]
	v_fmaak_f64 v[16:17], v[14:15], v[16:17], 0x4013edb5c66d8fd6
	v_fmaak_f64 v[18:19], v[14:15], v[18:19], 0x409081cba20e5f6f
	;; [unrolled: 1-line block ×4, first 2 shown]
	s_delay_alu instid0(VALU_DEP_4) | instskip(NEXT) | instid1(VALU_DEP_4)
	v_fmaak_f64 v[16:17], v[14:15], v[16:17], 0x4052f4b99acf1c67
	v_fmaak_f64 v[18:19], v[14:15], v[18:19], 0x40b37a691bfdfe81
	s_delay_alu instid0(VALU_DEP_4) | instskip(NEXT) | instid1(VALU_DEP_4)
	v_fmaak_f64 v[22:23], v[14:15], v[22:23], 0x3ff1aea9b850eed6
	v_fmaak_f64 v[24:25], v[14:15], v[24:25], 0x3ff208fec21596d6
	;; [unrolled: 3-line block ×8, first 2 shown]
	v_fmac_f64_e32 v[6:7], v[26:27], v[48:49]
	v_fmaak_f64 v[16:17], v[14:15], v[16:17], 0x406a760a4c54bb0b
	v_fmaak_f64 v[18:19], v[14:15], v[18:19], 0x4075017f6ae75997
	v_fma_f64 v[22:23], v[14:15], v[22:23], 1.0
	s_delay_alu instid0(VALU_DEP_3) | instskip(SKIP_1) | instid1(VALU_DEP_2)
	v_fmaak_f64 v[16:17], v[14:15], v[16:17], 0x403934ff4d159eb5
	v_fma_f64 v[14:15], v[14:15], v[24:25], 1.0
	v_div_scale_f64 v[24:25], null, v[18:19], v[18:19], v[16:17]
	v_add_f64_e32 v[6:7], v[80:81], v[6:7]
	s_delay_alu instid0(VALU_DEP_3) | instskip(NEXT) | instid1(VALU_DEP_3)
	v_div_scale_f64 v[30:31], null, v[22:23], v[22:23], v[14:15]
	v_rcp_f64_e32 v[32:33], v[24:25]
	s_delay_alu instid0(VALU_DEP_1) | instskip(NEXT) | instid1(TRANS32_DEP_2)
	v_rcp_f64_e32 v[54:55], v[30:31]
	v_fma_f64 v[68:69], -v[24:25], v[32:33], 1.0
	s_delay_alu instid0(TRANS32_DEP_1) | instskip(NEXT) | instid1(VALU_DEP_2)
	v_fma_f64 v[64:65], -v[30:31], v[54:55], 1.0
	v_fmac_f64_e32 v[32:33], v[32:33], v[68:69]
	v_mov_b64_e32 v[68:69], 0x3efa01a019f4ec90
	s_delay_alu instid0(VALU_DEP_1) | instskip(SKIP_1) | instid1(VALU_DEP_1)
	v_fmac_f64_e32 v[68:69], v[28:29], v[70:71]
	v_mov_b64_e32 v[70:71], 0xbf2a01a019e83e5c
	v_fmac_f64_e32 v[70:71], v[28:29], v[34:35]
	v_add_f64_e64 v[34:35], -v[36:37], 1.0
	v_fmac_f64_e32 v[54:55], v[54:55], v[64:65]
	v_fma_f64 v[64:65], -v[24:25], v[32:33], 1.0
	v_fmac_f64_e32 v[82:83], v[28:29], v[68:69]
	v_mul_f64_e32 v[68:69], 0.5, v[10:11]
	v_fmac_f64_e32 v[52:53], v[28:29], v[70:71]
	v_add_f64_e64 v[34:35], v[34:35], -v[66:67]
	v_mul_f64_e64 v[66:67], v[8:9], -v[28:29]
	v_fma_f64 v[70:71], -v[30:31], v[54:55], 1.0
	v_fmac_f64_e32 v[32:33], v[32:33], v[64:65]
	v_div_scale_f64 v[64:65], s1, v[16:17], v[18:19], v[16:17]
	v_fmac_f64_e32 v[38:39], v[28:29], v[82:83]
	v_rsq_f64_e32 v[82:83], v[2:3]
	v_fmac_f64_e32 v[68:69], v[66:67], v[52:53]
	v_fmac_f64_e32 v[54:55], v[54:55], v[70:71]
	v_div_scale_f64 v[70:71], vcc_lo, v[14:15], v[22:23], v[14:15]
	v_mul_f64_e32 v[52:53], v[64:65], v[32:33]
	s_delay_alu instid0(VALU_DEP_1) | instskip(NEXT) | instid1(VALU_DEP_3)
	v_fma_f64 v[24:25], -v[24:25], v[52:53], v[64:65]
	v_mul_f64_e32 v[64:65], v[70:71], v[54:55]
	s_delay_alu instid0(VALU_DEP_1) | instskip(NEXT) | instid1(VALU_DEP_1)
	v_fma_f64 v[30:31], -v[30:31], v[64:65], v[70:71]
	v_div_fmas_f64 v[26:27], v[30:31], v[54:55], v[64:65]
	s_mov_b32 vcc_lo, s1
	v_cmp_class_f64_e64 s1, v[0:1], 0x1f8
	v_div_fmas_f64 v[24:25], v[24:25], v[32:33], v[52:53]
	v_and_b32_e32 v0, 1, v21
	s_delay_alu instid0(VALU_DEP_1) | instskip(SKIP_1) | instid1(VALU_DEP_4)
	v_cmp_eq_u32_e64 s2, 0, v0
	v_div_fixup_f64 v[14:15], v[26:27], v[22:23], v[14:15]
	v_div_fixup_f64 v[16:17], v[24:25], v[18:19], v[16:17]
	v_and_b32_e32 v18, 1, v20
	s_delay_alu instid0(VALU_DEP_1) | instskip(SKIP_2) | instid1(TRANS32_DEP_1)
	v_cmp_eq_u32_e32 vcc_lo, 0, v18
	v_fma_f64 v[34:35], v[8:9], -v[10:11], v[34:35]
	v_fma_f64 v[10:11], v[28:29], v[68:69], -v[10:11]
	v_mul_f64_e32 v[68:69], v[2:3], v[82:83]
	v_mul_f64_e32 v[82:83], 0.5, v[82:83]
	v_mul_f64_e32 v[28:29], v[28:29], v[28:29]
	v_dual_cndmask_b32 v4, v6, v4, vcc_lo :: v_dual_lshlrev_b32 v6, 30, v21
	v_mul_f64_e32 v[12:13], v[12:13], v[16:17]
	v_fmac_f64_e32 v[10:11], 0xbfc5555555555555, v[66:67]
	v_fma_f64 v[70:71], -v[82:83], v[68:69], 0.5
	v_fmac_f64_e32 v[34:35], v[28:29], v[38:39]
	s_delay_alu instid0(VALU_DEP_3) | instskip(NEXT) | instid1(VALU_DEP_3)
	v_add_f64_e64 v[8:9], v[8:9], -v[10:11]
	v_fmac_f64_e32 v[68:69], v[68:69], v[70:71]
	v_fmac_f64_e32 v[82:83], v[82:83], v[70:71]
	s_delay_alu instid0(VALU_DEP_4) | instskip(NEXT) | instid1(VALU_DEP_4)
	v_add_f64_e32 v[10:11], v[36:37], v[34:35]
	v_xor_b32_e32 v0, 0x80000000, v9
	s_delay_alu instid0(VALU_DEP_4) | instskip(NEXT) | instid1(VALU_DEP_3)
	v_fma_f64 v[28:29], -v[68:69], v[68:69], v[2:3]
	v_cndmask_b32_e64 v10, v8, v10, s2
	s_delay_alu instid0(VALU_DEP_1) | instskip(NEXT) | instid1(VALU_DEP_1)
	v_dual_cndmask_b32 v0, v0, v11, s2 :: v_dual_cndmask_b32 v10, 0, v10, s1
	v_bitop3_b32 v6, v0, v6, 0x80000000 bitop3:0x78
	v_cndmask_b32_e64 v0, 0, v4, s1
	v_lshlrev_b32_e32 v4, 30, v20
	s_delay_alu instid0(VALU_DEP_3) | instskip(NEXT) | instid1(VALU_DEP_2)
	v_cndmask_b32_e64 v11, 0x7ff80000, v6, s1
	v_xor_b32_e32 v1, v4, v1
	v_cndmask_b32_e32 v4, v7, v5, vcc_lo
	v_cmp_class_f64_e64 vcc_lo, v[2:3], 0x260
	s_delay_alu instid0(VALU_DEP_4) | instskip(NEXT) | instid1(VALU_DEP_3)
	v_mul_f64_e32 v[10:11], v[12:13], v[10:11]
	v_bitop3_b32 v1, v4, v1, 0x80000000 bitop3:0x78
	s_delay_alu instid0(VALU_DEP_1) | instskip(SKIP_1) | instid1(VALU_DEP_2)
	v_cndmask_b32_e64 v1, 0x7ff80000, v1, s1
	v_fmac_f64_e32 v[68:69], v[28:29], v[82:83]
	v_fmac_f64_e32 v[10:11], v[14:15], v[0:1]
	v_cndmask_b32_e64 v0, 0, 0xffffff80, s0
	s_delay_alu instid0(VALU_DEP_3) | instskip(NEXT) | instid1(VALU_DEP_3)
	v_fma_f64 v[8:9], -v[68:69], v[68:69], v[2:3]
	v_mul_f64_e32 v[4:5], 0x3fe9884533d43651, v[10:11]
	s_delay_alu instid0(VALU_DEP_2) | instskip(NEXT) | instid1(VALU_DEP_1)
	v_fmac_f64_e32 v[68:69], v[8:9], v[82:83]
	v_ldexp_f64 v[0:1], v[68:69], v0
	s_delay_alu instid0(VALU_DEP_1) | instskip(NEXT) | instid1(VALU_DEP_1)
	v_dual_cndmask_b32 v1, v1, v3 :: v_dual_cndmask_b32 v0, v0, v2
	v_div_scale_f64 v[2:3], null, v[0:1], v[0:1], v[4:5]
	s_delay_alu instid0(VALU_DEP_1) | instskip(SKIP_1) | instid1(TRANS32_DEP_1)
	v_rcp_f64_e32 v[6:7], v[2:3]
	v_nop
	v_fma_f64 v[8:9], -v[2:3], v[6:7], 1.0
	s_delay_alu instid0(VALU_DEP_1) | instskip(NEXT) | instid1(VALU_DEP_1)
	v_fmac_f64_e32 v[6:7], v[6:7], v[8:9]
	v_fma_f64 v[8:9], -v[2:3], v[6:7], 1.0
	s_delay_alu instid0(VALU_DEP_1) | instskip(SKIP_1) | instid1(VALU_DEP_1)
	v_fmac_f64_e32 v[6:7], v[6:7], v[8:9]
	v_div_scale_f64 v[8:9], vcc_lo, v[4:5], v[0:1], v[4:5]
	v_mul_f64_e32 v[10:11], v[8:9], v[6:7]
	s_delay_alu instid0(VALU_DEP_1) | instskip(NEXT) | instid1(VALU_DEP_1)
	v_fma_f64 v[2:3], -v[2:3], v[10:11], v[8:9]
	v_div_fmas_f64 v[2:3], v[2:3], v[6:7], v[10:11]
	s_delay_alu instid0(VALU_DEP_1)
	v_div_fixup_f64 v[0:1], v[2:3], v[0:1], v[4:5]
.LBB10_126:
	s_or_b32 exec_lo, exec_lo, s4
	s_delay_alu instid0(SALU_CYCLE_1)
	s_or_b32 exec_lo, exec_lo, s3
	s_set_pc_i64 s[30:31]
.LBB10_127:
	s_or_saveexec_b32 s8, s8
	v_mov_b64_e32 v[2:3], 0x7ff8000020000000
	s_xor_b32 exec_lo, exec_lo, s8
	s_cbranch_execz .LBB10_30
.LBB10_128:
	v_cmp_ne_u16_e32 vcc_lo, 0, v4
	v_mov_b64_e32 v[2:3], 0
	s_and_not1_b32 s7, s7, exec_lo
	s_and_b32 s9, vcc_lo, exec_lo
	s_delay_alu instid0(SALU_CYCLE_1)
	s_or_b32 s7, s7, s9
	s_or_b32 exec_lo, exec_lo, s8
	s_and_saveexec_b32 s8, s7
	s_cbranch_execnz .LBB10_31
	s_branch .LBB10_32
.LBB10_129:
	s_or_saveexec_b32 s8, s8
	v_mov_b64_e32 v[2:3], 0x7ff8000020000000
	s_xor_b32 exec_lo, exec_lo, s8
	s_cbranch_execz .LBB10_100
.LBB10_130:
	v_cmp_ne_u16_e32 vcc_lo, 0, v4
	v_mov_b64_e32 v[2:3], 0
	s_and_not1_b32 s7, s7, exec_lo
	s_and_b32 s9, vcc_lo, exec_lo
	s_delay_alu instid0(SALU_CYCLE_1)
	s_or_b32 s7, s7, s9
	s_or_b32 exec_lo, exec_lo, s8
	s_and_saveexec_b32 s8, s7
	s_cbranch_execnz .LBB10_101
	s_branch .LBB10_102
.Lfunc_end10:
	.size	_ZN2at6native6invokeIZZZNS0_12_GLOBAL__N_121bessel_y1_kernel_cudaERNS_18TensorIteratorBaseEENKUlvE_clEvENKUlvE_clEvEUldE_j15function_traitsIS7_EEENT1_11result_typeERKT_PrKPcPKT0_PKN3c1010ScalarTypeEi, .Lfunc_end10-_ZN2at6native6invokeIZZZNS0_12_GLOBAL__N_121bessel_y1_kernel_cudaERNS_18TensorIteratorBaseEENKUlvE_clEvENKUlvE_clEvEUldE_j15function_traitsIS7_EEENT1_11result_typeERKT_PrKPcPKT0_PKN3c1010ScalarTypeEi
                                        ; -- End function
	.set .L_ZN2at6native6invokeIZZZNS0_12_GLOBAL__N_121bessel_y1_kernel_cudaERNS_18TensorIteratorBaseEENKUlvE_clEvENKUlvE_clEvEUldE_j15function_traitsIS7_EEENT1_11result_typeERKT_PrKPcPKT0_PKN3c1010ScalarTypeEi.num_vgpr, 84
	.set .L_ZN2at6native6invokeIZZZNS0_12_GLOBAL__N_121bessel_y1_kernel_cudaERNS_18TensorIteratorBaseEENKUlvE_clEvENKUlvE_clEvEUldE_j15function_traitsIS7_EEENT1_11result_typeERKT_PrKPcPKT0_PKN3c1010ScalarTypeEi.num_agpr, 0
	.set .L_ZN2at6native6invokeIZZZNS0_12_GLOBAL__N_121bessel_y1_kernel_cudaERNS_18TensorIteratorBaseEENKUlvE_clEvENKUlvE_clEvEUldE_j15function_traitsIS7_EEENT1_11result_typeERKT_PrKPcPKT0_PKN3c1010ScalarTypeEi.numbered_sgpr, 32
	.set .L_ZN2at6native6invokeIZZZNS0_12_GLOBAL__N_121bessel_y1_kernel_cudaERNS_18TensorIteratorBaseEENKUlvE_clEvENKUlvE_clEvEUldE_j15function_traitsIS7_EEENT1_11result_typeERKT_PrKPcPKT0_PKN3c1010ScalarTypeEi.num_named_barrier, 0
	.set .L_ZN2at6native6invokeIZZZNS0_12_GLOBAL__N_121bessel_y1_kernel_cudaERNS_18TensorIteratorBaseEENKUlvE_clEvENKUlvE_clEvEUldE_j15function_traitsIS7_EEENT1_11result_typeERKT_PrKPcPKT0_PKN3c1010ScalarTypeEi.private_seg_size, 0
	.set .L_ZN2at6native6invokeIZZZNS0_12_GLOBAL__N_121bessel_y1_kernel_cudaERNS_18TensorIteratorBaseEENKUlvE_clEvENKUlvE_clEvEUldE_j15function_traitsIS7_EEENT1_11result_typeERKT_PrKPcPKT0_PKN3c1010ScalarTypeEi.uses_vcc, 1
	.set .L_ZN2at6native6invokeIZZZNS0_12_GLOBAL__N_121bessel_y1_kernel_cudaERNS_18TensorIteratorBaseEENKUlvE_clEvENKUlvE_clEvEUldE_j15function_traitsIS7_EEENT1_11result_typeERKT_PrKPcPKT0_PKN3c1010ScalarTypeEi.uses_flat_scratch, 0
	.set .L_ZN2at6native6invokeIZZZNS0_12_GLOBAL__N_121bessel_y1_kernel_cudaERNS_18TensorIteratorBaseEENKUlvE_clEvENKUlvE_clEvEUldE_j15function_traitsIS7_EEENT1_11result_typeERKT_PrKPcPKT0_PKN3c1010ScalarTypeEi.has_dyn_sized_stack, 0
	.set .L_ZN2at6native6invokeIZZZNS0_12_GLOBAL__N_121bessel_y1_kernel_cudaERNS_18TensorIteratorBaseEENKUlvE_clEvENKUlvE_clEvEUldE_j15function_traitsIS7_EEENT1_11result_typeERKT_PrKPcPKT0_PKN3c1010ScalarTypeEi.has_recursion, 0
	.set .L_ZN2at6native6invokeIZZZNS0_12_GLOBAL__N_121bessel_y1_kernel_cudaERNS_18TensorIteratorBaseEENKUlvE_clEvENKUlvE_clEvEUldE_j15function_traitsIS7_EEENT1_11result_typeERKT_PrKPcPKT0_PKN3c1010ScalarTypeEi.has_indirect_call, 0
	.section	.AMDGPU.csdata,"",@progbits
; Function info:
; codeLenInByte = 7228
; TotalNumSgprs: 34
; NumVgprs: 84
; ScratchSize: 0
; MemoryBound: 1
	.section	.text._ZN2at6native32elementwise_kernel_manual_unrollILi128ELi4EZNS0_15gpu_kernel_implIZZZNS0_12_GLOBAL__N_121bessel_y1_kernel_cudaERNS_18TensorIteratorBaseEENKUlvE_clEvENKUlvE_clEvEUldE_EEvS5_RKT_EUlibE0_EEviT1_,"axG",@progbits,_ZN2at6native32elementwise_kernel_manual_unrollILi128ELi4EZNS0_15gpu_kernel_implIZZZNS0_12_GLOBAL__N_121bessel_y1_kernel_cudaERNS_18TensorIteratorBaseEENKUlvE_clEvENKUlvE_clEvEUldE_EEvS5_RKT_EUlibE0_EEviT1_,comdat
	.globl	_ZN2at6native32elementwise_kernel_manual_unrollILi128ELi4EZNS0_15gpu_kernel_implIZZZNS0_12_GLOBAL__N_121bessel_y1_kernel_cudaERNS_18TensorIteratorBaseEENKUlvE_clEvENKUlvE_clEvEUldE_EEvS5_RKT_EUlibE0_EEviT1_ ; -- Begin function _ZN2at6native32elementwise_kernel_manual_unrollILi128ELi4EZNS0_15gpu_kernel_implIZZZNS0_12_GLOBAL__N_121bessel_y1_kernel_cudaERNS_18TensorIteratorBaseEENKUlvE_clEvENKUlvE_clEvEUldE_EEvS5_RKT_EUlibE0_EEviT1_
	.p2align	8
	.type	_ZN2at6native32elementwise_kernel_manual_unrollILi128ELi4EZNS0_15gpu_kernel_implIZZZNS0_12_GLOBAL__N_121bessel_y1_kernel_cudaERNS_18TensorIteratorBaseEENKUlvE_clEvENKUlvE_clEvEUldE_EEvS5_RKT_EUlibE0_EEviT1_,@function
_ZN2at6native32elementwise_kernel_manual_unrollILi128ELi4EZNS0_15gpu_kernel_implIZZZNS0_12_GLOBAL__N_121bessel_y1_kernel_cudaERNS_18TensorIteratorBaseEENKUlvE_clEvENKUlvE_clEvEUldE_EEvS5_RKT_EUlibE0_EEviT1_: ; @_ZN2at6native32elementwise_kernel_manual_unrollILi128ELi4EZNS0_15gpu_kernel_implIZZZNS0_12_GLOBAL__N_121bessel_y1_kernel_cudaERNS_18TensorIteratorBaseEENKUlvE_clEvENKUlvE_clEvEUldE_EEvS5_RKT_EUlibE0_EEviT1_
; %bb.0:
	s_clause 0x1
	s_load_b32 s11, s[0:1], 0x8
	s_load_b32 s42, s[0:1], 0x0
	s_bfe_u32 s2, ttmp6, 0x4000c
	s_and_b32 s3, ttmp6, 15
	s_add_co_i32 s2, s2, 1
	s_getreg_b32 s4, hwreg(HW_REG_IB_STS2, 6, 4)
	s_mul_i32 s2, ttmp9, s2
	s_mov_b32 s38, 0
	s_add_co_i32 s3, s3, s2
	s_cmp_eq_u32 s4, 0
	s_add_nc_u64 s[24:25], s[0:1], 8
	s_cselect_b32 s2, ttmp9, s3
	s_mov_b32 s16, 0
	v_lshl_or_b32 v42, s2, 9, v0
	s_mov_b32 s2, -1
	s_mov_b32 s32, 0
	s_wait_xcnt 0x0
	s_mov_b32 s0, exec_lo
	v_or_b32_e32 v3, 0x180, v42
	s_wait_kmcnt 0x0
	s_add_co_i32 s33, s11, -1
	s_delay_alu instid0(SALU_CYCLE_1)
	s_cmp_gt_u32 s33, 1
	s_cselect_b32 s39, -1, 0
	v_cmpx_le_i32_e64 s42, v3
	s_xor_b32 s40, exec_lo, s0
	s_cbranch_execz .LBB11_570
; %bb.1:
	v_mov_b32_e32 v0, 0
	s_clause 0x3
	s_load_b128 s[20:23], s[24:25], 0x4
	s_load_b64 s[28:29], s[24:25], 0x14
	s_load_b128 s[16:19], s[24:25], 0xc4
	s_load_b128 s[12:15], s[24:25], 0x148
	s_cmp_lg_u32 s11, 0
	s_mov_b32 s27, 0
	s_cselect_b32 s44, -1, 0
	global_load_u16 v0, v0, s[24:25] offset:345
	s_min_u32 s43, s33, 15
	s_cmp_gt_u32 s11, 1
	s_add_nc_u64 s[36:37], s[24:25], 0xc4
	s_cselect_b32 s41, -1, 0
	s_mov_b32 s35, s27
	s_mov_b32 s45, exec_lo
	s_wait_kmcnt 0x0
	s_mov_b32 s26, s21
	s_mov_b32 s34, s28
	;; [unrolled: 1-line block ×3, first 2 shown]
	s_wait_loadcnt 0x0
	v_and_b32_e32 v1, 0xffff, v0
	v_readfirstlane_b32 s21, v0
	s_delay_alu instid0(VALU_DEP_2)
	v_lshrrev_b32_e32 v40, 8, v1
	v_cmpx_gt_i32_e64 s42, v42
                                        ; implicit-def: $vgpr2_vgpr3
	s_cbranch_execz .LBB11_138
; %bb.2:
	s_and_not1_b32 vcc_lo, exec_lo, s39
	s_cbranch_vccnz .LBB11_7
; %bb.3:
	s_and_not1_b32 vcc_lo, exec_lo, s44
	s_cbranch_vccnz .LBB11_8
; %bb.4:
	s_add_co_i32 s1, s43, 1
	s_cmp_eq_u32 s33, 2
	s_cbranch_scc1 .LBB11_9
; %bb.5:
	v_dual_mov_b32 v44, 0 :: v_dual_mov_b32 v45, 0
	v_mov_b32_e32 v0, v42
	s_and_b32 s0, s1, 28
	s_mov_b32 s6, 0
	s_mov_b64 s[2:3], s[24:25]
	s_mov_b64 s[4:5], s[36:37]
.LBB11_6:                               ; =>This Inner Loop Header: Depth=1
	s_clause 0x1
	s_load_b256 s[48:55], s[2:3], 0x4
	s_load_b128 s[64:67], s[2:3], 0x24
	s_load_b256 s[56:63], s[4:5], 0x0
	s_add_co_i32 s6, s6, 4
	s_wait_xcnt 0x0
	s_add_nc_u64 s[2:3], s[2:3], 48
	s_cmp_lg_u32 s0, s6
	s_add_nc_u64 s[4:5], s[4:5], 32
	s_wait_kmcnt 0x0
	v_mul_hi_u32 v1, s49, v0
	s_delay_alu instid0(VALU_DEP_1) | instskip(NEXT) | instid1(VALU_DEP_1)
	v_add_nc_u32_e32 v1, v0, v1
	v_lshrrev_b32_e32 v1, s50, v1
	s_delay_alu instid0(VALU_DEP_1) | instskip(NEXT) | instid1(VALU_DEP_1)
	v_mul_hi_u32 v2, s52, v1
	v_add_nc_u32_e32 v2, v1, v2
	s_delay_alu instid0(VALU_DEP_1) | instskip(NEXT) | instid1(VALU_DEP_1)
	v_lshrrev_b32_e32 v2, s53, v2
	v_mul_hi_u32 v3, s55, v2
	s_delay_alu instid0(VALU_DEP_1) | instskip(SKIP_1) | instid1(VALU_DEP_1)
	v_add_nc_u32_e32 v3, v2, v3
	v_mul_lo_u32 v4, v1, s48
	v_sub_nc_u32_e32 v0, v0, v4
	v_mul_lo_u32 v4, v2, s51
	s_delay_alu instid0(VALU_DEP_4) | instskip(NEXT) | instid1(VALU_DEP_3)
	v_lshrrev_b32_e32 v3, s64, v3
	v_mad_u32 v6, v0, s57, v45
	v_mad_u32 v0, v0, s56, v44
	s_delay_alu instid0(VALU_DEP_4) | instskip(NEXT) | instid1(VALU_DEP_4)
	v_sub_nc_u32_e32 v1, v1, v4
	v_mul_hi_u32 v5, s66, v3
	v_mul_lo_u32 v4, v3, s54
	s_delay_alu instid0(VALU_DEP_3) | instskip(SKIP_1) | instid1(VALU_DEP_3)
	v_mad_u32 v6, v1, s59, v6
	v_mad_u32 v1, v1, s58, v0
	v_dual_add_nc_u32 v5, v3, v5 :: v_dual_sub_nc_u32 v2, v2, v4
	s_delay_alu instid0(VALU_DEP_1) | instskip(NEXT) | instid1(VALU_DEP_2)
	v_lshrrev_b32_e32 v0, s67, v5
	v_mad_u32 v5, v2, s61, v6
	s_delay_alu instid0(VALU_DEP_4) | instskip(NEXT) | instid1(VALU_DEP_3)
	v_mad_u32 v1, v2, s60, v1
	v_mul_lo_u32 v4, v0, s65
	s_delay_alu instid0(VALU_DEP_1) | instskip(NEXT) | instid1(VALU_DEP_1)
	v_sub_nc_u32_e32 v2, v3, v4
	v_mad_u32 v45, v2, s63, v5
	s_delay_alu instid0(VALU_DEP_4)
	v_mad_u32 v44, v2, s62, v1
	s_cbranch_scc1 .LBB11_6
	s_branch .LBB11_10
.LBB11_7:
                                        ; implicit-def: $vgpr45
	s_branch .LBB11_14
.LBB11_8:
	v_dual_mov_b32 v45, 0 :: v_dual_mov_b32 v44, 0
	s_branch .LBB11_13
.LBB11_9:
	v_mov_b64_e32 v[44:45], 0
	v_mov_b32_e32 v0, v42
	s_mov_b32 s0, 0
.LBB11_10:
	s_and_b32 s4, s1, 3
	s_mov_b32 s1, 0
	s_cmp_eq_u32 s4, 0
	s_cbranch_scc1 .LBB11_13
; %bb.11:
	s_lshl_b32 s2, s0, 3
	s_mov_b32 s3, s1
	s_mul_u64 s[6:7], s[0:1], 12
	s_add_nc_u64 s[2:3], s[24:25], s[2:3]
	s_delay_alu instid0(SALU_CYCLE_1)
	s_add_nc_u64 s[0:1], s[2:3], 0xc4
	s_add_nc_u64 s[2:3], s[24:25], s[6:7]
.LBB11_12:                              ; =>This Inner Loop Header: Depth=1
	s_load_b96 s[8:10], s[2:3], 0x4
	s_load_b64 s[6:7], s[0:1], 0x0
	s_add_co_i32 s4, s4, -1
	s_wait_xcnt 0x0
	s_add_nc_u64 s[2:3], s[2:3], 12
	s_cmp_lg_u32 s4, 0
	s_add_nc_u64 s[0:1], s[0:1], 8
	s_wait_kmcnt 0x0
	v_mul_hi_u32 v1, s9, v0
	s_delay_alu instid0(VALU_DEP_1) | instskip(NEXT) | instid1(VALU_DEP_1)
	v_add_nc_u32_e32 v1, v0, v1
	v_lshrrev_b32_e32 v1, s10, v1
	s_delay_alu instid0(VALU_DEP_1) | instskip(NEXT) | instid1(VALU_DEP_1)
	v_mul_lo_u32 v2, v1, s8
	v_sub_nc_u32_e32 v0, v0, v2
	s_delay_alu instid0(VALU_DEP_1)
	v_mad_u32 v45, v0, s7, v45
	v_mad_u32 v44, v0, s6, v44
	v_mov_b32_e32 v0, v1
	s_cbranch_scc1 .LBB11_12
.LBB11_13:
	s_cbranch_execnz .LBB11_16
.LBB11_14:
	v_mov_b32_e32 v43, 0
	s_and_not1_b32 vcc_lo, exec_lo, s41
	s_delay_alu instid0(VALU_DEP_1) | instskip(NEXT) | instid1(VALU_DEP_1)
	v_mul_u64_e32 v[0:1], s[26:27], v[42:43]
	v_add_nc_u32_e32 v0, v42, v1
	s_delay_alu instid0(VALU_DEP_1) | instskip(NEXT) | instid1(VALU_DEP_1)
	v_lshrrev_b32_e32 v0, s22, v0
	v_mul_lo_u32 v1, v0, s20
	s_delay_alu instid0(VALU_DEP_1) | instskip(NEXT) | instid1(VALU_DEP_1)
	v_sub_nc_u32_e32 v1, v42, v1
	v_mul_lo_u32 v45, v1, s17
	v_mul_lo_u32 v44, v1, s16
	s_cbranch_vccnz .LBB11_16
; %bb.15:
	v_mov_b32_e32 v1, v43
	s_delay_alu instid0(VALU_DEP_1) | instskip(NEXT) | instid1(VALU_DEP_1)
	v_mul_u64_e32 v[2:3], s[34:35], v[0:1]
	v_add_nc_u32_e32 v1, v0, v3
	s_delay_alu instid0(VALU_DEP_1) | instskip(NEXT) | instid1(VALU_DEP_1)
	v_lshrrev_b32_e32 v1, s29, v1
	v_mul_lo_u32 v1, v1, s23
	s_delay_alu instid0(VALU_DEP_1) | instskip(NEXT) | instid1(VALU_DEP_1)
	v_sub_nc_u32_e32 v0, v0, v1
	v_mad_u32 v44, v0, s18, v44
	v_mad_u32 v45, v0, s19, v45
.LBB11_16:
	v_dual_mov_b32 v0, s14 :: v_dual_mov_b32 v1, s15
	s_delay_alu instid0(VALU_DEP_2) | instskip(SKIP_2) | instid1(SALU_CYCLE_1)
	v_dual_mov_b32 v2, v45 :: v_dual_mov_b32 v3, v40
	s_get_pc_i64 s[0:1]
	s_add_nc_u64 s[0:1], s[0:1], _ZN2at6native6invokeIZZZNS0_12_GLOBAL__N_121bessel_y1_kernel_cudaERNS_18TensorIteratorBaseEENKUlvE_clEvENKUlvE_clEvEUldE_j15function_traitsIS7_EEENT1_11result_typeERKT_PrKPcPKT0_PKN3c1010ScalarTypeEi@rel64+4
	s_swap_pc_i64 s[30:31], s[0:1]
	v_mov_b32_e32 v45, 0
	s_and_b32 s1, s21, 0xff
	s_delay_alu instid0(SALU_CYCLE_1) | instskip(NEXT) | instid1(VALU_DEP_1)
	s_cmp_lt_i32 s1, 11
	v_add_nc_u64_e32 v[4:5], s[12:13], v[44:45]
	s_cbranch_scc1 .LBB11_23
; %bb.17:
	s_and_b32 s2, 0xffff, s1
	s_delay_alu instid0(SALU_CYCLE_1)
	s_cmp_gt_i32 s2, 25
	s_cbranch_scc0 .LBB11_26
; %bb.18:
	s_cmp_gt_i32 s2, 28
	s_cbranch_scc0 .LBB11_27
; %bb.19:
	;; [unrolled: 3-line block ×4, first 2 shown]
	s_mov_b32 s4, 0
	s_mov_b32 s0, -1
	s_cmp_eq_u32 s2, 46
	s_mov_b32 s3, 0
	s_cbranch_scc0 .LBB11_30
; %bb.22:
	v_cvt_f32_f64_e32 v2, v[0:1]
	s_mov_b32 s3, -1
	s_mov_b32 s0, 0
	s_delay_alu instid0(VALU_DEP_1) | instskip(SKIP_1) | instid1(VALU_DEP_2)
	v_bfe_u32 v3, v2, 16, 1
	v_cmp_o_f32_e32 vcc_lo, v2, v2
	v_add3_u32 v3, v2, v3, 0x7fff
	s_delay_alu instid0(VALU_DEP_1) | instskip(NEXT) | instid1(VALU_DEP_1)
	v_lshrrev_b32_e32 v3, 16, v3
	v_cndmask_b32_e32 v2, 0x7fc0, v3, vcc_lo
	global_store_b32 v[4:5], v2, off
	s_branch .LBB11_30
.LBB11_23:
	s_mov_b32 s0, 0
	s_mov_b32 s3, 0
	s_cbranch_execnz .LBB11_98
.LBB11_24:
	s_and_not1_b32 vcc_lo, exec_lo, s3
	s_cbranch_vccnz .LBB11_136
.LBB11_25:
	v_add_nc_u32_e32 v42, 0x80, v42
	s_mov_b32 s1, -1
	s_branch .LBB11_137
.LBB11_26:
	s_mov_b32 s0, 0
	s_mov_b32 s3, 0
	s_cbranch_execnz .LBB11_57
	s_branch .LBB11_97
.LBB11_27:
	s_mov_b32 s4, -1
	s_mov_b32 s0, 0
	s_mov_b32 s3, 0
	s_branch .LBB11_40
.LBB11_28:
	s_mov_b32 s4, -1
	s_mov_b32 s0, 0
	s_mov_b32 s3, 0
	s_branch .LBB11_36
.LBB11_29:
	s_mov_b32 s4, -1
	s_mov_b32 s0, 0
	s_mov_b32 s3, 0
.LBB11_30:
	s_and_b32 vcc_lo, exec_lo, s4
	s_cbranch_vccz .LBB11_35
; %bb.31:
	s_cmp_eq_u32 s2, 44
	s_mov_b32 s0, -1
	s_cbranch_scc0 .LBB11_35
; %bb.32:
	s_wait_xcnt 0x0
	v_cvt_f32_f64_e32 v2, v[0:1]
	v_mov_b32_e32 v3, 0xff
	s_mov_b32 s3, exec_lo
	s_delay_alu instid0(VALU_DEP_2) | instskip(NEXT) | instid1(VALU_DEP_1)
	v_bfe_u32 v6, v2, 23, 8
	v_cmpx_ne_u32_e32 0xff, v6
	s_cbranch_execz .LBB11_34
; %bb.33:
	v_and_b32_e32 v3, 0x400000, v2
	v_and_or_b32 v6, 0x3fffff, v2, v6
	v_lshrrev_b32_e32 v2, 23, v2
	s_delay_alu instid0(VALU_DEP_3) | instskip(NEXT) | instid1(VALU_DEP_3)
	v_cmp_ne_u32_e32 vcc_lo, 0, v3
	v_cmp_ne_u32_e64 s0, 0, v6
	s_and_b32 s0, vcc_lo, s0
	s_delay_alu instid0(SALU_CYCLE_1) | instskip(NEXT) | instid1(VALU_DEP_1)
	v_cndmask_b32_e64 v3, 0, 1, s0
	v_add_nc_u32_e32 v3, v2, v3
.LBB11_34:
	s_or_b32 exec_lo, exec_lo, s3
	s_mov_b32 s3, -1
	s_mov_b32 s0, 0
	global_store_b8 v[4:5], v3, off
.LBB11_35:
	s_mov_b32 s4, 0
.LBB11_36:
	s_delay_alu instid0(SALU_CYCLE_1)
	s_and_b32 vcc_lo, exec_lo, s4
	s_cbranch_vccz .LBB11_39
; %bb.37:
	s_cmp_eq_u32 s2, 29
	s_mov_b32 s0, -1
	s_cbranch_scc0 .LBB11_39
; %bb.38:
	s_wait_xcnt 0x0
	v_trunc_f64_e32 v[2:3], v[0:1]
	s_mov_b32 s3, -1
	s_mov_b32 s0, 0
	s_mov_b32 s4, 0
	s_delay_alu instid0(VALU_DEP_1) | instskip(NEXT) | instid1(VALU_DEP_1)
	v_ldexp_f64 v[6:7], v[2:3], 0xffffffe0
	v_floor_f64_e32 v[6:7], v[6:7]
	s_delay_alu instid0(VALU_DEP_1) | instskip(SKIP_1) | instid1(VALU_DEP_2)
	v_fmamk_f64 v[2:3], v[6:7], 0xc1f00000, v[2:3]
	v_cvt_u32_f64_e32 v7, v[6:7]
	v_cvt_u32_f64_e32 v6, v[2:3]
	global_store_b64 v[4:5], v[6:7], off
	s_branch .LBB11_40
.LBB11_39:
	s_mov_b32 s4, 0
.LBB11_40:
	s_delay_alu instid0(SALU_CYCLE_1)
	s_and_b32 vcc_lo, exec_lo, s4
	s_cbranch_vccz .LBB11_56
; %bb.41:
	s_cmp_lt_i32 s2, 27
	s_mov_b32 s3, -1
	s_cbranch_scc1 .LBB11_47
; %bb.42:
	s_cmp_gt_i32 s2, 27
	s_cbranch_scc0 .LBB11_44
; %bb.43:
	s_wait_xcnt 0x0
	v_cvt_u32_f64_e32 v2, v[0:1]
	s_mov_b32 s3, 0
	global_store_b32 v[4:5], v2, off
.LBB11_44:
	s_and_not1_b32 vcc_lo, exec_lo, s3
	s_cbranch_vccnz .LBB11_46
; %bb.45:
	s_wait_xcnt 0x0
	v_cvt_u32_f64_e32 v2, v[0:1]
	global_store_b16 v[4:5], v2, off
.LBB11_46:
	s_mov_b32 s3, 0
.LBB11_47:
	s_delay_alu instid0(SALU_CYCLE_1)
	s_and_not1_b32 vcc_lo, exec_lo, s3
	s_cbranch_vccnz .LBB11_55
; %bb.48:
	s_wait_xcnt 0x0
	v_cvt_f32_f64_e32 v2, v[0:1]
	v_mov_b32_e32 v6, 0x80
	s_mov_b32 s3, exec_lo
	s_delay_alu instid0(VALU_DEP_2) | instskip(NEXT) | instid1(VALU_DEP_1)
	v_and_b32_e32 v3, 0x7fffffff, v2
	v_cmpx_gt_u32_e32 0x43800000, v3
	s_cbranch_execz .LBB11_54
; %bb.49:
	v_cmp_lt_u32_e32 vcc_lo, 0x3bffffff, v3
	s_mov_b32 s4, 0
                                        ; implicit-def: $vgpr3
	s_and_saveexec_b32 s5, vcc_lo
	s_delay_alu instid0(SALU_CYCLE_1)
	s_xor_b32 s5, exec_lo, s5
	s_cbranch_execz .LBB11_169
; %bb.50:
	v_bfe_u32 v3, v2, 20, 1
	s_mov_b32 s4, exec_lo
	s_delay_alu instid0(VALU_DEP_1) | instskip(NEXT) | instid1(VALU_DEP_1)
	v_add3_u32 v3, v2, v3, 0x487ffff
	v_lshrrev_b32_e32 v3, 20, v3
	s_and_not1_saveexec_b32 s5, s5
	s_cbranch_execnz .LBB11_170
.LBB11_51:
	s_or_b32 exec_lo, exec_lo, s5
	v_mov_b32_e32 v6, 0
	s_and_saveexec_b32 s5, s4
.LBB11_52:
	v_lshrrev_b32_e32 v2, 24, v2
	s_delay_alu instid0(VALU_DEP_1)
	v_and_or_b32 v6, 0x80, v2, v3
.LBB11_53:
	s_or_b32 exec_lo, exec_lo, s5
.LBB11_54:
	s_delay_alu instid0(SALU_CYCLE_1)
	s_or_b32 exec_lo, exec_lo, s3
	global_store_b8 v[4:5], v6, off
.LBB11_55:
	s_mov_b32 s3, -1
.LBB11_56:
	s_branch .LBB11_97
.LBB11_57:
	s_cmp_gt_i32 s2, 22
	s_mov_b32 s4, -1
	s_cbranch_scc0 .LBB11_89
; %bb.58:
	s_cmp_lt_i32 s2, 24
	s_mov_b32 s3, -1
	s_cbranch_scc1 .LBB11_78
; %bb.59:
	s_cmp_gt_i32 s2, 24
	s_cbranch_scc0 .LBB11_67
; %bb.60:
	s_wait_xcnt 0x0
	v_cvt_f32_f64_e32 v2, v[0:1]
	v_mov_b32_e32 v6, 0x80
	s_mov_b32 s3, exec_lo
	s_delay_alu instid0(VALU_DEP_2) | instskip(NEXT) | instid1(VALU_DEP_1)
	v_and_b32_e32 v3, 0x7fffffff, v2
	v_cmpx_gt_u32_e32 0x47800000, v3
	s_cbranch_execz .LBB11_66
; %bb.61:
	v_cmp_lt_u32_e32 vcc_lo, 0x37ffffff, v3
	s_mov_b32 s4, 0
                                        ; implicit-def: $vgpr3
	s_and_saveexec_b32 s5, vcc_lo
	s_delay_alu instid0(SALU_CYCLE_1)
	s_xor_b32 s5, exec_lo, s5
	s_cbranch_execz .LBB11_172
; %bb.62:
	v_bfe_u32 v3, v2, 21, 1
	s_mov_b32 s4, exec_lo
	s_delay_alu instid0(VALU_DEP_1) | instskip(NEXT) | instid1(VALU_DEP_1)
	v_add3_u32 v3, v2, v3, 0x88fffff
	v_lshrrev_b32_e32 v3, 21, v3
	s_and_not1_saveexec_b32 s5, s5
	s_cbranch_execnz .LBB11_173
.LBB11_63:
	s_or_b32 exec_lo, exec_lo, s5
	v_mov_b32_e32 v6, 0
	s_and_saveexec_b32 s5, s4
.LBB11_64:
	v_lshrrev_b32_e32 v2, 24, v2
	s_delay_alu instid0(VALU_DEP_1)
	v_and_or_b32 v6, 0x80, v2, v3
.LBB11_65:
	s_or_b32 exec_lo, exec_lo, s5
.LBB11_66:
	s_delay_alu instid0(SALU_CYCLE_1)
	s_or_b32 exec_lo, exec_lo, s3
	s_mov_b32 s3, 0
	global_store_b8 v[4:5], v6, off
.LBB11_67:
	s_and_b32 vcc_lo, exec_lo, s3
	s_cbranch_vccz .LBB11_77
; %bb.68:
	s_wait_xcnt 0x0
	v_cvt_f32_f64_e32 v2, v[0:1]
	s_mov_b32 s3, exec_lo
                                        ; implicit-def: $vgpr3
	s_delay_alu instid0(VALU_DEP_1) | instskip(NEXT) | instid1(VALU_DEP_1)
	v_and_b32_e32 v6, 0x7fffffff, v2
	v_cmpx_gt_u32_e32 0x43f00000, v6
	s_xor_b32 s3, exec_lo, s3
	s_cbranch_execz .LBB11_74
; %bb.69:
	s_mov_b32 s4, exec_lo
                                        ; implicit-def: $vgpr3
	v_cmpx_lt_u32_e32 0x3c7fffff, v6
	s_xor_b32 s4, exec_lo, s4
; %bb.70:
	v_bfe_u32 v3, v2, 20, 1
	s_delay_alu instid0(VALU_DEP_1) | instskip(NEXT) | instid1(VALU_DEP_1)
	v_add3_u32 v3, v2, v3, 0x407ffff
	v_and_b32_e32 v6, 0xff00000, v3
	v_lshrrev_b32_e32 v3, 20, v3
	s_delay_alu instid0(VALU_DEP_2) | instskip(NEXT) | instid1(VALU_DEP_2)
	v_cmp_ne_u32_e32 vcc_lo, 0x7f00000, v6
	v_cndmask_b32_e32 v3, 0x7e, v3, vcc_lo
; %bb.71:
	s_and_not1_saveexec_b32 s4, s4
; %bb.72:
	v_add_f32_e64 v3, 0x46800000, |v2|
; %bb.73:
	s_or_b32 exec_lo, exec_lo, s4
                                        ; implicit-def: $vgpr6
.LBB11_74:
	s_and_not1_saveexec_b32 s3, s3
; %bb.75:
	v_mov_b32_e32 v3, 0x7f
	v_cmp_lt_u32_e32 vcc_lo, 0x7f800000, v6
	s_delay_alu instid0(VALU_DEP_2)
	v_cndmask_b32_e32 v3, 0x7e, v3, vcc_lo
; %bb.76:
	s_or_b32 exec_lo, exec_lo, s3
	v_lshrrev_b32_e32 v2, 24, v2
	s_delay_alu instid0(VALU_DEP_1)
	v_and_or_b32 v2, 0x80, v2, v3
	global_store_b8 v[4:5], v2, off
.LBB11_77:
	s_mov_b32 s3, 0
.LBB11_78:
	s_delay_alu instid0(SALU_CYCLE_1)
	s_and_not1_b32 vcc_lo, exec_lo, s3
	s_cbranch_vccnz .LBB11_88
; %bb.79:
	s_wait_xcnt 0x0
	v_cvt_f32_f64_e32 v2, v[0:1]
	s_mov_b32 s3, exec_lo
                                        ; implicit-def: $vgpr3
	s_delay_alu instid0(VALU_DEP_1) | instskip(NEXT) | instid1(VALU_DEP_1)
	v_and_b32_e32 v6, 0x7fffffff, v2
	v_cmpx_gt_u32_e32 0x47800000, v6
	s_xor_b32 s3, exec_lo, s3
	s_cbranch_execz .LBB11_85
; %bb.80:
	s_mov_b32 s4, exec_lo
                                        ; implicit-def: $vgpr3
	v_cmpx_lt_u32_e32 0x387fffff, v6
	s_xor_b32 s4, exec_lo, s4
; %bb.81:
	v_bfe_u32 v3, v2, 21, 1
	s_delay_alu instid0(VALU_DEP_1) | instskip(NEXT) | instid1(VALU_DEP_1)
	v_add3_u32 v3, v2, v3, 0x80fffff
	v_lshrrev_b32_e32 v3, 21, v3
; %bb.82:
	s_and_not1_saveexec_b32 s4, s4
; %bb.83:
	v_add_f32_e64 v3, 0x43000000, |v2|
; %bb.84:
	s_or_b32 exec_lo, exec_lo, s4
                                        ; implicit-def: $vgpr6
.LBB11_85:
	s_and_not1_saveexec_b32 s3, s3
; %bb.86:
	v_mov_b32_e32 v3, 0x7f
	v_cmp_lt_u32_e32 vcc_lo, 0x7f800000, v6
	s_delay_alu instid0(VALU_DEP_2)
	v_cndmask_b32_e32 v3, 0x7c, v3, vcc_lo
; %bb.87:
	s_or_b32 exec_lo, exec_lo, s3
	v_lshrrev_b32_e32 v2, 24, v2
	s_delay_alu instid0(VALU_DEP_1)
	v_and_or_b32 v2, 0x80, v2, v3
	global_store_b8 v[4:5], v2, off
.LBB11_88:
	s_mov_b32 s4, 0
	s_mov_b32 s3, -1
.LBB11_89:
	s_and_not1_b32 vcc_lo, exec_lo, s4
	s_cbranch_vccnz .LBB11_97
; %bb.90:
	s_cmp_gt_i32 s2, 14
	s_mov_b32 s4, -1
	s_cbranch_scc0 .LBB11_94
; %bb.91:
	s_cmp_eq_u32 s2, 15
	s_mov_b32 s0, -1
	s_cbranch_scc0 .LBB11_93
; %bb.92:
	s_wait_xcnt 0x0
	v_cvt_f32_f64_e32 v2, v[0:1]
	s_mov_b32 s3, -1
	s_mov_b32 s0, 0
	s_delay_alu instid0(VALU_DEP_1) | instskip(SKIP_1) | instid1(VALU_DEP_2)
	v_bfe_u32 v3, v2, 16, 1
	v_cmp_o_f32_e32 vcc_lo, v2, v2
	v_add3_u32 v3, v2, v3, 0x7fff
	s_delay_alu instid0(VALU_DEP_1) | instskip(NEXT) | instid1(VALU_DEP_1)
	v_lshrrev_b32_e32 v3, 16, v3
	v_cndmask_b32_e32 v2, 0x7fc0, v3, vcc_lo
	global_store_b16 v[4:5], v2, off
.LBB11_93:
	s_mov_b32 s4, 0
.LBB11_94:
	s_delay_alu instid0(SALU_CYCLE_1)
	s_and_b32 vcc_lo, exec_lo, s4
	s_cbranch_vccz .LBB11_97
; %bb.95:
	s_cmp_eq_u32 s2, 11
	s_mov_b32 s0, -1
	s_cbranch_scc0 .LBB11_97
; %bb.96:
	v_cmp_neq_f64_e32 vcc_lo, 0, v[0:1]
	s_mov_b32 s3, -1
	s_mov_b32 s0, 0
	s_wait_xcnt 0x0
	v_cndmask_b32_e64 v2, 0, 1, vcc_lo
	global_store_b8 v[4:5], v2, off
.LBB11_97:
	s_branch .LBB11_24
.LBB11_98:
	s_and_b32 s1, 0xffff, s1
	s_mov_b32 s2, -1
	s_cmp_lt_i32 s1, 5
	s_cbranch_scc1 .LBB11_119
; %bb.99:
	s_cmp_lt_i32 s1, 8
	s_cbranch_scc1 .LBB11_109
; %bb.100:
	;; [unrolled: 3-line block ×3, first 2 shown]
	s_cmp_gt_i32 s1, 9
	s_cbranch_scc0 .LBB11_103
; %bb.102:
	s_wait_xcnt 0x0
	v_mov_b32_e32 v2, 0
	s_mov_b32 s2, 0
	s_delay_alu instid0(VALU_DEP_1)
	v_mov_b32_e32 v3, v2
	global_store_b128 v[4:5], v[0:3], off
.LBB11_103:
	s_and_not1_b32 vcc_lo, exec_lo, s2
	s_cbranch_vccnz .LBB11_105
; %bb.104:
	s_wait_xcnt 0x0
	v_cvt_f32_f64_e32 v2, v[0:1]
	v_mov_b32_e32 v3, 0
	global_store_b64 v[4:5], v[2:3], off
.LBB11_105:
	s_mov_b32 s2, 0
.LBB11_106:
	s_delay_alu instid0(SALU_CYCLE_1)
	s_and_not1_b32 vcc_lo, exec_lo, s2
	s_cbranch_vccnz .LBB11_108
; %bb.107:
	s_wait_xcnt 0x0
	v_and_or_b32 v2, 0x1ff, v1, v0
	v_lshrrev_b32_e32 v3, 8, v1
	v_bfe_u32 v6, v1, 20, 11
	s_delay_alu instid0(VALU_DEP_3) | instskip(NEXT) | instid1(VALU_DEP_2)
	v_cmp_ne_u32_e32 vcc_lo, 0, v2
	v_sub_nc_u32_e32 v7, 0x3f1, v6
	v_cndmask_b32_e64 v2, 0, 1, vcc_lo
	s_delay_alu instid0(VALU_DEP_1) | instskip(NEXT) | instid1(VALU_DEP_3)
	v_and_or_b32 v2, 0xffe, v3, v2
	v_med3_i32 v3, v7, 0, 13
	s_delay_alu instid0(VALU_DEP_2) | instskip(NEXT) | instid1(VALU_DEP_1)
	v_or_b32_e32 v7, 0x1000, v2
	v_lshrrev_b32_e32 v8, v3, v7
	s_delay_alu instid0(VALU_DEP_1) | instskip(NEXT) | instid1(VALU_DEP_1)
	v_lshlrev_b32_e32 v3, v3, v8
	v_cmp_ne_u32_e32 vcc_lo, v3, v7
	v_cndmask_b32_e64 v3, 0, 1, vcc_lo
	s_delay_alu instid0(VALU_DEP_1) | instskip(SKIP_1) | instid1(VALU_DEP_1)
	v_or_b32_e32 v3, v8, v3
	v_add_nc_u32_e32 v6, 0xfffffc10, v6
	v_lshl_or_b32 v7, v6, 12, v2
	v_cmp_gt_i32_e32 vcc_lo, 1, v6
	s_delay_alu instid0(VALU_DEP_2) | instskip(NEXT) | instid1(VALU_DEP_1)
	v_cndmask_b32_e32 v3, v7, v3, vcc_lo
	v_dual_lshrrev_b32 v3, 2, v3 :: v_dual_bitop2_b32 v7, 7, v3 bitop3:0x40
	s_delay_alu instid0(VALU_DEP_1) | instskip(SKIP_4) | instid1(VALU_DEP_2)
	v_cmp_lt_i32_e32 vcc_lo, 5, v7
	v_cndmask_b32_e64 v8, 0, 1, vcc_lo
	v_cmp_eq_u32_e32 vcc_lo, 3, v7
	v_cndmask_b32_e64 v7, 0, 1, vcc_lo
	v_cmp_ne_u32_e32 vcc_lo, 0, v2
	v_or_b32_e32 v7, v7, v8
	s_delay_alu instid0(VALU_DEP_1) | instskip(NEXT) | instid1(VALU_DEP_1)
	v_dual_mov_b32 v8, 0x7e00 :: v_dual_add_nc_u32 v3, v3, v7
	v_cndmask_b32_e32 v2, 0x7c00, v8, vcc_lo
	v_cmp_gt_i32_e32 vcc_lo, 31, v6
	v_lshrrev_b32_e32 v7, 16, v1
	s_delay_alu instid0(VALU_DEP_4) | instskip(SKIP_1) | instid1(VALU_DEP_2)
	v_cndmask_b32_e32 v3, 0x7c00, v3, vcc_lo
	v_cmp_eq_u32_e32 vcc_lo, 0x40f, v6
	v_cndmask_b32_e32 v2, v3, v2, vcc_lo
	s_delay_alu instid0(VALU_DEP_4) | instskip(NEXT) | instid1(VALU_DEP_1)
	v_and_b32_e32 v3, 0x8000, v7
	v_bitop3_b32 v2, v3, 0xffff, v2 bitop3:0xc8
	global_store_b32 v[4:5], v2, off
.LBB11_108:
	s_mov_b32 s2, 0
.LBB11_109:
	s_delay_alu instid0(SALU_CYCLE_1)
	s_and_not1_b32 vcc_lo, exec_lo, s2
	s_cbranch_vccnz .LBB11_118
; %bb.110:
	s_cmp_lt_i32 s1, 6
	s_mov_b32 s2, -1
	s_cbranch_scc1 .LBB11_116
; %bb.111:
	s_cmp_gt_i32 s1, 6
	s_cbranch_scc0 .LBB11_113
; %bb.112:
	s_mov_b32 s2, 0
	global_store_b64 v[4:5], v[0:1], off
.LBB11_113:
	s_and_not1_b32 vcc_lo, exec_lo, s2
	s_cbranch_vccnz .LBB11_115
; %bb.114:
	s_wait_xcnt 0x0
	v_cvt_f32_f64_e32 v2, v[0:1]
	global_store_b32 v[4:5], v2, off
.LBB11_115:
	s_mov_b32 s2, 0
.LBB11_116:
	s_delay_alu instid0(SALU_CYCLE_1)
	s_and_not1_b32 vcc_lo, exec_lo, s2
	s_cbranch_vccnz .LBB11_118
; %bb.117:
	s_wait_xcnt 0x0
	v_and_or_b32 v2, 0x1ff, v1, v0
	v_lshrrev_b32_e32 v3, 8, v1
	v_bfe_u32 v6, v1, 20, 11
	s_delay_alu instid0(VALU_DEP_3) | instskip(NEXT) | instid1(VALU_DEP_2)
	v_cmp_ne_u32_e32 vcc_lo, 0, v2
	v_sub_nc_u32_e32 v7, 0x3f1, v6
	v_cndmask_b32_e64 v2, 0, 1, vcc_lo
	s_delay_alu instid0(VALU_DEP_1) | instskip(NEXT) | instid1(VALU_DEP_3)
	v_and_or_b32 v2, 0xffe, v3, v2
	v_med3_i32 v3, v7, 0, 13
	s_delay_alu instid0(VALU_DEP_2) | instskip(NEXT) | instid1(VALU_DEP_1)
	v_or_b32_e32 v7, 0x1000, v2
	v_lshrrev_b32_e32 v8, v3, v7
	s_delay_alu instid0(VALU_DEP_1) | instskip(NEXT) | instid1(VALU_DEP_1)
	v_lshlrev_b32_e32 v3, v3, v8
	v_cmp_ne_u32_e32 vcc_lo, v3, v7
	v_cndmask_b32_e64 v3, 0, 1, vcc_lo
	s_delay_alu instid0(VALU_DEP_1) | instskip(SKIP_1) | instid1(VALU_DEP_1)
	v_or_b32_e32 v3, v8, v3
	v_add_nc_u32_e32 v6, 0xfffffc10, v6
	v_lshl_or_b32 v7, v6, 12, v2
	v_cmp_gt_i32_e32 vcc_lo, 1, v6
	s_delay_alu instid0(VALU_DEP_2) | instskip(NEXT) | instid1(VALU_DEP_1)
	v_cndmask_b32_e32 v3, v7, v3, vcc_lo
	v_dual_lshrrev_b32 v3, 2, v3 :: v_dual_bitop2_b32 v7, 7, v3 bitop3:0x40
	s_delay_alu instid0(VALU_DEP_1) | instskip(SKIP_4) | instid1(VALU_DEP_2)
	v_cmp_lt_i32_e32 vcc_lo, 5, v7
	v_cndmask_b32_e64 v8, 0, 1, vcc_lo
	v_cmp_eq_u32_e32 vcc_lo, 3, v7
	v_cndmask_b32_e64 v7, 0, 1, vcc_lo
	v_cmp_ne_u32_e32 vcc_lo, 0, v2
	v_or_b32_e32 v7, v7, v8
	s_delay_alu instid0(VALU_DEP_1) | instskip(NEXT) | instid1(VALU_DEP_1)
	v_dual_mov_b32 v8, 0x7e00 :: v_dual_add_nc_u32 v3, v3, v7
	v_cndmask_b32_e32 v2, 0x7c00, v8, vcc_lo
	v_cmp_gt_i32_e32 vcc_lo, 31, v6
	s_delay_alu instid0(VALU_DEP_3) | instskip(SKIP_1) | instid1(VALU_DEP_2)
	v_cndmask_b32_e32 v3, 0x7c00, v3, vcc_lo
	v_cmp_eq_u32_e32 vcc_lo, 0x40f, v6
	v_dual_cndmask_b32 v2, v3, v2 :: v_dual_lshrrev_b32 v3, 16, v1
	s_delay_alu instid0(VALU_DEP_1)
	v_and_or_b32 v2, 0x8000, v3, v2
	global_store_b16 v[4:5], v2, off
.LBB11_118:
	s_mov_b32 s2, 0
.LBB11_119:
	s_delay_alu instid0(SALU_CYCLE_1)
	s_and_not1_b32 vcc_lo, exec_lo, s2
	s_cbranch_vccnz .LBB11_135
; %bb.120:
	s_cmp_lt_i32 s1, 2
	s_mov_b32 s2, -1
	s_cbranch_scc1 .LBB11_130
; %bb.121:
	s_cmp_lt_i32 s1, 3
	s_cbranch_scc1 .LBB11_127
; %bb.122:
	s_cmp_gt_i32 s1, 3
	s_cbranch_scc0 .LBB11_124
; %bb.123:
	s_wait_xcnt 0x0
	v_trunc_f64_e32 v[2:3], v[0:1]
	s_mov_b32 s2, 0
	s_delay_alu instid0(VALU_DEP_1) | instskip(NEXT) | instid1(VALU_DEP_1)
	v_ldexp_f64 v[6:7], v[2:3], 0xffffffe0
	v_floor_f64_e32 v[6:7], v[6:7]
	s_delay_alu instid0(VALU_DEP_1) | instskip(SKIP_1) | instid1(VALU_DEP_2)
	v_fmamk_f64 v[2:3], v[6:7], 0xc1f00000, v[2:3]
	v_cvt_i32_f64_e32 v7, v[6:7]
	v_cvt_u32_f64_e32 v6, v[2:3]
	global_store_b64 v[4:5], v[6:7], off
.LBB11_124:
	s_and_not1_b32 vcc_lo, exec_lo, s2
	s_cbranch_vccnz .LBB11_126
; %bb.125:
	s_wait_xcnt 0x0
	v_cvt_i32_f64_e32 v2, v[0:1]
	global_store_b32 v[4:5], v2, off
.LBB11_126:
	s_mov_b32 s2, 0
.LBB11_127:
	s_delay_alu instid0(SALU_CYCLE_1)
	s_and_not1_b32 vcc_lo, exec_lo, s2
	s_cbranch_vccnz .LBB11_129
; %bb.128:
	s_wait_xcnt 0x0
	v_cvt_i32_f64_e32 v2, v[0:1]
	global_store_b16 v[4:5], v2, off
.LBB11_129:
	s_mov_b32 s2, 0
.LBB11_130:
	s_delay_alu instid0(SALU_CYCLE_1)
	s_and_not1_b32 vcc_lo, exec_lo, s2
	s_cbranch_vccnz .LBB11_135
; %bb.131:
	s_cmp_gt_i32 s1, 0
	s_mov_b32 s1, -1
	s_cbranch_scc0 .LBB11_133
; %bb.132:
	s_wait_xcnt 0x0
	v_cvt_i32_f64_e32 v2, v[0:1]
	s_mov_b32 s1, 0
	global_store_b8 v[4:5], v2, off
.LBB11_133:
	s_and_not1_b32 vcc_lo, exec_lo, s1
	s_cbranch_vccnz .LBB11_135
; %bb.134:
	s_wait_xcnt 0x0
	v_trunc_f64_e32 v[0:1], v[0:1]
	s_delay_alu instid0(VALU_DEP_1) | instskip(NEXT) | instid1(VALU_DEP_1)
	v_ldexp_f64 v[2:3], v[0:1], 0xffffffe0
	v_floor_f64_e32 v[2:3], v[2:3]
	s_delay_alu instid0(VALU_DEP_1) | instskip(NEXT) | instid1(VALU_DEP_1)
	v_fmamk_f64 v[0:1], v[2:3], 0xc1f00000, v[0:1]
	v_cvt_u32_f64_e32 v0, v[0:1]
	global_store_b8 v[4:5], v0, off
.LBB11_135:
	s_branch .LBB11_25
.LBB11_136:
	s_mov_b32 s1, 0
                                        ; implicit-def: $vgpr42
.LBB11_137:
	s_and_b32 s28, s0, exec_lo
	s_or_not1_b32 s2, s1, exec_lo
.LBB11_138:
	s_wait_xcnt 0x0
	s_or_b32 exec_lo, exec_lo, s45
	s_mov_b32 s3, 0
                                        ; implicit-def: $sgpr1
                                        ; implicit-def: $vgpr4_vgpr5
                                        ; implicit-def: $vgpr0_vgpr1
	s_and_saveexec_b32 s45, s2
	s_cbranch_execz .LBB11_145
; %bb.139:
	s_mov_b32 s3, -1
	s_mov_b32 s46, s28
	s_mov_b32 s47, exec_lo
	v_cmpx_gt_i32_e64 s42, v42
	s_cbranch_execz .LBB11_284
; %bb.140:
	s_and_not1_b32 vcc_lo, exec_lo, s39
	s_cbranch_vccnz .LBB11_148
; %bb.141:
	s_and_not1_b32 vcc_lo, exec_lo, s44
	s_cbranch_vccnz .LBB11_149
; %bb.142:
	s_add_co_i32 s1, s43, 1
	s_cmp_eq_u32 s33, 2
	s_cbranch_scc1 .LBB11_150
; %bb.143:
	v_dual_mov_b32 v44, 0 :: v_dual_mov_b32 v45, 0
	v_mov_b32_e32 v0, v42
	s_and_b32 s0, s1, 28
	s_mov_b32 s6, 0
	s_mov_b64 s[2:3], s[24:25]
	s_mov_b64 s[4:5], s[36:37]
.LBB11_144:                             ; =>This Inner Loop Header: Depth=1
	s_clause 0x1
	s_load_b256 s[48:55], s[2:3], 0x4
	s_load_b128 s[64:67], s[2:3], 0x24
	s_load_b256 s[56:63], s[4:5], 0x0
	s_add_co_i32 s6, s6, 4
	s_wait_xcnt 0x0
	s_add_nc_u64 s[2:3], s[2:3], 48
	s_cmp_eq_u32 s0, s6
	s_add_nc_u64 s[4:5], s[4:5], 32
	s_wait_kmcnt 0x0
	v_mul_hi_u32 v1, s49, v0
	s_delay_alu instid0(VALU_DEP_1) | instskip(NEXT) | instid1(VALU_DEP_1)
	v_add_nc_u32_e32 v1, v0, v1
	v_lshrrev_b32_e32 v1, s50, v1
	s_delay_alu instid0(VALU_DEP_1) | instskip(NEXT) | instid1(VALU_DEP_1)
	v_mul_hi_u32 v2, s52, v1
	v_add_nc_u32_e32 v2, v1, v2
	s_delay_alu instid0(VALU_DEP_1) | instskip(NEXT) | instid1(VALU_DEP_1)
	v_lshrrev_b32_e32 v2, s53, v2
	v_mul_hi_u32 v3, s55, v2
	s_delay_alu instid0(VALU_DEP_1) | instskip(SKIP_1) | instid1(VALU_DEP_1)
	v_add_nc_u32_e32 v3, v2, v3
	v_mul_lo_u32 v4, v1, s48
	v_sub_nc_u32_e32 v0, v0, v4
	v_mul_lo_u32 v4, v2, s51
	s_delay_alu instid0(VALU_DEP_4) | instskip(NEXT) | instid1(VALU_DEP_3)
	v_lshrrev_b32_e32 v3, s64, v3
	v_mad_u32 v6, v0, s57, v45
	v_mad_u32 v0, v0, s56, v44
	s_delay_alu instid0(VALU_DEP_4) | instskip(NEXT) | instid1(VALU_DEP_4)
	v_sub_nc_u32_e32 v1, v1, v4
	v_mul_hi_u32 v5, s66, v3
	v_mul_lo_u32 v4, v3, s54
	s_delay_alu instid0(VALU_DEP_3) | instskip(SKIP_1) | instid1(VALU_DEP_3)
	v_mad_u32 v6, v1, s59, v6
	v_mad_u32 v1, v1, s58, v0
	v_dual_add_nc_u32 v5, v3, v5 :: v_dual_sub_nc_u32 v2, v2, v4
	s_delay_alu instid0(VALU_DEP_1) | instskip(NEXT) | instid1(VALU_DEP_2)
	v_lshrrev_b32_e32 v0, s67, v5
	v_mad_u32 v5, v2, s61, v6
	s_delay_alu instid0(VALU_DEP_4) | instskip(NEXT) | instid1(VALU_DEP_3)
	v_mad_u32 v1, v2, s60, v1
	v_mul_lo_u32 v4, v0, s65
	s_delay_alu instid0(VALU_DEP_1) | instskip(NEXT) | instid1(VALU_DEP_1)
	v_sub_nc_u32_e32 v2, v3, v4
	v_mad_u32 v45, v2, s63, v5
	s_delay_alu instid0(VALU_DEP_4)
	v_mad_u32 v44, v2, s62, v1
	s_cbranch_scc0 .LBB11_144
	s_branch .LBB11_151
.LBB11_145:
	s_or_b32 exec_lo, exec_lo, s45
	s_mov_b32 s0, 0
	s_and_saveexec_b32 s2, s28
	s_cbranch_execnz .LBB11_530
.LBB11_146:
	s_or_b32 exec_lo, exec_lo, s2
	s_and_saveexec_b32 s2, s27
	s_delay_alu instid0(SALU_CYCLE_1)
	s_xor_b32 s2, exec_lo, s2
	s_cbranch_execz .LBB11_531
.LBB11_147:
	v_cmp_neq_f64_e32 vcc_lo, 0, v[0:1]
	v_cndmask_b32_e64 v2, 0, 1, vcc_lo
	global_store_b8 v[4:5], v2, off
	s_wait_xcnt 0x0
	s_or_b32 exec_lo, exec_lo, s2
	s_and_saveexec_b32 s2, s3
	s_delay_alu instid0(SALU_CYCLE_1)
	s_xor_b32 s2, exec_lo, s2
	s_cbranch_execz .LBB11_569
	s_branch .LBB11_532
.LBB11_148:
                                        ; implicit-def: $vgpr45
	s_branch .LBB11_155
.LBB11_149:
	v_dual_mov_b32 v45, 0 :: v_dual_mov_b32 v44, 0
	s_branch .LBB11_154
.LBB11_150:
	v_mov_b64_e32 v[44:45], 0
	v_mov_b32_e32 v0, v42
	s_mov_b32 s0, 0
.LBB11_151:
	s_and_b32 s4, s1, 3
	s_mov_b32 s1, 0
	s_cmp_eq_u32 s4, 0
	s_cbranch_scc1 .LBB11_154
; %bb.152:
	s_lshl_b32 s2, s0, 3
	s_mov_b32 s3, s1
	s_mul_u64 s[6:7], s[0:1], 12
	s_add_nc_u64 s[2:3], s[24:25], s[2:3]
	s_delay_alu instid0(SALU_CYCLE_1)
	s_add_nc_u64 s[0:1], s[2:3], 0xc4
	s_add_nc_u64 s[2:3], s[24:25], s[6:7]
.LBB11_153:                             ; =>This Inner Loop Header: Depth=1
	s_load_b96 s[8:10], s[2:3], 0x4
	s_load_b64 s[6:7], s[0:1], 0x0
	s_add_co_i32 s4, s4, -1
	s_wait_xcnt 0x0
	s_add_nc_u64 s[2:3], s[2:3], 12
	s_cmp_lg_u32 s4, 0
	s_add_nc_u64 s[0:1], s[0:1], 8
	s_wait_kmcnt 0x0
	v_mul_hi_u32 v1, s9, v0
	s_delay_alu instid0(VALU_DEP_1) | instskip(NEXT) | instid1(VALU_DEP_1)
	v_add_nc_u32_e32 v1, v0, v1
	v_lshrrev_b32_e32 v1, s10, v1
	s_delay_alu instid0(VALU_DEP_1) | instskip(NEXT) | instid1(VALU_DEP_1)
	v_mul_lo_u32 v2, v1, s8
	v_sub_nc_u32_e32 v0, v0, v2
	s_delay_alu instid0(VALU_DEP_1)
	v_mad_u32 v45, v0, s7, v45
	v_mad_u32 v44, v0, s6, v44
	v_mov_b32_e32 v0, v1
	s_cbranch_scc1 .LBB11_153
.LBB11_154:
	s_cbranch_execnz .LBB11_157
.LBB11_155:
	v_mov_b32_e32 v43, 0
	s_and_not1_b32 vcc_lo, exec_lo, s41
	s_delay_alu instid0(VALU_DEP_1) | instskip(NEXT) | instid1(VALU_DEP_1)
	v_mul_u64_e32 v[0:1], s[26:27], v[42:43]
	v_add_nc_u32_e32 v0, v42, v1
	s_delay_alu instid0(VALU_DEP_1) | instskip(NEXT) | instid1(VALU_DEP_1)
	v_lshrrev_b32_e32 v0, s22, v0
	v_mul_lo_u32 v1, v0, s20
	s_delay_alu instid0(VALU_DEP_1) | instskip(NEXT) | instid1(VALU_DEP_1)
	v_sub_nc_u32_e32 v1, v42, v1
	v_mul_lo_u32 v45, v1, s17
	v_mul_lo_u32 v44, v1, s16
	s_cbranch_vccnz .LBB11_157
; %bb.156:
	v_mov_b32_e32 v1, v43
	s_delay_alu instid0(VALU_DEP_1) | instskip(NEXT) | instid1(VALU_DEP_1)
	v_mul_u64_e32 v[2:3], s[34:35], v[0:1]
	v_add_nc_u32_e32 v1, v0, v3
	s_delay_alu instid0(VALU_DEP_1) | instskip(NEXT) | instid1(VALU_DEP_1)
	v_lshrrev_b32_e32 v1, s29, v1
	v_mul_lo_u32 v1, v1, s23
	s_delay_alu instid0(VALU_DEP_1) | instskip(NEXT) | instid1(VALU_DEP_1)
	v_sub_nc_u32_e32 v0, v0, v1
	v_mad_u32 v44, v0, s18, v44
	v_mad_u32 v45, v0, s19, v45
.LBB11_157:
	v_dual_mov_b32 v0, s14 :: v_dual_mov_b32 v1, s15
	s_delay_alu instid0(VALU_DEP_2) | instskip(SKIP_2) | instid1(SALU_CYCLE_1)
	v_dual_mov_b32 v2, v45 :: v_dual_mov_b32 v3, v40
	s_get_pc_i64 s[0:1]
	s_add_nc_u64 s[0:1], s[0:1], _ZN2at6native6invokeIZZZNS0_12_GLOBAL__N_121bessel_y1_kernel_cudaERNS_18TensorIteratorBaseEENKUlvE_clEvENKUlvE_clEvEUldE_j15function_traitsIS7_EEENT1_11result_typeERKT_PrKPcPKT0_PKN3c1010ScalarTypeEi@rel64+4
	s_swap_pc_i64 s[30:31], s[0:1]
	v_mov_b32_e32 v45, 0
	s_and_b32 s1, s21, 0xff
	s_delay_alu instid0(SALU_CYCLE_1) | instskip(NEXT) | instid1(VALU_DEP_1)
	s_cmp_lt_i32 s1, 11
	v_add_nc_u64_e32 v[4:5], s[12:13], v[44:45]
	s_cbranch_scc1 .LBB11_164
; %bb.158:
	s_and_b32 s2, 0xffff, s1
	s_delay_alu instid0(SALU_CYCLE_1)
	s_cmp_gt_i32 s2, 25
	s_cbranch_scc0 .LBB11_167
; %bb.159:
	s_cmp_gt_i32 s2, 28
	s_cbranch_scc0 .LBB11_168
; %bb.160:
	;; [unrolled: 3-line block ×4, first 2 shown]
	s_mov_b32 s4, 0
	s_mov_b32 s0, -1
	s_cmp_eq_u32 s2, 46
	s_mov_b32 s3, 0
	s_cbranch_scc0 .LBB11_175
; %bb.163:
	v_cvt_f32_f64_e32 v2, v[0:1]
	s_mov_b32 s3, -1
	s_mov_b32 s0, 0
	s_delay_alu instid0(VALU_DEP_1) | instskip(SKIP_1) | instid1(VALU_DEP_2)
	v_bfe_u32 v3, v2, 16, 1
	v_cmp_o_f32_e32 vcc_lo, v2, v2
	v_add3_u32 v3, v2, v3, 0x7fff
	s_delay_alu instid0(VALU_DEP_1) | instskip(NEXT) | instid1(VALU_DEP_1)
	v_lshrrev_b32_e32 v3, 16, v3
	v_cndmask_b32_e32 v2, 0x7fc0, v3, vcc_lo
	global_store_b32 v[4:5], v2, off
	s_branch .LBB11_175
.LBB11_164:
	s_mov_b32 s3, 0
	s_mov_b32 s0, s28
	s_cbranch_execnz .LBB11_244
.LBB11_165:
	s_and_not1_b32 vcc_lo, exec_lo, s3
	s_cbranch_vccnz .LBB11_282
.LBB11_166:
	v_add_nc_u32_e32 v42, 0x80, v42
	s_mov_b32 s1, -1
	s_branch .LBB11_283
.LBB11_167:
	s_mov_b32 s4, -1
	s_mov_b32 s3, 0
	s_mov_b32 s0, s28
	s_branch .LBB11_202
.LBB11_168:
	s_mov_b32 s4, -1
	s_mov_b32 s3, 0
	s_mov_b32 s0, s28
	s_branch .LBB11_185
.LBB11_169:
	s_and_not1_saveexec_b32 s5, s5
	s_cbranch_execz .LBB11_51
.LBB11_170:
	v_add_f32_e64 v3, 0x46000000, |v2|
	s_and_not1_b32 s4, s4, exec_lo
	s_delay_alu instid0(VALU_DEP_1) | instskip(NEXT) | instid1(VALU_DEP_1)
	v_and_b32_e32 v3, 0xff, v3
	v_cmp_ne_u32_e32 vcc_lo, 0, v3
	s_and_b32 s6, vcc_lo, exec_lo
	s_delay_alu instid0(SALU_CYCLE_1)
	s_or_b32 s4, s4, s6
	s_or_b32 exec_lo, exec_lo, s5
	v_mov_b32_e32 v6, 0
	s_and_saveexec_b32 s5, s4
	s_cbranch_execnz .LBB11_52
	s_branch .LBB11_53
.LBB11_171:
	s_mov_b32 s4, -1
	s_mov_b32 s3, 0
	s_mov_b32 s0, s28
	s_branch .LBB11_181
.LBB11_172:
	s_and_not1_saveexec_b32 s5, s5
	s_cbranch_execz .LBB11_63
.LBB11_173:
	v_add_f32_e64 v3, 0x42800000, |v2|
	s_and_not1_b32 s4, s4, exec_lo
	s_delay_alu instid0(VALU_DEP_1) | instskip(NEXT) | instid1(VALU_DEP_1)
	v_and_b32_e32 v3, 0xff, v3
	v_cmp_ne_u32_e32 vcc_lo, 0, v3
	s_and_b32 s6, vcc_lo, exec_lo
	s_delay_alu instid0(SALU_CYCLE_1)
	s_or_b32 s4, s4, s6
	s_or_b32 exec_lo, exec_lo, s5
	v_mov_b32_e32 v6, 0
	s_and_saveexec_b32 s5, s4
	s_cbranch_execnz .LBB11_64
	s_branch .LBB11_65
.LBB11_174:
	s_mov_b32 s4, -1
	s_mov_b32 s3, 0
	s_mov_b32 s0, s28
.LBB11_175:
	s_and_b32 vcc_lo, exec_lo, s4
	s_cbranch_vccz .LBB11_180
; %bb.176:
	s_cmp_eq_u32 s2, 44
	s_mov_b32 s0, -1
	s_cbranch_scc0 .LBB11_180
; %bb.177:
	s_wait_xcnt 0x0
	v_cvt_f32_f64_e32 v2, v[0:1]
	v_mov_b32_e32 v3, 0xff
	s_mov_b32 s3, exec_lo
	s_delay_alu instid0(VALU_DEP_2) | instskip(NEXT) | instid1(VALU_DEP_1)
	v_bfe_u32 v6, v2, 23, 8
	v_cmpx_ne_u32_e32 0xff, v6
	s_cbranch_execz .LBB11_179
; %bb.178:
	v_and_b32_e32 v3, 0x400000, v2
	v_and_or_b32 v6, 0x3fffff, v2, v6
	v_lshrrev_b32_e32 v2, 23, v2
	s_delay_alu instid0(VALU_DEP_3) | instskip(NEXT) | instid1(VALU_DEP_3)
	v_cmp_ne_u32_e32 vcc_lo, 0, v3
	v_cmp_ne_u32_e64 s0, 0, v6
	s_and_b32 s0, vcc_lo, s0
	s_delay_alu instid0(SALU_CYCLE_1) | instskip(NEXT) | instid1(VALU_DEP_1)
	v_cndmask_b32_e64 v3, 0, 1, s0
	v_add_nc_u32_e32 v3, v2, v3
.LBB11_179:
	s_or_b32 exec_lo, exec_lo, s3
	s_mov_b32 s3, -1
	s_mov_b32 s0, 0
	global_store_b8 v[4:5], v3, off
.LBB11_180:
	s_mov_b32 s4, 0
.LBB11_181:
	s_delay_alu instid0(SALU_CYCLE_1)
	s_and_b32 vcc_lo, exec_lo, s4
	s_cbranch_vccz .LBB11_184
; %bb.182:
	s_cmp_eq_u32 s2, 29
	s_mov_b32 s0, -1
	s_cbranch_scc0 .LBB11_184
; %bb.183:
	s_wait_xcnt 0x0
	v_trunc_f64_e32 v[2:3], v[0:1]
	s_mov_b32 s3, -1
	s_mov_b32 s0, 0
	s_mov_b32 s4, 0
	s_delay_alu instid0(VALU_DEP_1) | instskip(NEXT) | instid1(VALU_DEP_1)
	v_ldexp_f64 v[6:7], v[2:3], 0xffffffe0
	v_floor_f64_e32 v[6:7], v[6:7]
	s_delay_alu instid0(VALU_DEP_1) | instskip(SKIP_1) | instid1(VALU_DEP_2)
	v_fmamk_f64 v[2:3], v[6:7], 0xc1f00000, v[2:3]
	v_cvt_u32_f64_e32 v7, v[6:7]
	v_cvt_u32_f64_e32 v6, v[2:3]
	global_store_b64 v[4:5], v[6:7], off
	s_branch .LBB11_185
.LBB11_184:
	s_mov_b32 s4, 0
.LBB11_185:
	s_delay_alu instid0(SALU_CYCLE_1)
	s_and_b32 vcc_lo, exec_lo, s4
	s_cbranch_vccz .LBB11_201
; %bb.186:
	s_cmp_lt_i32 s2, 27
	s_mov_b32 s3, -1
	s_cbranch_scc1 .LBB11_192
; %bb.187:
	s_wait_xcnt 0x0
	v_cvt_u32_f64_e32 v2, v[0:1]
	s_cmp_gt_i32 s2, 27
	s_cbranch_scc0 .LBB11_189
; %bb.188:
	s_mov_b32 s3, 0
	global_store_b32 v[4:5], v2, off
.LBB11_189:
	s_and_not1_b32 vcc_lo, exec_lo, s3
	s_cbranch_vccnz .LBB11_191
; %bb.190:
	global_store_b16 v[4:5], v2, off
.LBB11_191:
	s_mov_b32 s3, 0
.LBB11_192:
	s_delay_alu instid0(SALU_CYCLE_1)
	s_and_not1_b32 vcc_lo, exec_lo, s3
	s_cbranch_vccnz .LBB11_200
; %bb.193:
	s_wait_xcnt 0x0
	v_cvt_f32_f64_e32 v2, v[0:1]
	v_mov_b32_e32 v6, 0x80
	s_mov_b32 s3, exec_lo
	s_delay_alu instid0(VALU_DEP_2) | instskip(NEXT) | instid1(VALU_DEP_1)
	v_and_b32_e32 v3, 0x7fffffff, v2
	v_cmpx_gt_u32_e32 0x43800000, v3
	s_cbranch_execz .LBB11_199
; %bb.194:
	v_cmp_lt_u32_e32 vcc_lo, 0x3bffffff, v3
	s_mov_b32 s4, 0
                                        ; implicit-def: $vgpr3
	s_and_saveexec_b32 s5, vcc_lo
	s_delay_alu instid0(SALU_CYCLE_1)
	s_xor_b32 s5, exec_lo, s5
	s_cbranch_execz .LBB11_311
; %bb.195:
	v_bfe_u32 v3, v2, 20, 1
	s_mov_b32 s4, exec_lo
	s_delay_alu instid0(VALU_DEP_1) | instskip(NEXT) | instid1(VALU_DEP_1)
	v_add3_u32 v3, v2, v3, 0x487ffff
	v_lshrrev_b32_e32 v3, 20, v3
	s_and_not1_saveexec_b32 s5, s5
	s_cbranch_execnz .LBB11_312
.LBB11_196:
	s_or_b32 exec_lo, exec_lo, s5
	v_mov_b32_e32 v6, 0
	s_and_saveexec_b32 s5, s4
.LBB11_197:
	v_lshrrev_b32_e32 v2, 24, v2
	s_delay_alu instid0(VALU_DEP_1)
	v_and_or_b32 v6, 0x80, v2, v3
.LBB11_198:
	s_or_b32 exec_lo, exec_lo, s5
.LBB11_199:
	s_delay_alu instid0(SALU_CYCLE_1)
	s_or_b32 exec_lo, exec_lo, s3
	global_store_b8 v[4:5], v6, off
.LBB11_200:
	s_mov_b32 s3, -1
.LBB11_201:
	s_mov_b32 s4, 0
.LBB11_202:
	s_delay_alu instid0(SALU_CYCLE_1)
	s_and_b32 vcc_lo, exec_lo, s4
	s_cbranch_vccz .LBB11_243
; %bb.203:
	s_cmp_gt_i32 s2, 22
	s_mov_b32 s4, -1
	s_cbranch_scc0 .LBB11_235
; %bb.204:
	s_cmp_lt_i32 s2, 24
	s_mov_b32 s3, -1
	s_cbranch_scc1 .LBB11_224
; %bb.205:
	s_cmp_gt_i32 s2, 24
	s_cbranch_scc0 .LBB11_213
; %bb.206:
	s_wait_xcnt 0x0
	v_cvt_f32_f64_e32 v2, v[0:1]
	v_mov_b32_e32 v6, 0x80
	s_mov_b32 s3, exec_lo
	s_delay_alu instid0(VALU_DEP_2) | instskip(NEXT) | instid1(VALU_DEP_1)
	v_and_b32_e32 v3, 0x7fffffff, v2
	v_cmpx_gt_u32_e32 0x47800000, v3
	s_cbranch_execz .LBB11_212
; %bb.207:
	v_cmp_lt_u32_e32 vcc_lo, 0x37ffffff, v3
	s_mov_b32 s4, 0
                                        ; implicit-def: $vgpr3
	s_and_saveexec_b32 s5, vcc_lo
	s_delay_alu instid0(SALU_CYCLE_1)
	s_xor_b32 s5, exec_lo, s5
	s_cbranch_execz .LBB11_314
; %bb.208:
	v_bfe_u32 v3, v2, 21, 1
	s_mov_b32 s4, exec_lo
	s_delay_alu instid0(VALU_DEP_1) | instskip(NEXT) | instid1(VALU_DEP_1)
	v_add3_u32 v3, v2, v3, 0x88fffff
	v_lshrrev_b32_e32 v3, 21, v3
	s_and_not1_saveexec_b32 s5, s5
	s_cbranch_execnz .LBB11_315
.LBB11_209:
	s_or_b32 exec_lo, exec_lo, s5
	v_mov_b32_e32 v6, 0
	s_and_saveexec_b32 s5, s4
.LBB11_210:
	v_lshrrev_b32_e32 v2, 24, v2
	s_delay_alu instid0(VALU_DEP_1)
	v_and_or_b32 v6, 0x80, v2, v3
.LBB11_211:
	s_or_b32 exec_lo, exec_lo, s5
.LBB11_212:
	s_delay_alu instid0(SALU_CYCLE_1)
	s_or_b32 exec_lo, exec_lo, s3
	s_mov_b32 s3, 0
	global_store_b8 v[4:5], v6, off
.LBB11_213:
	s_and_b32 vcc_lo, exec_lo, s3
	s_cbranch_vccz .LBB11_223
; %bb.214:
	s_wait_xcnt 0x0
	v_cvt_f32_f64_e32 v2, v[0:1]
	s_mov_b32 s3, exec_lo
                                        ; implicit-def: $vgpr3
	s_delay_alu instid0(VALU_DEP_1) | instskip(NEXT) | instid1(VALU_DEP_1)
	v_and_b32_e32 v6, 0x7fffffff, v2
	v_cmpx_gt_u32_e32 0x43f00000, v6
	s_xor_b32 s3, exec_lo, s3
	s_cbranch_execz .LBB11_220
; %bb.215:
	s_mov_b32 s4, exec_lo
                                        ; implicit-def: $vgpr3
	v_cmpx_lt_u32_e32 0x3c7fffff, v6
	s_xor_b32 s4, exec_lo, s4
; %bb.216:
	v_bfe_u32 v3, v2, 20, 1
	s_delay_alu instid0(VALU_DEP_1) | instskip(NEXT) | instid1(VALU_DEP_1)
	v_add3_u32 v3, v2, v3, 0x407ffff
	v_and_b32_e32 v6, 0xff00000, v3
	v_lshrrev_b32_e32 v3, 20, v3
	s_delay_alu instid0(VALU_DEP_2) | instskip(NEXT) | instid1(VALU_DEP_2)
	v_cmp_ne_u32_e32 vcc_lo, 0x7f00000, v6
	v_cndmask_b32_e32 v3, 0x7e, v3, vcc_lo
; %bb.217:
	s_and_not1_saveexec_b32 s4, s4
; %bb.218:
	v_add_f32_e64 v3, 0x46800000, |v2|
; %bb.219:
	s_or_b32 exec_lo, exec_lo, s4
                                        ; implicit-def: $vgpr6
.LBB11_220:
	s_and_not1_saveexec_b32 s3, s3
; %bb.221:
	v_mov_b32_e32 v3, 0x7f
	v_cmp_lt_u32_e32 vcc_lo, 0x7f800000, v6
	s_delay_alu instid0(VALU_DEP_2)
	v_cndmask_b32_e32 v3, 0x7e, v3, vcc_lo
; %bb.222:
	s_or_b32 exec_lo, exec_lo, s3
	v_lshrrev_b32_e32 v2, 24, v2
	s_delay_alu instid0(VALU_DEP_1)
	v_and_or_b32 v2, 0x80, v2, v3
	global_store_b8 v[4:5], v2, off
.LBB11_223:
	s_mov_b32 s3, 0
.LBB11_224:
	s_delay_alu instid0(SALU_CYCLE_1)
	s_and_not1_b32 vcc_lo, exec_lo, s3
	s_cbranch_vccnz .LBB11_234
; %bb.225:
	s_wait_xcnt 0x0
	v_cvt_f32_f64_e32 v2, v[0:1]
	s_mov_b32 s3, exec_lo
                                        ; implicit-def: $vgpr3
	s_delay_alu instid0(VALU_DEP_1) | instskip(NEXT) | instid1(VALU_DEP_1)
	v_and_b32_e32 v6, 0x7fffffff, v2
	v_cmpx_gt_u32_e32 0x47800000, v6
	s_xor_b32 s3, exec_lo, s3
	s_cbranch_execz .LBB11_231
; %bb.226:
	s_mov_b32 s4, exec_lo
                                        ; implicit-def: $vgpr3
	v_cmpx_lt_u32_e32 0x387fffff, v6
	s_xor_b32 s4, exec_lo, s4
; %bb.227:
	v_bfe_u32 v3, v2, 21, 1
	s_delay_alu instid0(VALU_DEP_1) | instskip(NEXT) | instid1(VALU_DEP_1)
	v_add3_u32 v3, v2, v3, 0x80fffff
	v_lshrrev_b32_e32 v3, 21, v3
; %bb.228:
	s_and_not1_saveexec_b32 s4, s4
; %bb.229:
	v_add_f32_e64 v3, 0x43000000, |v2|
; %bb.230:
	s_or_b32 exec_lo, exec_lo, s4
                                        ; implicit-def: $vgpr6
.LBB11_231:
	s_and_not1_saveexec_b32 s3, s3
; %bb.232:
	v_mov_b32_e32 v3, 0x7f
	v_cmp_lt_u32_e32 vcc_lo, 0x7f800000, v6
	s_delay_alu instid0(VALU_DEP_2)
	v_cndmask_b32_e32 v3, 0x7c, v3, vcc_lo
; %bb.233:
	s_or_b32 exec_lo, exec_lo, s3
	v_lshrrev_b32_e32 v2, 24, v2
	s_delay_alu instid0(VALU_DEP_1)
	v_and_or_b32 v2, 0x80, v2, v3
	global_store_b8 v[4:5], v2, off
.LBB11_234:
	s_mov_b32 s4, 0
	s_mov_b32 s3, -1
.LBB11_235:
	s_and_not1_b32 vcc_lo, exec_lo, s4
	s_cbranch_vccnz .LBB11_243
; %bb.236:
	s_cmp_gt_i32 s2, 14
	s_mov_b32 s4, -1
	s_cbranch_scc0 .LBB11_240
; %bb.237:
	s_cmp_eq_u32 s2, 15
	s_mov_b32 s0, -1
	s_cbranch_scc0 .LBB11_239
; %bb.238:
	s_wait_xcnt 0x0
	v_cvt_f32_f64_e32 v2, v[0:1]
	s_mov_b32 s3, -1
	s_mov_b32 s0, 0
	s_delay_alu instid0(VALU_DEP_1) | instskip(SKIP_1) | instid1(VALU_DEP_2)
	v_bfe_u32 v3, v2, 16, 1
	v_cmp_o_f32_e32 vcc_lo, v2, v2
	v_add3_u32 v3, v2, v3, 0x7fff
	s_delay_alu instid0(VALU_DEP_1) | instskip(NEXT) | instid1(VALU_DEP_1)
	v_lshrrev_b32_e32 v3, 16, v3
	v_cndmask_b32_e32 v2, 0x7fc0, v3, vcc_lo
	global_store_b16 v[4:5], v2, off
.LBB11_239:
	s_mov_b32 s4, 0
.LBB11_240:
	s_delay_alu instid0(SALU_CYCLE_1)
	s_and_b32 vcc_lo, exec_lo, s4
	s_cbranch_vccz .LBB11_243
; %bb.241:
	s_cmp_eq_u32 s2, 11
	s_mov_b32 s0, -1
	s_cbranch_scc0 .LBB11_243
; %bb.242:
	v_cmp_neq_f64_e32 vcc_lo, 0, v[0:1]
	s_mov_b32 s3, -1
	s_mov_b32 s0, 0
	s_wait_xcnt 0x0
	v_cndmask_b32_e64 v2, 0, 1, vcc_lo
	global_store_b8 v[4:5], v2, off
.LBB11_243:
	s_branch .LBB11_165
.LBB11_244:
	s_and_b32 s1, 0xffff, s1
	s_mov_b32 s2, -1
	s_cmp_lt_i32 s1, 5
	s_cbranch_scc1 .LBB11_265
; %bb.245:
	s_cmp_lt_i32 s1, 8
	s_cbranch_scc1 .LBB11_255
; %bb.246:
	;; [unrolled: 3-line block ×3, first 2 shown]
	s_cmp_gt_i32 s1, 9
	s_cbranch_scc0 .LBB11_249
; %bb.248:
	s_wait_xcnt 0x0
	v_mov_b32_e32 v2, 0
	s_mov_b32 s2, 0
	s_delay_alu instid0(VALU_DEP_1)
	v_mov_b32_e32 v3, v2
	global_store_b128 v[4:5], v[0:3], off
.LBB11_249:
	s_and_not1_b32 vcc_lo, exec_lo, s2
	s_cbranch_vccnz .LBB11_251
; %bb.250:
	s_wait_xcnt 0x0
	v_cvt_f32_f64_e32 v2, v[0:1]
	v_mov_b32_e32 v3, 0
	global_store_b64 v[4:5], v[2:3], off
.LBB11_251:
	s_mov_b32 s2, 0
.LBB11_252:
	s_delay_alu instid0(SALU_CYCLE_1)
	s_and_not1_b32 vcc_lo, exec_lo, s2
	s_cbranch_vccnz .LBB11_254
; %bb.253:
	s_wait_xcnt 0x0
	v_and_or_b32 v2, 0x1ff, v1, v0
	v_lshrrev_b32_e32 v3, 8, v1
	v_bfe_u32 v6, v1, 20, 11
	s_delay_alu instid0(VALU_DEP_3) | instskip(NEXT) | instid1(VALU_DEP_2)
	v_cmp_ne_u32_e32 vcc_lo, 0, v2
	v_sub_nc_u32_e32 v7, 0x3f1, v6
	v_cndmask_b32_e64 v2, 0, 1, vcc_lo
	s_delay_alu instid0(VALU_DEP_1) | instskip(NEXT) | instid1(VALU_DEP_3)
	v_and_or_b32 v2, 0xffe, v3, v2
	v_med3_i32 v3, v7, 0, 13
	s_delay_alu instid0(VALU_DEP_2) | instskip(NEXT) | instid1(VALU_DEP_1)
	v_or_b32_e32 v7, 0x1000, v2
	v_lshrrev_b32_e32 v8, v3, v7
	s_delay_alu instid0(VALU_DEP_1) | instskip(NEXT) | instid1(VALU_DEP_1)
	v_lshlrev_b32_e32 v3, v3, v8
	v_cmp_ne_u32_e32 vcc_lo, v3, v7
	v_cndmask_b32_e64 v3, 0, 1, vcc_lo
	s_delay_alu instid0(VALU_DEP_1) | instskip(SKIP_1) | instid1(VALU_DEP_1)
	v_or_b32_e32 v3, v8, v3
	v_add_nc_u32_e32 v6, 0xfffffc10, v6
	v_lshl_or_b32 v7, v6, 12, v2
	v_cmp_gt_i32_e32 vcc_lo, 1, v6
	s_delay_alu instid0(VALU_DEP_2) | instskip(NEXT) | instid1(VALU_DEP_1)
	v_cndmask_b32_e32 v3, v7, v3, vcc_lo
	v_dual_lshrrev_b32 v3, 2, v3 :: v_dual_bitop2_b32 v7, 7, v3 bitop3:0x40
	s_delay_alu instid0(VALU_DEP_1) | instskip(SKIP_4) | instid1(VALU_DEP_2)
	v_cmp_lt_i32_e32 vcc_lo, 5, v7
	v_cndmask_b32_e64 v8, 0, 1, vcc_lo
	v_cmp_eq_u32_e32 vcc_lo, 3, v7
	v_cndmask_b32_e64 v7, 0, 1, vcc_lo
	v_cmp_ne_u32_e32 vcc_lo, 0, v2
	v_or_b32_e32 v7, v7, v8
	s_delay_alu instid0(VALU_DEP_1) | instskip(NEXT) | instid1(VALU_DEP_1)
	v_dual_mov_b32 v8, 0x7e00 :: v_dual_add_nc_u32 v3, v3, v7
	v_cndmask_b32_e32 v2, 0x7c00, v8, vcc_lo
	v_cmp_gt_i32_e32 vcc_lo, 31, v6
	v_lshrrev_b32_e32 v7, 16, v1
	s_delay_alu instid0(VALU_DEP_4) | instskip(SKIP_1) | instid1(VALU_DEP_2)
	v_cndmask_b32_e32 v3, 0x7c00, v3, vcc_lo
	v_cmp_eq_u32_e32 vcc_lo, 0x40f, v6
	v_cndmask_b32_e32 v2, v3, v2, vcc_lo
	s_delay_alu instid0(VALU_DEP_4) | instskip(NEXT) | instid1(VALU_DEP_1)
	v_and_b32_e32 v3, 0x8000, v7
	v_bitop3_b32 v2, v3, 0xffff, v2 bitop3:0xc8
	global_store_b32 v[4:5], v2, off
.LBB11_254:
	s_mov_b32 s2, 0
.LBB11_255:
	s_delay_alu instid0(SALU_CYCLE_1)
	s_and_not1_b32 vcc_lo, exec_lo, s2
	s_cbranch_vccnz .LBB11_264
; %bb.256:
	s_cmp_lt_i32 s1, 6
	s_mov_b32 s2, -1
	s_cbranch_scc1 .LBB11_262
; %bb.257:
	s_cmp_gt_i32 s1, 6
	s_cbranch_scc0 .LBB11_259
; %bb.258:
	s_mov_b32 s2, 0
	global_store_b64 v[4:5], v[0:1], off
.LBB11_259:
	s_and_not1_b32 vcc_lo, exec_lo, s2
	s_cbranch_vccnz .LBB11_261
; %bb.260:
	s_wait_xcnt 0x0
	v_cvt_f32_f64_e32 v2, v[0:1]
	global_store_b32 v[4:5], v2, off
.LBB11_261:
	s_mov_b32 s2, 0
.LBB11_262:
	s_delay_alu instid0(SALU_CYCLE_1)
	s_and_not1_b32 vcc_lo, exec_lo, s2
	s_cbranch_vccnz .LBB11_264
; %bb.263:
	s_wait_xcnt 0x0
	v_and_or_b32 v2, 0x1ff, v1, v0
	v_lshrrev_b32_e32 v3, 8, v1
	v_bfe_u32 v6, v1, 20, 11
	s_delay_alu instid0(VALU_DEP_3) | instskip(NEXT) | instid1(VALU_DEP_2)
	v_cmp_ne_u32_e32 vcc_lo, 0, v2
	v_sub_nc_u32_e32 v7, 0x3f1, v6
	v_cndmask_b32_e64 v2, 0, 1, vcc_lo
	s_delay_alu instid0(VALU_DEP_1) | instskip(NEXT) | instid1(VALU_DEP_3)
	v_and_or_b32 v2, 0xffe, v3, v2
	v_med3_i32 v3, v7, 0, 13
	s_delay_alu instid0(VALU_DEP_2) | instskip(NEXT) | instid1(VALU_DEP_1)
	v_or_b32_e32 v7, 0x1000, v2
	v_lshrrev_b32_e32 v8, v3, v7
	s_delay_alu instid0(VALU_DEP_1) | instskip(NEXT) | instid1(VALU_DEP_1)
	v_lshlrev_b32_e32 v3, v3, v8
	v_cmp_ne_u32_e32 vcc_lo, v3, v7
	v_cndmask_b32_e64 v3, 0, 1, vcc_lo
	s_delay_alu instid0(VALU_DEP_1) | instskip(SKIP_1) | instid1(VALU_DEP_1)
	v_or_b32_e32 v3, v8, v3
	v_add_nc_u32_e32 v6, 0xfffffc10, v6
	v_lshl_or_b32 v7, v6, 12, v2
	v_cmp_gt_i32_e32 vcc_lo, 1, v6
	s_delay_alu instid0(VALU_DEP_2) | instskip(NEXT) | instid1(VALU_DEP_1)
	v_cndmask_b32_e32 v3, v7, v3, vcc_lo
	v_dual_lshrrev_b32 v3, 2, v3 :: v_dual_bitop2_b32 v7, 7, v3 bitop3:0x40
	s_delay_alu instid0(VALU_DEP_1) | instskip(SKIP_4) | instid1(VALU_DEP_2)
	v_cmp_lt_i32_e32 vcc_lo, 5, v7
	v_cndmask_b32_e64 v8, 0, 1, vcc_lo
	v_cmp_eq_u32_e32 vcc_lo, 3, v7
	v_cndmask_b32_e64 v7, 0, 1, vcc_lo
	v_cmp_ne_u32_e32 vcc_lo, 0, v2
	v_or_b32_e32 v7, v7, v8
	s_delay_alu instid0(VALU_DEP_1) | instskip(NEXT) | instid1(VALU_DEP_1)
	v_dual_mov_b32 v8, 0x7e00 :: v_dual_add_nc_u32 v3, v3, v7
	v_cndmask_b32_e32 v2, 0x7c00, v8, vcc_lo
	v_cmp_gt_i32_e32 vcc_lo, 31, v6
	s_delay_alu instid0(VALU_DEP_3) | instskip(SKIP_1) | instid1(VALU_DEP_2)
	v_cndmask_b32_e32 v3, 0x7c00, v3, vcc_lo
	v_cmp_eq_u32_e32 vcc_lo, 0x40f, v6
	v_dual_cndmask_b32 v2, v3, v2 :: v_dual_lshrrev_b32 v3, 16, v1
	s_delay_alu instid0(VALU_DEP_1)
	v_and_or_b32 v2, 0x8000, v3, v2
	global_store_b16 v[4:5], v2, off
.LBB11_264:
	s_mov_b32 s2, 0
.LBB11_265:
	s_delay_alu instid0(SALU_CYCLE_1)
	s_and_not1_b32 vcc_lo, exec_lo, s2
	s_cbranch_vccnz .LBB11_281
; %bb.266:
	s_cmp_lt_i32 s1, 2
	s_mov_b32 s2, -1
	s_cbranch_scc1 .LBB11_276
; %bb.267:
	s_cmp_lt_i32 s1, 3
	s_cbranch_scc1 .LBB11_273
; %bb.268:
	s_cmp_gt_i32 s1, 3
	s_cbranch_scc0 .LBB11_270
; %bb.269:
	s_wait_xcnt 0x0
	v_trunc_f64_e32 v[2:3], v[0:1]
	s_mov_b32 s2, 0
	s_delay_alu instid0(VALU_DEP_1) | instskip(NEXT) | instid1(VALU_DEP_1)
	v_ldexp_f64 v[6:7], v[2:3], 0xffffffe0
	v_floor_f64_e32 v[6:7], v[6:7]
	s_delay_alu instid0(VALU_DEP_1) | instskip(SKIP_1) | instid1(VALU_DEP_2)
	v_fmamk_f64 v[2:3], v[6:7], 0xc1f00000, v[2:3]
	v_cvt_i32_f64_e32 v7, v[6:7]
	v_cvt_u32_f64_e32 v6, v[2:3]
	global_store_b64 v[4:5], v[6:7], off
.LBB11_270:
	s_and_not1_b32 vcc_lo, exec_lo, s2
	s_cbranch_vccnz .LBB11_272
; %bb.271:
	s_wait_xcnt 0x0
	v_cvt_i32_f64_e32 v2, v[0:1]
	global_store_b32 v[4:5], v2, off
.LBB11_272:
	s_mov_b32 s2, 0
.LBB11_273:
	s_delay_alu instid0(SALU_CYCLE_1)
	s_and_not1_b32 vcc_lo, exec_lo, s2
	s_cbranch_vccnz .LBB11_275
; %bb.274:
	s_wait_xcnt 0x0
	v_cvt_i32_f64_e32 v2, v[0:1]
	global_store_b16 v[4:5], v2, off
.LBB11_275:
	s_mov_b32 s2, 0
.LBB11_276:
	s_delay_alu instid0(SALU_CYCLE_1)
	s_and_not1_b32 vcc_lo, exec_lo, s2
	s_cbranch_vccnz .LBB11_281
; %bb.277:
	s_cmp_gt_i32 s1, 0
	s_mov_b32 s1, -1
	s_cbranch_scc0 .LBB11_279
; %bb.278:
	s_wait_xcnt 0x0
	v_cvt_i32_f64_e32 v2, v[0:1]
	s_mov_b32 s1, 0
	global_store_b8 v[4:5], v2, off
.LBB11_279:
	s_and_not1_b32 vcc_lo, exec_lo, s1
	s_cbranch_vccnz .LBB11_281
; %bb.280:
	s_wait_xcnt 0x0
	v_trunc_f64_e32 v[0:1], v[0:1]
	s_delay_alu instid0(VALU_DEP_1) | instskip(NEXT) | instid1(VALU_DEP_1)
	v_ldexp_f64 v[2:3], v[0:1], 0xffffffe0
	v_floor_f64_e32 v[2:3], v[2:3]
	s_delay_alu instid0(VALU_DEP_1) | instskip(NEXT) | instid1(VALU_DEP_1)
	v_fmamk_f64 v[0:1], v[2:3], 0xc1f00000, v[0:1]
	v_cvt_u32_f64_e32 v0, v[0:1]
	global_store_b8 v[4:5], v0, off
.LBB11_281:
	s_branch .LBB11_166
.LBB11_282:
	s_mov_b32 s1, 0
                                        ; implicit-def: $vgpr42
.LBB11_283:
	s_and_not1_b32 s2, s28, exec_lo
	s_and_b32 s0, s0, exec_lo
	s_or_not1_b32 s3, s1, exec_lo
	s_or_b32 s46, s2, s0
.LBB11_284:
	s_wait_xcnt 0x0
	s_or_b32 exec_lo, exec_lo, s47
	s_mov_b32 s0, 0
	s_mov_b32 s2, 0
                                        ; implicit-def: $sgpr1
                                        ; implicit-def: $vgpr4_vgpr5
                                        ; implicit-def: $vgpr0_vgpr1
	s_and_saveexec_b32 s47, s3
	s_cbranch_execz .LBB11_529
; %bb.285:
	s_mov_b32 s3, -1
	s_mov_b32 s49, s46
	s_mov_b32 s48, exec_lo
	v_cmpx_gt_i32_e64 s42, v42
	s_cbranch_execz .LBB11_429
; %bb.286:
	s_and_not1_b32 vcc_lo, exec_lo, s39
	s_cbranch_vccnz .LBB11_291
; %bb.287:
	s_and_not1_b32 vcc_lo, exec_lo, s44
	s_cbranch_vccnz .LBB11_292
; %bb.288:
	s_add_co_i32 s1, s43, 1
	s_cmp_eq_u32 s33, 2
	s_cbranch_scc1 .LBB11_293
; %bb.289:
	v_dual_mov_b32 v44, 0 :: v_dual_mov_b32 v45, 0
	v_mov_b32_e32 v0, v42
	s_and_b32 s0, s1, 28
	s_mov_b32 s6, 0
	s_mov_b64 s[2:3], s[24:25]
	s_mov_b64 s[4:5], s[36:37]
.LBB11_290:                             ; =>This Inner Loop Header: Depth=1
	s_clause 0x1
	s_load_b256 s[52:59], s[2:3], 0x4
	s_load_b128 s[68:71], s[2:3], 0x24
	s_load_b256 s[60:67], s[4:5], 0x0
	s_add_co_i32 s6, s6, 4
	s_wait_xcnt 0x0
	s_add_nc_u64 s[2:3], s[2:3], 48
	s_cmp_eq_u32 s0, s6
	s_add_nc_u64 s[4:5], s[4:5], 32
	s_wait_kmcnt 0x0
	v_mul_hi_u32 v1, s53, v0
	s_delay_alu instid0(VALU_DEP_1) | instskip(NEXT) | instid1(VALU_DEP_1)
	v_add_nc_u32_e32 v1, v0, v1
	v_lshrrev_b32_e32 v1, s54, v1
	s_delay_alu instid0(VALU_DEP_1) | instskip(NEXT) | instid1(VALU_DEP_1)
	v_mul_hi_u32 v2, s56, v1
	v_add_nc_u32_e32 v2, v1, v2
	s_delay_alu instid0(VALU_DEP_1) | instskip(NEXT) | instid1(VALU_DEP_1)
	v_lshrrev_b32_e32 v2, s57, v2
	v_mul_hi_u32 v3, s59, v2
	s_delay_alu instid0(VALU_DEP_1) | instskip(SKIP_1) | instid1(VALU_DEP_1)
	v_add_nc_u32_e32 v3, v2, v3
	v_mul_lo_u32 v4, v1, s52
	v_sub_nc_u32_e32 v0, v0, v4
	v_mul_lo_u32 v4, v2, s55
	s_delay_alu instid0(VALU_DEP_4) | instskip(NEXT) | instid1(VALU_DEP_3)
	v_lshrrev_b32_e32 v3, s68, v3
	v_mad_u32 v6, v0, s61, v45
	v_mad_u32 v0, v0, s60, v44
	s_delay_alu instid0(VALU_DEP_4) | instskip(NEXT) | instid1(VALU_DEP_4)
	v_sub_nc_u32_e32 v1, v1, v4
	v_mul_hi_u32 v5, s70, v3
	v_mul_lo_u32 v4, v3, s58
	s_delay_alu instid0(VALU_DEP_3) | instskip(SKIP_1) | instid1(VALU_DEP_3)
	v_mad_u32 v6, v1, s63, v6
	v_mad_u32 v1, v1, s62, v0
	v_dual_add_nc_u32 v5, v3, v5 :: v_dual_sub_nc_u32 v2, v2, v4
	s_delay_alu instid0(VALU_DEP_1) | instskip(NEXT) | instid1(VALU_DEP_2)
	v_lshrrev_b32_e32 v0, s71, v5
	v_mad_u32 v5, v2, s65, v6
	s_delay_alu instid0(VALU_DEP_4) | instskip(NEXT) | instid1(VALU_DEP_3)
	v_mad_u32 v1, v2, s64, v1
	v_mul_lo_u32 v4, v0, s69
	s_delay_alu instid0(VALU_DEP_1) | instskip(NEXT) | instid1(VALU_DEP_1)
	v_sub_nc_u32_e32 v2, v3, v4
	v_mad_u32 v45, v2, s67, v5
	s_delay_alu instid0(VALU_DEP_4)
	v_mad_u32 v44, v2, s66, v1
	s_cbranch_scc0 .LBB11_290
	s_branch .LBB11_294
.LBB11_291:
	s_mov_b32 s0, -1
                                        ; implicit-def: $vgpr45
	s_branch .LBB11_298
.LBB11_292:
	v_dual_mov_b32 v45, 0 :: v_dual_mov_b32 v44, 0
	s_branch .LBB11_297
.LBB11_293:
	v_mov_b64_e32 v[44:45], 0
	v_mov_b32_e32 v0, v42
.LBB11_294:
	s_and_b32 s4, s1, 3
	s_mov_b32 s1, 0
	s_cmp_eq_u32 s4, 0
	s_cbranch_scc1 .LBB11_297
; %bb.295:
	s_lshl_b32 s2, s0, 3
	s_mov_b32 s3, s1
	s_mul_u64 s[6:7], s[0:1], 12
	s_add_nc_u64 s[2:3], s[24:25], s[2:3]
	s_delay_alu instid0(SALU_CYCLE_1)
	s_add_nc_u64 s[0:1], s[2:3], 0xc4
	s_add_nc_u64 s[2:3], s[24:25], s[6:7]
.LBB11_296:                             ; =>This Inner Loop Header: Depth=1
	s_load_b96 s[8:10], s[2:3], 0x4
	s_load_b64 s[6:7], s[0:1], 0x0
	s_add_co_i32 s4, s4, -1
	s_wait_xcnt 0x0
	s_add_nc_u64 s[2:3], s[2:3], 12
	s_cmp_lg_u32 s4, 0
	s_add_nc_u64 s[0:1], s[0:1], 8
	s_wait_kmcnt 0x0
	v_mul_hi_u32 v1, s9, v0
	s_delay_alu instid0(VALU_DEP_1) | instskip(NEXT) | instid1(VALU_DEP_1)
	v_add_nc_u32_e32 v1, v0, v1
	v_lshrrev_b32_e32 v1, s10, v1
	s_delay_alu instid0(VALU_DEP_1) | instskip(NEXT) | instid1(VALU_DEP_1)
	v_mul_lo_u32 v2, v1, s8
	v_sub_nc_u32_e32 v0, v0, v2
	s_delay_alu instid0(VALU_DEP_1)
	v_mad_u32 v45, v0, s7, v45
	v_mad_u32 v44, v0, s6, v44
	v_mov_b32_e32 v0, v1
	s_cbranch_scc1 .LBB11_296
.LBB11_297:
	s_mov_b32 s0, 0
.LBB11_298:
	s_delay_alu instid0(SALU_CYCLE_1)
	s_and_not1_b32 vcc_lo, exec_lo, s0
	s_cbranch_vccnz .LBB11_301
; %bb.299:
	v_mov_b32_e32 v43, 0
	s_and_not1_b32 vcc_lo, exec_lo, s41
	s_delay_alu instid0(VALU_DEP_1) | instskip(NEXT) | instid1(VALU_DEP_1)
	v_mul_u64_e32 v[0:1], s[26:27], v[42:43]
	v_add_nc_u32_e32 v0, v42, v1
	s_delay_alu instid0(VALU_DEP_1) | instskip(NEXT) | instid1(VALU_DEP_1)
	v_lshrrev_b32_e32 v0, s22, v0
	v_mul_lo_u32 v1, v0, s20
	s_delay_alu instid0(VALU_DEP_1) | instskip(NEXT) | instid1(VALU_DEP_1)
	v_sub_nc_u32_e32 v1, v42, v1
	v_mul_lo_u32 v45, v1, s17
	v_mul_lo_u32 v44, v1, s16
	s_cbranch_vccnz .LBB11_301
; %bb.300:
	v_mov_b32_e32 v1, v43
	s_delay_alu instid0(VALU_DEP_1) | instskip(NEXT) | instid1(VALU_DEP_1)
	v_mul_u64_e32 v[2:3], s[34:35], v[0:1]
	v_add_nc_u32_e32 v1, v0, v3
	s_delay_alu instid0(VALU_DEP_1) | instskip(NEXT) | instid1(VALU_DEP_1)
	v_lshrrev_b32_e32 v1, s29, v1
	v_mul_lo_u32 v1, v1, s23
	s_delay_alu instid0(VALU_DEP_1) | instskip(NEXT) | instid1(VALU_DEP_1)
	v_sub_nc_u32_e32 v0, v0, v1
	v_mad_u32 v44, v0, s18, v44
	v_mad_u32 v45, v0, s19, v45
.LBB11_301:
	v_dual_mov_b32 v0, s14 :: v_dual_mov_b32 v1, s15
	s_delay_alu instid0(VALU_DEP_2) | instskip(SKIP_2) | instid1(SALU_CYCLE_1)
	v_dual_mov_b32 v2, v45 :: v_dual_mov_b32 v3, v40
	s_get_pc_i64 s[0:1]
	s_add_nc_u64 s[0:1], s[0:1], _ZN2at6native6invokeIZZZNS0_12_GLOBAL__N_121bessel_y1_kernel_cudaERNS_18TensorIteratorBaseEENKUlvE_clEvENKUlvE_clEvEUldE_j15function_traitsIS7_EEENT1_11result_typeERKT_PrKPcPKT0_PKN3c1010ScalarTypeEi@rel64+4
	s_swap_pc_i64 s[30:31], s[0:1]
	v_mov_b32_e32 v45, 0
	s_and_b32 s1, s21, 0xff
	s_delay_alu instid0(SALU_CYCLE_1) | instskip(NEXT) | instid1(VALU_DEP_1)
	s_cmp_lt_i32 s1, 11
	v_add_nc_u64_e32 v[4:5], s[12:13], v[44:45]
	s_cbranch_scc1 .LBB11_308
; %bb.302:
	s_and_b32 s2, 0xffff, s1
	s_delay_alu instid0(SALU_CYCLE_1)
	s_cmp_gt_i32 s2, 25
	s_cbranch_scc0 .LBB11_309
; %bb.303:
	s_cmp_gt_i32 s2, 28
	s_cbranch_scc0 .LBB11_310
; %bb.304:
	;; [unrolled: 3-line block ×4, first 2 shown]
	s_mov_b32 s4, 0
	s_mov_b32 s0, -1
	s_cmp_eq_u32 s2, 46
	s_mov_b32 s3, 0
	s_cbranch_scc0 .LBB11_317
; %bb.307:
	v_cvt_f32_f64_e32 v2, v[0:1]
	s_mov_b32 s3, -1
	s_mov_b32 s0, 0
	s_delay_alu instid0(VALU_DEP_1) | instskip(SKIP_1) | instid1(VALU_DEP_2)
	v_bfe_u32 v3, v2, 16, 1
	v_cmp_o_f32_e32 vcc_lo, v2, v2
	v_add3_u32 v3, v2, v3, 0x7fff
	s_delay_alu instid0(VALU_DEP_1) | instskip(NEXT) | instid1(VALU_DEP_1)
	v_lshrrev_b32_e32 v3, 16, v3
	v_cndmask_b32_e32 v2, 0x7fc0, v3, vcc_lo
	global_store_b32 v[4:5], v2, off
	s_branch .LBB11_317
.LBB11_308:
	s_mov_b32 s2, -1
	s_mov_b32 s3, 0
	s_mov_b32 s0, s46
	s_branch .LBB11_386
.LBB11_309:
	s_mov_b32 s4, -1
	s_mov_b32 s3, 0
	s_mov_b32 s0, s46
	s_branch .LBB11_344
.LBB11_310:
	s_mov_b32 s4, -1
	s_mov_b32 s3, 0
	s_mov_b32 s0, s46
	s_branch .LBB11_327
.LBB11_311:
	s_and_not1_saveexec_b32 s5, s5
	s_cbranch_execz .LBB11_196
.LBB11_312:
	v_add_f32_e64 v3, 0x46000000, |v2|
	s_and_not1_b32 s4, s4, exec_lo
	s_delay_alu instid0(VALU_DEP_1) | instskip(NEXT) | instid1(VALU_DEP_1)
	v_and_b32_e32 v3, 0xff, v3
	v_cmp_ne_u32_e32 vcc_lo, 0, v3
	s_and_b32 s6, vcc_lo, exec_lo
	s_delay_alu instid0(SALU_CYCLE_1)
	s_or_b32 s4, s4, s6
	s_or_b32 exec_lo, exec_lo, s5
	v_mov_b32_e32 v6, 0
	s_and_saveexec_b32 s5, s4
	s_cbranch_execnz .LBB11_197
	s_branch .LBB11_198
.LBB11_313:
	s_mov_b32 s4, -1
	s_mov_b32 s3, 0
	s_mov_b32 s0, s46
	s_branch .LBB11_323
.LBB11_314:
	s_and_not1_saveexec_b32 s5, s5
	s_cbranch_execz .LBB11_209
.LBB11_315:
	v_add_f32_e64 v3, 0x42800000, |v2|
	s_and_not1_b32 s4, s4, exec_lo
	s_delay_alu instid0(VALU_DEP_1) | instskip(NEXT) | instid1(VALU_DEP_1)
	v_and_b32_e32 v3, 0xff, v3
	v_cmp_ne_u32_e32 vcc_lo, 0, v3
	s_and_b32 s6, vcc_lo, exec_lo
	s_delay_alu instid0(SALU_CYCLE_1)
	s_or_b32 s4, s4, s6
	s_or_b32 exec_lo, exec_lo, s5
	v_mov_b32_e32 v6, 0
	s_and_saveexec_b32 s5, s4
	s_cbranch_execnz .LBB11_210
	s_branch .LBB11_211
.LBB11_316:
	s_mov_b32 s4, -1
	s_mov_b32 s3, 0
	s_mov_b32 s0, s46
.LBB11_317:
	s_and_b32 vcc_lo, exec_lo, s4
	s_cbranch_vccz .LBB11_322
; %bb.318:
	s_cmp_eq_u32 s2, 44
	s_mov_b32 s0, -1
	s_cbranch_scc0 .LBB11_322
; %bb.319:
	s_wait_xcnt 0x0
	v_cvt_f32_f64_e32 v2, v[0:1]
	v_mov_b32_e32 v3, 0xff
	s_mov_b32 s3, exec_lo
	s_delay_alu instid0(VALU_DEP_2) | instskip(NEXT) | instid1(VALU_DEP_1)
	v_bfe_u32 v6, v2, 23, 8
	v_cmpx_ne_u32_e32 0xff, v6
	s_cbranch_execz .LBB11_321
; %bb.320:
	v_and_b32_e32 v3, 0x400000, v2
	v_and_or_b32 v6, 0x3fffff, v2, v6
	v_lshrrev_b32_e32 v2, 23, v2
	s_delay_alu instid0(VALU_DEP_3) | instskip(NEXT) | instid1(VALU_DEP_3)
	v_cmp_ne_u32_e32 vcc_lo, 0, v3
	v_cmp_ne_u32_e64 s0, 0, v6
	s_and_b32 s0, vcc_lo, s0
	s_delay_alu instid0(SALU_CYCLE_1) | instskip(NEXT) | instid1(VALU_DEP_1)
	v_cndmask_b32_e64 v3, 0, 1, s0
	v_add_nc_u32_e32 v3, v2, v3
.LBB11_321:
	s_or_b32 exec_lo, exec_lo, s3
	s_mov_b32 s3, -1
	s_mov_b32 s0, 0
	global_store_b8 v[4:5], v3, off
.LBB11_322:
	s_mov_b32 s4, 0
.LBB11_323:
	s_delay_alu instid0(SALU_CYCLE_1)
	s_and_b32 vcc_lo, exec_lo, s4
	s_cbranch_vccz .LBB11_326
; %bb.324:
	s_cmp_eq_u32 s2, 29
	s_mov_b32 s0, -1
	s_cbranch_scc0 .LBB11_326
; %bb.325:
	s_wait_xcnt 0x0
	v_trunc_f64_e32 v[2:3], v[0:1]
	s_mov_b32 s3, -1
	s_mov_b32 s0, 0
	s_mov_b32 s4, 0
	s_delay_alu instid0(VALU_DEP_1) | instskip(NEXT) | instid1(VALU_DEP_1)
	v_ldexp_f64 v[6:7], v[2:3], 0xffffffe0
	v_floor_f64_e32 v[6:7], v[6:7]
	s_delay_alu instid0(VALU_DEP_1) | instskip(SKIP_1) | instid1(VALU_DEP_2)
	v_fmamk_f64 v[2:3], v[6:7], 0xc1f00000, v[2:3]
	v_cvt_u32_f64_e32 v7, v[6:7]
	v_cvt_u32_f64_e32 v6, v[2:3]
	global_store_b64 v[4:5], v[6:7], off
	s_branch .LBB11_327
.LBB11_326:
	s_mov_b32 s4, 0
.LBB11_327:
	s_delay_alu instid0(SALU_CYCLE_1)
	s_and_b32 vcc_lo, exec_lo, s4
	s_cbranch_vccz .LBB11_343
; %bb.328:
	s_cmp_lt_i32 s2, 27
	s_mov_b32 s3, -1
	s_cbranch_scc1 .LBB11_334
; %bb.329:
	s_wait_xcnt 0x0
	v_cvt_u32_f64_e32 v2, v[0:1]
	s_cmp_gt_i32 s2, 27
	s_cbranch_scc0 .LBB11_331
; %bb.330:
	s_mov_b32 s3, 0
	global_store_b32 v[4:5], v2, off
.LBB11_331:
	s_and_not1_b32 vcc_lo, exec_lo, s3
	s_cbranch_vccnz .LBB11_333
; %bb.332:
	global_store_b16 v[4:5], v2, off
.LBB11_333:
	s_mov_b32 s3, 0
.LBB11_334:
	s_delay_alu instid0(SALU_CYCLE_1)
	s_and_not1_b32 vcc_lo, exec_lo, s3
	s_cbranch_vccnz .LBB11_342
; %bb.335:
	s_wait_xcnt 0x0
	v_cvt_f32_f64_e32 v2, v[0:1]
	v_mov_b32_e32 v6, 0x80
	s_mov_b32 s3, exec_lo
	s_delay_alu instid0(VALU_DEP_2) | instskip(NEXT) | instid1(VALU_DEP_1)
	v_and_b32_e32 v3, 0x7fffffff, v2
	v_cmpx_gt_u32_e32 0x43800000, v3
	s_cbranch_execz .LBB11_341
; %bb.336:
	v_cmp_lt_u32_e32 vcc_lo, 0x3bffffff, v3
	s_mov_b32 s4, 0
                                        ; implicit-def: $vgpr3
	s_and_saveexec_b32 s5, vcc_lo
	s_delay_alu instid0(SALU_CYCLE_1)
	s_xor_b32 s5, exec_lo, s5
	s_cbranch_execz .LBB11_454
; %bb.337:
	v_bfe_u32 v3, v2, 20, 1
	s_mov_b32 s4, exec_lo
	s_delay_alu instid0(VALU_DEP_1) | instskip(NEXT) | instid1(VALU_DEP_1)
	v_add3_u32 v3, v2, v3, 0x487ffff
	v_lshrrev_b32_e32 v3, 20, v3
	s_and_not1_saveexec_b32 s5, s5
	s_cbranch_execnz .LBB11_455
.LBB11_338:
	s_or_b32 exec_lo, exec_lo, s5
	v_mov_b32_e32 v6, 0
	s_and_saveexec_b32 s5, s4
.LBB11_339:
	v_lshrrev_b32_e32 v2, 24, v2
	s_delay_alu instid0(VALU_DEP_1)
	v_and_or_b32 v6, 0x80, v2, v3
.LBB11_340:
	s_or_b32 exec_lo, exec_lo, s5
.LBB11_341:
	s_delay_alu instid0(SALU_CYCLE_1)
	s_or_b32 exec_lo, exec_lo, s3
	global_store_b8 v[4:5], v6, off
.LBB11_342:
	s_mov_b32 s3, -1
.LBB11_343:
	s_mov_b32 s4, 0
.LBB11_344:
	s_delay_alu instid0(SALU_CYCLE_1)
	s_and_b32 vcc_lo, exec_lo, s4
	s_cbranch_vccz .LBB11_385
; %bb.345:
	s_cmp_gt_i32 s2, 22
	s_mov_b32 s4, -1
	s_cbranch_scc0 .LBB11_377
; %bb.346:
	s_cmp_lt_i32 s2, 24
	s_mov_b32 s3, -1
	s_cbranch_scc1 .LBB11_366
; %bb.347:
	s_cmp_gt_i32 s2, 24
	s_cbranch_scc0 .LBB11_355
; %bb.348:
	s_wait_xcnt 0x0
	v_cvt_f32_f64_e32 v2, v[0:1]
	v_mov_b32_e32 v6, 0x80
	s_mov_b32 s3, exec_lo
	s_delay_alu instid0(VALU_DEP_2) | instskip(NEXT) | instid1(VALU_DEP_1)
	v_and_b32_e32 v3, 0x7fffffff, v2
	v_cmpx_gt_u32_e32 0x47800000, v3
	s_cbranch_execz .LBB11_354
; %bb.349:
	v_cmp_lt_u32_e32 vcc_lo, 0x37ffffff, v3
	s_mov_b32 s4, 0
                                        ; implicit-def: $vgpr3
	s_and_saveexec_b32 s5, vcc_lo
	s_delay_alu instid0(SALU_CYCLE_1)
	s_xor_b32 s5, exec_lo, s5
	s_cbranch_execz .LBB11_456
; %bb.350:
	v_bfe_u32 v3, v2, 21, 1
	s_mov_b32 s4, exec_lo
	s_delay_alu instid0(VALU_DEP_1) | instskip(NEXT) | instid1(VALU_DEP_1)
	v_add3_u32 v3, v2, v3, 0x88fffff
	v_lshrrev_b32_e32 v3, 21, v3
	s_and_not1_saveexec_b32 s5, s5
	s_cbranch_execnz .LBB11_457
.LBB11_351:
	s_or_b32 exec_lo, exec_lo, s5
	v_mov_b32_e32 v6, 0
	s_and_saveexec_b32 s5, s4
.LBB11_352:
	v_lshrrev_b32_e32 v2, 24, v2
	s_delay_alu instid0(VALU_DEP_1)
	v_and_or_b32 v6, 0x80, v2, v3
.LBB11_353:
	s_or_b32 exec_lo, exec_lo, s5
.LBB11_354:
	s_delay_alu instid0(SALU_CYCLE_1)
	s_or_b32 exec_lo, exec_lo, s3
	s_mov_b32 s3, 0
	global_store_b8 v[4:5], v6, off
.LBB11_355:
	s_and_b32 vcc_lo, exec_lo, s3
	s_cbranch_vccz .LBB11_365
; %bb.356:
	s_wait_xcnt 0x0
	v_cvt_f32_f64_e32 v2, v[0:1]
	s_mov_b32 s3, exec_lo
                                        ; implicit-def: $vgpr3
	s_delay_alu instid0(VALU_DEP_1) | instskip(NEXT) | instid1(VALU_DEP_1)
	v_and_b32_e32 v6, 0x7fffffff, v2
	v_cmpx_gt_u32_e32 0x43f00000, v6
	s_xor_b32 s3, exec_lo, s3
	s_cbranch_execz .LBB11_362
; %bb.357:
	s_mov_b32 s4, exec_lo
                                        ; implicit-def: $vgpr3
	v_cmpx_lt_u32_e32 0x3c7fffff, v6
	s_xor_b32 s4, exec_lo, s4
; %bb.358:
	v_bfe_u32 v3, v2, 20, 1
	s_delay_alu instid0(VALU_DEP_1) | instskip(NEXT) | instid1(VALU_DEP_1)
	v_add3_u32 v3, v2, v3, 0x407ffff
	v_and_b32_e32 v6, 0xff00000, v3
	v_lshrrev_b32_e32 v3, 20, v3
	s_delay_alu instid0(VALU_DEP_2) | instskip(NEXT) | instid1(VALU_DEP_2)
	v_cmp_ne_u32_e32 vcc_lo, 0x7f00000, v6
	v_cndmask_b32_e32 v3, 0x7e, v3, vcc_lo
; %bb.359:
	s_and_not1_saveexec_b32 s4, s4
; %bb.360:
	v_add_f32_e64 v3, 0x46800000, |v2|
; %bb.361:
	s_or_b32 exec_lo, exec_lo, s4
                                        ; implicit-def: $vgpr6
.LBB11_362:
	s_and_not1_saveexec_b32 s3, s3
; %bb.363:
	v_mov_b32_e32 v3, 0x7f
	v_cmp_lt_u32_e32 vcc_lo, 0x7f800000, v6
	s_delay_alu instid0(VALU_DEP_2)
	v_cndmask_b32_e32 v3, 0x7e, v3, vcc_lo
; %bb.364:
	s_or_b32 exec_lo, exec_lo, s3
	v_lshrrev_b32_e32 v2, 24, v2
	s_delay_alu instid0(VALU_DEP_1)
	v_and_or_b32 v2, 0x80, v2, v3
	global_store_b8 v[4:5], v2, off
.LBB11_365:
	s_mov_b32 s3, 0
.LBB11_366:
	s_delay_alu instid0(SALU_CYCLE_1)
	s_and_not1_b32 vcc_lo, exec_lo, s3
	s_cbranch_vccnz .LBB11_376
; %bb.367:
	s_wait_xcnt 0x0
	v_cvt_f32_f64_e32 v2, v[0:1]
	s_mov_b32 s3, exec_lo
                                        ; implicit-def: $vgpr3
	s_delay_alu instid0(VALU_DEP_1) | instskip(NEXT) | instid1(VALU_DEP_1)
	v_and_b32_e32 v6, 0x7fffffff, v2
	v_cmpx_gt_u32_e32 0x47800000, v6
	s_xor_b32 s3, exec_lo, s3
	s_cbranch_execz .LBB11_373
; %bb.368:
	s_mov_b32 s4, exec_lo
                                        ; implicit-def: $vgpr3
	v_cmpx_lt_u32_e32 0x387fffff, v6
	s_xor_b32 s4, exec_lo, s4
; %bb.369:
	v_bfe_u32 v3, v2, 21, 1
	s_delay_alu instid0(VALU_DEP_1) | instskip(NEXT) | instid1(VALU_DEP_1)
	v_add3_u32 v3, v2, v3, 0x80fffff
	v_lshrrev_b32_e32 v3, 21, v3
; %bb.370:
	s_and_not1_saveexec_b32 s4, s4
; %bb.371:
	v_add_f32_e64 v3, 0x43000000, |v2|
; %bb.372:
	s_or_b32 exec_lo, exec_lo, s4
                                        ; implicit-def: $vgpr6
.LBB11_373:
	s_and_not1_saveexec_b32 s3, s3
; %bb.374:
	v_mov_b32_e32 v3, 0x7f
	v_cmp_lt_u32_e32 vcc_lo, 0x7f800000, v6
	s_delay_alu instid0(VALU_DEP_2)
	v_cndmask_b32_e32 v3, 0x7c, v3, vcc_lo
; %bb.375:
	s_or_b32 exec_lo, exec_lo, s3
	v_lshrrev_b32_e32 v2, 24, v2
	s_delay_alu instid0(VALU_DEP_1)
	v_and_or_b32 v2, 0x80, v2, v3
	global_store_b8 v[4:5], v2, off
.LBB11_376:
	s_mov_b32 s4, 0
	s_mov_b32 s3, -1
.LBB11_377:
	s_and_not1_b32 vcc_lo, exec_lo, s4
	s_cbranch_vccnz .LBB11_385
; %bb.378:
	s_cmp_gt_i32 s2, 14
	s_mov_b32 s4, -1
	s_cbranch_scc0 .LBB11_382
; %bb.379:
	s_cmp_eq_u32 s2, 15
	s_mov_b32 s0, -1
	s_cbranch_scc0 .LBB11_381
; %bb.380:
	s_wait_xcnt 0x0
	v_cvt_f32_f64_e32 v2, v[0:1]
	s_mov_b32 s3, -1
	s_mov_b32 s0, 0
	s_delay_alu instid0(VALU_DEP_1) | instskip(SKIP_1) | instid1(VALU_DEP_2)
	v_bfe_u32 v3, v2, 16, 1
	v_cmp_o_f32_e32 vcc_lo, v2, v2
	v_add3_u32 v3, v2, v3, 0x7fff
	s_delay_alu instid0(VALU_DEP_1) | instskip(NEXT) | instid1(VALU_DEP_1)
	v_lshrrev_b32_e32 v3, 16, v3
	v_cndmask_b32_e32 v2, 0x7fc0, v3, vcc_lo
	global_store_b16 v[4:5], v2, off
.LBB11_381:
	s_mov_b32 s4, 0
.LBB11_382:
	s_delay_alu instid0(SALU_CYCLE_1)
	s_and_b32 vcc_lo, exec_lo, s4
	s_cbranch_vccz .LBB11_385
; %bb.383:
	s_cmp_eq_u32 s2, 11
	s_mov_b32 s0, -1
	s_cbranch_scc0 .LBB11_385
; %bb.384:
	v_cmp_neq_f64_e32 vcc_lo, 0, v[0:1]
	s_mov_b32 s3, -1
	s_mov_b32 s0, 0
	s_wait_xcnt 0x0
	v_cndmask_b32_e64 v2, 0, 1, vcc_lo
	global_store_b8 v[4:5], v2, off
.LBB11_385:
	s_mov_b32 s2, 0
.LBB11_386:
	s_delay_alu instid0(SALU_CYCLE_1)
	s_and_b32 vcc_lo, exec_lo, s2
	s_cbranch_vccz .LBB11_425
; %bb.387:
	s_and_b32 s1, 0xffff, s1
	s_mov_b32 s2, -1
	s_cmp_lt_i32 s1, 5
	s_cbranch_scc1 .LBB11_408
; %bb.388:
	s_cmp_lt_i32 s1, 8
	s_cbranch_scc1 .LBB11_398
; %bb.389:
	;; [unrolled: 3-line block ×3, first 2 shown]
	s_cmp_gt_i32 s1, 9
	s_cbranch_scc0 .LBB11_392
; %bb.391:
	s_wait_xcnt 0x0
	v_mov_b32_e32 v2, 0
	s_mov_b32 s2, 0
	s_delay_alu instid0(VALU_DEP_1)
	v_mov_b32_e32 v3, v2
	global_store_b128 v[4:5], v[0:3], off
.LBB11_392:
	s_and_not1_b32 vcc_lo, exec_lo, s2
	s_cbranch_vccnz .LBB11_394
; %bb.393:
	s_wait_xcnt 0x0
	v_cvt_f32_f64_e32 v2, v[0:1]
	v_mov_b32_e32 v3, 0
	global_store_b64 v[4:5], v[2:3], off
.LBB11_394:
	s_mov_b32 s2, 0
.LBB11_395:
	s_delay_alu instid0(SALU_CYCLE_1)
	s_and_not1_b32 vcc_lo, exec_lo, s2
	s_cbranch_vccnz .LBB11_397
; %bb.396:
	s_wait_xcnt 0x0
	v_and_or_b32 v2, 0x1ff, v1, v0
	v_lshrrev_b32_e32 v3, 8, v1
	v_bfe_u32 v6, v1, 20, 11
	s_delay_alu instid0(VALU_DEP_3) | instskip(NEXT) | instid1(VALU_DEP_2)
	v_cmp_ne_u32_e32 vcc_lo, 0, v2
	v_sub_nc_u32_e32 v7, 0x3f1, v6
	v_cndmask_b32_e64 v2, 0, 1, vcc_lo
	s_delay_alu instid0(VALU_DEP_1) | instskip(NEXT) | instid1(VALU_DEP_3)
	v_and_or_b32 v2, 0xffe, v3, v2
	v_med3_i32 v3, v7, 0, 13
	s_delay_alu instid0(VALU_DEP_2) | instskip(NEXT) | instid1(VALU_DEP_1)
	v_or_b32_e32 v7, 0x1000, v2
	v_lshrrev_b32_e32 v8, v3, v7
	s_delay_alu instid0(VALU_DEP_1) | instskip(NEXT) | instid1(VALU_DEP_1)
	v_lshlrev_b32_e32 v3, v3, v8
	v_cmp_ne_u32_e32 vcc_lo, v3, v7
	v_cndmask_b32_e64 v3, 0, 1, vcc_lo
	s_delay_alu instid0(VALU_DEP_1) | instskip(SKIP_1) | instid1(VALU_DEP_1)
	v_or_b32_e32 v3, v8, v3
	v_add_nc_u32_e32 v6, 0xfffffc10, v6
	v_lshl_or_b32 v7, v6, 12, v2
	v_cmp_gt_i32_e32 vcc_lo, 1, v6
	s_delay_alu instid0(VALU_DEP_2) | instskip(NEXT) | instid1(VALU_DEP_1)
	v_cndmask_b32_e32 v3, v7, v3, vcc_lo
	v_dual_lshrrev_b32 v3, 2, v3 :: v_dual_bitop2_b32 v7, 7, v3 bitop3:0x40
	s_delay_alu instid0(VALU_DEP_1) | instskip(SKIP_4) | instid1(VALU_DEP_2)
	v_cmp_lt_i32_e32 vcc_lo, 5, v7
	v_cndmask_b32_e64 v8, 0, 1, vcc_lo
	v_cmp_eq_u32_e32 vcc_lo, 3, v7
	v_cndmask_b32_e64 v7, 0, 1, vcc_lo
	v_cmp_ne_u32_e32 vcc_lo, 0, v2
	v_or_b32_e32 v7, v7, v8
	s_delay_alu instid0(VALU_DEP_1) | instskip(NEXT) | instid1(VALU_DEP_1)
	v_dual_mov_b32 v8, 0x7e00 :: v_dual_add_nc_u32 v3, v3, v7
	v_cndmask_b32_e32 v2, 0x7c00, v8, vcc_lo
	v_cmp_gt_i32_e32 vcc_lo, 31, v6
	v_lshrrev_b32_e32 v7, 16, v1
	s_delay_alu instid0(VALU_DEP_4) | instskip(SKIP_1) | instid1(VALU_DEP_2)
	v_cndmask_b32_e32 v3, 0x7c00, v3, vcc_lo
	v_cmp_eq_u32_e32 vcc_lo, 0x40f, v6
	v_cndmask_b32_e32 v2, v3, v2, vcc_lo
	s_delay_alu instid0(VALU_DEP_4) | instskip(NEXT) | instid1(VALU_DEP_1)
	v_and_b32_e32 v3, 0x8000, v7
	v_bitop3_b32 v2, v3, 0xffff, v2 bitop3:0xc8
	global_store_b32 v[4:5], v2, off
.LBB11_397:
	s_mov_b32 s2, 0
.LBB11_398:
	s_delay_alu instid0(SALU_CYCLE_1)
	s_and_not1_b32 vcc_lo, exec_lo, s2
	s_cbranch_vccnz .LBB11_407
; %bb.399:
	s_cmp_lt_i32 s1, 6
	s_mov_b32 s2, -1
	s_cbranch_scc1 .LBB11_405
; %bb.400:
	s_cmp_gt_i32 s1, 6
	s_cbranch_scc0 .LBB11_402
; %bb.401:
	s_mov_b32 s2, 0
	global_store_b64 v[4:5], v[0:1], off
.LBB11_402:
	s_and_not1_b32 vcc_lo, exec_lo, s2
	s_cbranch_vccnz .LBB11_404
; %bb.403:
	s_wait_xcnt 0x0
	v_cvt_f32_f64_e32 v2, v[0:1]
	global_store_b32 v[4:5], v2, off
.LBB11_404:
	s_mov_b32 s2, 0
.LBB11_405:
	s_delay_alu instid0(SALU_CYCLE_1)
	s_and_not1_b32 vcc_lo, exec_lo, s2
	s_cbranch_vccnz .LBB11_407
; %bb.406:
	s_wait_xcnt 0x0
	v_and_or_b32 v2, 0x1ff, v1, v0
	v_lshrrev_b32_e32 v3, 8, v1
	v_bfe_u32 v6, v1, 20, 11
	s_delay_alu instid0(VALU_DEP_3) | instskip(NEXT) | instid1(VALU_DEP_2)
	v_cmp_ne_u32_e32 vcc_lo, 0, v2
	v_sub_nc_u32_e32 v7, 0x3f1, v6
	v_cndmask_b32_e64 v2, 0, 1, vcc_lo
	s_delay_alu instid0(VALU_DEP_1) | instskip(NEXT) | instid1(VALU_DEP_3)
	v_and_or_b32 v2, 0xffe, v3, v2
	v_med3_i32 v3, v7, 0, 13
	s_delay_alu instid0(VALU_DEP_2) | instskip(NEXT) | instid1(VALU_DEP_1)
	v_or_b32_e32 v7, 0x1000, v2
	v_lshrrev_b32_e32 v8, v3, v7
	s_delay_alu instid0(VALU_DEP_1) | instskip(NEXT) | instid1(VALU_DEP_1)
	v_lshlrev_b32_e32 v3, v3, v8
	v_cmp_ne_u32_e32 vcc_lo, v3, v7
	v_cndmask_b32_e64 v3, 0, 1, vcc_lo
	s_delay_alu instid0(VALU_DEP_1) | instskip(SKIP_1) | instid1(VALU_DEP_1)
	v_or_b32_e32 v3, v8, v3
	v_add_nc_u32_e32 v6, 0xfffffc10, v6
	v_lshl_or_b32 v7, v6, 12, v2
	v_cmp_gt_i32_e32 vcc_lo, 1, v6
	s_delay_alu instid0(VALU_DEP_2) | instskip(NEXT) | instid1(VALU_DEP_1)
	v_cndmask_b32_e32 v3, v7, v3, vcc_lo
	v_dual_lshrrev_b32 v3, 2, v3 :: v_dual_bitop2_b32 v7, 7, v3 bitop3:0x40
	s_delay_alu instid0(VALU_DEP_1) | instskip(SKIP_4) | instid1(VALU_DEP_2)
	v_cmp_lt_i32_e32 vcc_lo, 5, v7
	v_cndmask_b32_e64 v8, 0, 1, vcc_lo
	v_cmp_eq_u32_e32 vcc_lo, 3, v7
	v_cndmask_b32_e64 v7, 0, 1, vcc_lo
	v_cmp_ne_u32_e32 vcc_lo, 0, v2
	v_or_b32_e32 v7, v7, v8
	s_delay_alu instid0(VALU_DEP_1) | instskip(NEXT) | instid1(VALU_DEP_1)
	v_dual_mov_b32 v8, 0x7e00 :: v_dual_add_nc_u32 v3, v3, v7
	v_cndmask_b32_e32 v2, 0x7c00, v8, vcc_lo
	v_cmp_gt_i32_e32 vcc_lo, 31, v6
	s_delay_alu instid0(VALU_DEP_3) | instskip(SKIP_1) | instid1(VALU_DEP_2)
	v_cndmask_b32_e32 v3, 0x7c00, v3, vcc_lo
	v_cmp_eq_u32_e32 vcc_lo, 0x40f, v6
	v_dual_cndmask_b32 v2, v3, v2 :: v_dual_lshrrev_b32 v3, 16, v1
	s_delay_alu instid0(VALU_DEP_1)
	v_and_or_b32 v2, 0x8000, v3, v2
	global_store_b16 v[4:5], v2, off
.LBB11_407:
	s_mov_b32 s2, 0
.LBB11_408:
	s_delay_alu instid0(SALU_CYCLE_1)
	s_and_not1_b32 vcc_lo, exec_lo, s2
	s_cbranch_vccnz .LBB11_424
; %bb.409:
	s_cmp_lt_i32 s1, 2
	s_mov_b32 s2, -1
	s_cbranch_scc1 .LBB11_419
; %bb.410:
	s_cmp_lt_i32 s1, 3
	s_cbranch_scc1 .LBB11_416
; %bb.411:
	s_cmp_gt_i32 s1, 3
	s_cbranch_scc0 .LBB11_413
; %bb.412:
	s_wait_xcnt 0x0
	v_trunc_f64_e32 v[2:3], v[0:1]
	s_mov_b32 s2, 0
	s_delay_alu instid0(VALU_DEP_1) | instskip(NEXT) | instid1(VALU_DEP_1)
	v_ldexp_f64 v[6:7], v[2:3], 0xffffffe0
	v_floor_f64_e32 v[6:7], v[6:7]
	s_delay_alu instid0(VALU_DEP_1) | instskip(SKIP_1) | instid1(VALU_DEP_2)
	v_fmamk_f64 v[2:3], v[6:7], 0xc1f00000, v[2:3]
	v_cvt_i32_f64_e32 v7, v[6:7]
	v_cvt_u32_f64_e32 v6, v[2:3]
	global_store_b64 v[4:5], v[6:7], off
.LBB11_413:
	s_and_not1_b32 vcc_lo, exec_lo, s2
	s_cbranch_vccnz .LBB11_415
; %bb.414:
	s_wait_xcnt 0x0
	v_cvt_i32_f64_e32 v2, v[0:1]
	global_store_b32 v[4:5], v2, off
.LBB11_415:
	s_mov_b32 s2, 0
.LBB11_416:
	s_delay_alu instid0(SALU_CYCLE_1)
	s_and_not1_b32 vcc_lo, exec_lo, s2
	s_cbranch_vccnz .LBB11_418
; %bb.417:
	s_wait_xcnt 0x0
	v_cvt_i32_f64_e32 v2, v[0:1]
	global_store_b16 v[4:5], v2, off
.LBB11_418:
	s_mov_b32 s2, 0
.LBB11_419:
	s_delay_alu instid0(SALU_CYCLE_1)
	s_and_not1_b32 vcc_lo, exec_lo, s2
	s_cbranch_vccnz .LBB11_424
; %bb.420:
	s_cmp_gt_i32 s1, 0
	s_mov_b32 s1, -1
	s_cbranch_scc0 .LBB11_422
; %bb.421:
	s_wait_xcnt 0x0
	v_cvt_i32_f64_e32 v2, v[0:1]
	s_mov_b32 s1, 0
	global_store_b8 v[4:5], v2, off
.LBB11_422:
	s_and_not1_b32 vcc_lo, exec_lo, s1
	s_cbranch_vccnz .LBB11_424
; %bb.423:
	s_wait_xcnt 0x0
	v_trunc_f64_e32 v[0:1], v[0:1]
	s_delay_alu instid0(VALU_DEP_1) | instskip(NEXT) | instid1(VALU_DEP_1)
	v_ldexp_f64 v[2:3], v[0:1], 0xffffffe0
	v_floor_f64_e32 v[2:3], v[2:3]
	s_delay_alu instid0(VALU_DEP_1) | instskip(NEXT) | instid1(VALU_DEP_1)
	v_fmamk_f64 v[0:1], v[2:3], 0xc1f00000, v[0:1]
	v_cvt_u32_f64_e32 v0, v[0:1]
	global_store_b8 v[4:5], v0, off
.LBB11_424:
	s_mov_b32 s3, -1
.LBB11_425:
	s_delay_alu instid0(SALU_CYCLE_1)
	s_and_not1_b32 vcc_lo, exec_lo, s3
	s_cbranch_vccnz .LBB11_427
; %bb.426:
	v_add_nc_u32_e32 v42, 0x80, v42
	s_mov_b32 s1, -1
	s_branch .LBB11_428
.LBB11_427:
	s_mov_b32 s1, 0
                                        ; implicit-def: $vgpr42
.LBB11_428:
	s_and_not1_b32 s2, s46, exec_lo
	s_and_b32 s0, s0, exec_lo
	s_or_not1_b32 s3, s1, exec_lo
	s_or_b32 s49, s2, s0
.LBB11_429:
	s_wait_xcnt 0x0
	s_or_b32 exec_lo, exec_lo, s48
	s_mov_b32 s0, 0
	s_mov_b32 s2, 0
                                        ; implicit-def: $sgpr1
                                        ; implicit-def: $vgpr4_vgpr5
                                        ; implicit-def: $vgpr0_vgpr1
	s_and_saveexec_b32 s48, s3
	s_cbranch_execz .LBB11_528
; %bb.430:
	v_cmp_gt_i32_e32 vcc_lo, s42, v42
	s_mov_b32 s3, s49
                                        ; implicit-def: $sgpr1
                                        ; implicit-def: $vgpr4_vgpr5
                                        ; implicit-def: $vgpr0_vgpr1
	s_and_saveexec_b32 s42, vcc_lo
	s_cbranch_execz .LBB11_527
; %bb.431:
	s_and_not1_b32 vcc_lo, exec_lo, s39
	s_cbranch_vccnz .LBB11_436
; %bb.432:
	s_and_not1_b32 vcc_lo, exec_lo, s44
	s_cbranch_vccnz .LBB11_437
; %bb.433:
	s_add_co_i32 s43, s43, 1
	s_cmp_eq_u32 s33, 2
	s_cbranch_scc1 .LBB11_438
; %bb.434:
	v_dual_mov_b32 v44, 0 :: v_dual_mov_b32 v45, 0
	v_mov_b32_e32 v0, v42
	s_and_b32 s0, s43, 28
	s_mov_b32 s1, 0
	s_mov_b64 s[2:3], s[24:25]
.LBB11_435:                             ; =>This Inner Loop Header: Depth=1
	s_clause 0x1
	s_load_b256 s[52:59], s[2:3], 0x4
	s_load_b128 s[4:7], s[2:3], 0x24
	s_load_b256 s[60:67], s[36:37], 0x0
	s_add_co_i32 s1, s1, 4
	s_wait_xcnt 0x0
	s_add_nc_u64 s[2:3], s[2:3], 48
	s_cmp_eq_u32 s0, s1
	s_add_nc_u64 s[36:37], s[36:37], 32
	s_wait_kmcnt 0x0
	v_mul_hi_u32 v1, s53, v0
	s_delay_alu instid0(VALU_DEP_1) | instskip(NEXT) | instid1(VALU_DEP_1)
	v_add_nc_u32_e32 v1, v0, v1
	v_lshrrev_b32_e32 v1, s54, v1
	s_delay_alu instid0(VALU_DEP_1) | instskip(NEXT) | instid1(VALU_DEP_1)
	v_mul_hi_u32 v2, s56, v1
	v_add_nc_u32_e32 v2, v1, v2
	s_delay_alu instid0(VALU_DEP_1) | instskip(NEXT) | instid1(VALU_DEP_1)
	v_lshrrev_b32_e32 v2, s57, v2
	v_mul_hi_u32 v3, s59, v2
	s_delay_alu instid0(VALU_DEP_1) | instskip(SKIP_1) | instid1(VALU_DEP_1)
	v_add_nc_u32_e32 v3, v2, v3
	v_mul_lo_u32 v4, v1, s52
	v_sub_nc_u32_e32 v0, v0, v4
	v_mul_lo_u32 v4, v2, s55
	s_delay_alu instid0(VALU_DEP_4) | instskip(NEXT) | instid1(VALU_DEP_3)
	v_lshrrev_b32_e32 v3, s4, v3
	v_mad_u32 v6, v0, s61, v45
	v_mad_u32 v0, v0, s60, v44
	s_delay_alu instid0(VALU_DEP_4) | instskip(NEXT) | instid1(VALU_DEP_4)
	v_sub_nc_u32_e32 v1, v1, v4
	v_mul_hi_u32 v5, s6, v3
	v_mul_lo_u32 v4, v3, s58
	s_delay_alu instid0(VALU_DEP_3) | instskip(SKIP_1) | instid1(VALU_DEP_3)
	v_mad_u32 v6, v1, s63, v6
	v_mad_u32 v1, v1, s62, v0
	v_dual_add_nc_u32 v5, v3, v5 :: v_dual_sub_nc_u32 v2, v2, v4
	s_delay_alu instid0(VALU_DEP_1) | instskip(NEXT) | instid1(VALU_DEP_2)
	v_lshrrev_b32_e32 v0, s7, v5
	v_mad_u32 v5, v2, s65, v6
	s_delay_alu instid0(VALU_DEP_4) | instskip(NEXT) | instid1(VALU_DEP_3)
	v_mad_u32 v1, v2, s64, v1
	v_mul_lo_u32 v4, v0, s5
	s_delay_alu instid0(VALU_DEP_1) | instskip(NEXT) | instid1(VALU_DEP_1)
	v_sub_nc_u32_e32 v2, v3, v4
	v_mad_u32 v45, v2, s67, v5
	s_delay_alu instid0(VALU_DEP_4)
	v_mad_u32 v44, v2, s66, v1
	s_cbranch_scc0 .LBB11_435
	s_branch .LBB11_439
.LBB11_436:
	s_mov_b32 s0, -1
                                        ; implicit-def: $vgpr45
	s_branch .LBB11_443
.LBB11_437:
	v_dual_mov_b32 v45, 0 :: v_dual_mov_b32 v44, 0
	s_branch .LBB11_442
.LBB11_438:
	v_mov_b64_e32 v[44:45], 0
	v_mov_b32_e32 v0, v42
.LBB11_439:
	s_and_b32 s4, s43, 3
	s_mov_b32 s1, 0
	s_cmp_eq_u32 s4, 0
	s_cbranch_scc1 .LBB11_442
; %bb.440:
	s_lshl_b32 s2, s0, 3
	s_mov_b32 s3, s1
	s_mul_u64 s[6:7], s[0:1], 12
	s_add_nc_u64 s[2:3], s[24:25], s[2:3]
	s_delay_alu instid0(SALU_CYCLE_1)
	s_add_nc_u64 s[0:1], s[2:3], 0xc4
	s_add_nc_u64 s[2:3], s[24:25], s[6:7]
.LBB11_441:                             ; =>This Inner Loop Header: Depth=1
	s_load_b96 s[8:10], s[2:3], 0x4
	s_load_b64 s[6:7], s[0:1], 0x0
	s_add_co_i32 s4, s4, -1
	s_wait_xcnt 0x0
	s_add_nc_u64 s[2:3], s[2:3], 12
	s_cmp_lg_u32 s4, 0
	s_add_nc_u64 s[0:1], s[0:1], 8
	s_wait_kmcnt 0x0
	v_mul_hi_u32 v1, s9, v0
	s_delay_alu instid0(VALU_DEP_1) | instskip(NEXT) | instid1(VALU_DEP_1)
	v_add_nc_u32_e32 v1, v0, v1
	v_lshrrev_b32_e32 v1, s10, v1
	s_delay_alu instid0(VALU_DEP_1) | instskip(NEXT) | instid1(VALU_DEP_1)
	v_mul_lo_u32 v2, v1, s8
	v_sub_nc_u32_e32 v0, v0, v2
	s_delay_alu instid0(VALU_DEP_1)
	v_mad_u32 v45, v0, s7, v45
	v_mad_u32 v44, v0, s6, v44
	v_mov_b32_e32 v0, v1
	s_cbranch_scc1 .LBB11_441
.LBB11_442:
	s_mov_b32 s0, 0
.LBB11_443:
	s_delay_alu instid0(SALU_CYCLE_1)
	s_and_not1_b32 vcc_lo, exec_lo, s0
	s_cbranch_vccnz .LBB11_446
; %bb.444:
	v_mov_b32_e32 v43, 0
	s_and_not1_b32 vcc_lo, exec_lo, s41
	s_delay_alu instid0(VALU_DEP_1) | instskip(NEXT) | instid1(VALU_DEP_1)
	v_mul_u64_e32 v[0:1], s[26:27], v[42:43]
	v_add_nc_u32_e32 v0, v42, v1
	s_delay_alu instid0(VALU_DEP_1) | instskip(NEXT) | instid1(VALU_DEP_1)
	v_lshrrev_b32_e32 v0, s22, v0
	v_mul_lo_u32 v1, v0, s20
	s_delay_alu instid0(VALU_DEP_1) | instskip(NEXT) | instid1(VALU_DEP_1)
	v_sub_nc_u32_e32 v1, v42, v1
	v_mul_lo_u32 v45, v1, s17
	v_mul_lo_u32 v44, v1, s16
	s_cbranch_vccnz .LBB11_446
; %bb.445:
	v_mov_b32_e32 v1, v43
	s_delay_alu instid0(VALU_DEP_1) | instskip(NEXT) | instid1(VALU_DEP_1)
	v_mul_u64_e32 v[2:3], s[34:35], v[0:1]
	v_add_nc_u32_e32 v1, v0, v3
	s_delay_alu instid0(VALU_DEP_1) | instskip(NEXT) | instid1(VALU_DEP_1)
	v_lshrrev_b32_e32 v1, s29, v1
	v_mul_lo_u32 v1, v1, s23
	s_delay_alu instid0(VALU_DEP_1) | instskip(NEXT) | instid1(VALU_DEP_1)
	v_sub_nc_u32_e32 v0, v0, v1
	v_mad_u32 v44, v0, s18, v44
	v_mad_u32 v45, v0, s19, v45
.LBB11_446:
	v_dual_mov_b32 v0, s14 :: v_dual_mov_b32 v1, s15
	s_delay_alu instid0(VALU_DEP_2) | instskip(SKIP_2) | instid1(SALU_CYCLE_1)
	v_dual_mov_b32 v2, v45 :: v_dual_mov_b32 v3, v40
	s_get_pc_i64 s[0:1]
	s_add_nc_u64 s[0:1], s[0:1], _ZN2at6native6invokeIZZZNS0_12_GLOBAL__N_121bessel_y1_kernel_cudaERNS_18TensorIteratorBaseEENKUlvE_clEvENKUlvE_clEvEUldE_j15function_traitsIS7_EEENT1_11result_typeERKT_PrKPcPKT0_PKN3c1010ScalarTypeEi@rel64+4
	s_swap_pc_i64 s[30:31], s[0:1]
	v_mov_b32_e32 v45, 0
	s_and_b32 s1, s21, 0xff
	s_delay_alu instid0(SALU_CYCLE_1) | instskip(NEXT) | instid1(VALU_DEP_1)
	s_cmp_lt_i32 s1, 11
	v_add_nc_u64_e32 v[4:5], s[12:13], v[44:45]
	s_cbranch_scc1 .LBB11_453
; %bb.447:
	s_and_b32 s2, 0xffff, s1
	s_mov_b32 s3, -1
	s_cmp_gt_i32 s2, 25
	s_mov_b32 s0, s49
	s_cbranch_scc0 .LBB11_485
; %bb.448:
	s_cmp_gt_i32 s2, 28
	s_mov_b32 s0, s49
	s_cbranch_scc0 .LBB11_469
; %bb.449:
	s_cmp_gt_i32 s2, 43
	s_mov_b32 s0, s49
	s_cbranch_scc0 .LBB11_465
; %bb.450:
	s_cmp_gt_i32 s2, 45
	s_mov_b32 s0, s49
	s_cbranch_scc0 .LBB11_459
; %bb.451:
	s_cmp_eq_u32 s2, 46
	s_mov_b32 s0, -1
	s_cbranch_scc0 .LBB11_458
; %bb.452:
	v_cvt_f32_f64_e32 v2, v[0:1]
	s_mov_b32 s0, 0
	s_mov_b32 s3, 0
	s_delay_alu instid0(VALU_DEP_1) | instskip(SKIP_1) | instid1(VALU_DEP_2)
	v_bfe_u32 v3, v2, 16, 1
	v_cmp_o_f32_e32 vcc_lo, v2, v2
	v_add3_u32 v3, v2, v3, 0x7fff
	s_delay_alu instid0(VALU_DEP_1) | instskip(NEXT) | instid1(VALU_DEP_1)
	v_lshrrev_b32_e32 v3, 16, v3
	v_cndmask_b32_e32 v2, 0x7fc0, v3, vcc_lo
	global_store_b32 v[4:5], v2, off
	s_branch .LBB11_459
.LBB11_453:
	s_mov_b32 s4, 0
	s_mov_b32 s3, -1
	s_mov_b32 s0, s49
	s_branch .LBB11_526
.LBB11_454:
	s_and_not1_saveexec_b32 s5, s5
	s_cbranch_execz .LBB11_338
.LBB11_455:
	v_add_f32_e64 v3, 0x46000000, |v2|
	s_and_not1_b32 s4, s4, exec_lo
	s_delay_alu instid0(VALU_DEP_1) | instskip(NEXT) | instid1(VALU_DEP_1)
	v_and_b32_e32 v3, 0xff, v3
	v_cmp_ne_u32_e32 vcc_lo, 0, v3
	s_and_b32 s6, vcc_lo, exec_lo
	s_delay_alu instid0(SALU_CYCLE_1)
	s_or_b32 s4, s4, s6
	s_or_b32 exec_lo, exec_lo, s5
	v_mov_b32_e32 v6, 0
	s_and_saveexec_b32 s5, s4
	s_cbranch_execnz .LBB11_339
	s_branch .LBB11_340
.LBB11_456:
	s_and_not1_saveexec_b32 s5, s5
	s_cbranch_execz .LBB11_351
.LBB11_457:
	v_add_f32_e64 v3, 0x42800000, |v2|
	s_and_not1_b32 s4, s4, exec_lo
	s_delay_alu instid0(VALU_DEP_1) | instskip(NEXT) | instid1(VALU_DEP_1)
	v_and_b32_e32 v3, 0xff, v3
	v_cmp_ne_u32_e32 vcc_lo, 0, v3
	s_and_b32 s6, vcc_lo, exec_lo
	s_delay_alu instid0(SALU_CYCLE_1)
	s_or_b32 s4, s4, s6
	s_or_b32 exec_lo, exec_lo, s5
	v_mov_b32_e32 v6, 0
	s_and_saveexec_b32 s5, s4
	s_cbranch_execnz .LBB11_352
	s_branch .LBB11_353
.LBB11_458:
	s_mov_b32 s3, 0
.LBB11_459:
	s_delay_alu instid0(SALU_CYCLE_1)
	s_and_b32 vcc_lo, exec_lo, s3
	s_cbranch_vccz .LBB11_464
; %bb.460:
	s_cmp_eq_u32 s2, 44
	s_mov_b32 s0, -1
	s_cbranch_scc0 .LBB11_464
; %bb.461:
	s_wait_xcnt 0x0
	v_cvt_f32_f64_e32 v2, v[0:1]
	v_mov_b32_e32 v3, 0xff
	s_mov_b32 s3, exec_lo
	s_delay_alu instid0(VALU_DEP_2) | instskip(NEXT) | instid1(VALU_DEP_1)
	v_bfe_u32 v6, v2, 23, 8
	v_cmpx_ne_u32_e32 0xff, v6
	s_cbranch_execz .LBB11_463
; %bb.462:
	v_and_b32_e32 v3, 0x400000, v2
	v_and_or_b32 v6, 0x3fffff, v2, v6
	v_lshrrev_b32_e32 v2, 23, v2
	s_delay_alu instid0(VALU_DEP_3) | instskip(NEXT) | instid1(VALU_DEP_3)
	v_cmp_ne_u32_e32 vcc_lo, 0, v3
	v_cmp_ne_u32_e64 s0, 0, v6
	s_and_b32 s0, vcc_lo, s0
	s_delay_alu instid0(SALU_CYCLE_1) | instskip(NEXT) | instid1(VALU_DEP_1)
	v_cndmask_b32_e64 v3, 0, 1, s0
	v_add_nc_u32_e32 v3, v2, v3
.LBB11_463:
	s_or_b32 exec_lo, exec_lo, s3
	s_mov_b32 s0, 0
	global_store_b8 v[4:5], v3, off
.LBB11_464:
	s_mov_b32 s3, 0
.LBB11_465:
	s_delay_alu instid0(SALU_CYCLE_1)
	s_and_b32 vcc_lo, exec_lo, s3
	s_cbranch_vccz .LBB11_468
; %bb.466:
	s_cmp_eq_u32 s2, 29
	s_mov_b32 s0, -1
	s_cbranch_scc0 .LBB11_468
; %bb.467:
	s_wait_xcnt 0x0
	v_trunc_f64_e32 v[2:3], v[0:1]
	s_mov_b32 s0, 0
	s_mov_b32 s3, 0
	s_delay_alu instid0(VALU_DEP_1) | instskip(NEXT) | instid1(VALU_DEP_1)
	v_ldexp_f64 v[6:7], v[2:3], 0xffffffe0
	v_floor_f64_e32 v[6:7], v[6:7]
	s_delay_alu instid0(VALU_DEP_1) | instskip(SKIP_1) | instid1(VALU_DEP_2)
	v_fmamk_f64 v[2:3], v[6:7], 0xc1f00000, v[2:3]
	v_cvt_u32_f64_e32 v7, v[6:7]
	v_cvt_u32_f64_e32 v6, v[2:3]
	global_store_b64 v[4:5], v[6:7], off
	s_branch .LBB11_469
.LBB11_468:
	s_mov_b32 s3, 0
.LBB11_469:
	s_delay_alu instid0(SALU_CYCLE_1)
	s_and_b32 vcc_lo, exec_lo, s3
	s_cbranch_vccz .LBB11_484
; %bb.470:
	s_cmp_lt_i32 s2, 27
	s_mov_b32 s3, -1
	s_cbranch_scc1 .LBB11_476
; %bb.471:
	s_wait_xcnt 0x0
	v_cvt_u32_f64_e32 v2, v[0:1]
	s_cmp_gt_i32 s2, 27
	s_cbranch_scc0 .LBB11_473
; %bb.472:
	s_mov_b32 s3, 0
	global_store_b32 v[4:5], v2, off
.LBB11_473:
	s_and_not1_b32 vcc_lo, exec_lo, s3
	s_cbranch_vccnz .LBB11_475
; %bb.474:
	global_store_b16 v[4:5], v2, off
.LBB11_475:
	s_mov_b32 s3, 0
.LBB11_476:
	s_delay_alu instid0(SALU_CYCLE_1)
	s_and_not1_b32 vcc_lo, exec_lo, s3
	s_cbranch_vccnz .LBB11_484
; %bb.477:
	s_wait_xcnt 0x0
	v_cvt_f32_f64_e32 v2, v[0:1]
	v_mov_b32_e32 v6, 0x80
	s_mov_b32 s3, exec_lo
	s_delay_alu instid0(VALU_DEP_2) | instskip(NEXT) | instid1(VALU_DEP_1)
	v_and_b32_e32 v3, 0x7fffffff, v2
	v_cmpx_gt_u32_e32 0x43800000, v3
	s_cbranch_execz .LBB11_483
; %bb.478:
	v_cmp_lt_u32_e32 vcc_lo, 0x3bffffff, v3
	s_mov_b32 s4, 0
                                        ; implicit-def: $vgpr3
	s_and_saveexec_b32 s5, vcc_lo
	s_delay_alu instid0(SALU_CYCLE_1)
	s_xor_b32 s5, exec_lo, s5
	s_cbranch_execz .LBB11_1122
; %bb.479:
	v_bfe_u32 v3, v2, 20, 1
	s_mov_b32 s4, exec_lo
	s_delay_alu instid0(VALU_DEP_1) | instskip(NEXT) | instid1(VALU_DEP_1)
	v_add3_u32 v3, v2, v3, 0x487ffff
	v_lshrrev_b32_e32 v3, 20, v3
	s_and_not1_saveexec_b32 s5, s5
	s_cbranch_execnz .LBB11_1123
.LBB11_480:
	s_or_b32 exec_lo, exec_lo, s5
	v_mov_b32_e32 v6, 0
	s_and_saveexec_b32 s5, s4
.LBB11_481:
	v_lshrrev_b32_e32 v2, 24, v2
	s_delay_alu instid0(VALU_DEP_1)
	v_and_or_b32 v6, 0x80, v2, v3
.LBB11_482:
	s_or_b32 exec_lo, exec_lo, s5
.LBB11_483:
	s_delay_alu instid0(SALU_CYCLE_1)
	s_or_b32 exec_lo, exec_lo, s3
	global_store_b8 v[4:5], v6, off
.LBB11_484:
	s_mov_b32 s3, 0
.LBB11_485:
	s_delay_alu instid0(SALU_CYCLE_1)
	s_and_b32 vcc_lo, exec_lo, s3
	s_mov_b32 s3, 0
	s_cbranch_vccz .LBB11_525
; %bb.486:
	s_cmp_gt_i32 s2, 22
	s_mov_b32 s4, -1
	s_cbranch_scc0 .LBB11_518
; %bb.487:
	s_cmp_lt_i32 s2, 24
	s_cbranch_scc1 .LBB11_507
; %bb.488:
	s_cmp_gt_i32 s2, 24
	s_cbranch_scc0 .LBB11_496
; %bb.489:
	s_wait_xcnt 0x0
	v_cvt_f32_f64_e32 v2, v[0:1]
	v_mov_b32_e32 v6, 0x80
	s_mov_b32 s4, exec_lo
	s_delay_alu instid0(VALU_DEP_2) | instskip(NEXT) | instid1(VALU_DEP_1)
	v_and_b32_e32 v3, 0x7fffffff, v2
	v_cmpx_gt_u32_e32 0x47800000, v3
	s_cbranch_execz .LBB11_495
; %bb.490:
	v_cmp_lt_u32_e32 vcc_lo, 0x37ffffff, v3
	s_mov_b32 s5, 0
                                        ; implicit-def: $vgpr3
	s_and_saveexec_b32 s6, vcc_lo
	s_delay_alu instid0(SALU_CYCLE_1)
	s_xor_b32 s6, exec_lo, s6
	s_cbranch_execz .LBB11_1126
; %bb.491:
	v_bfe_u32 v3, v2, 21, 1
	s_mov_b32 s5, exec_lo
	s_delay_alu instid0(VALU_DEP_1) | instskip(NEXT) | instid1(VALU_DEP_1)
	v_add3_u32 v3, v2, v3, 0x88fffff
	v_lshrrev_b32_e32 v3, 21, v3
	s_and_not1_saveexec_b32 s6, s6
	s_cbranch_execnz .LBB11_1127
.LBB11_492:
	s_or_b32 exec_lo, exec_lo, s6
	v_mov_b32_e32 v6, 0
	s_and_saveexec_b32 s6, s5
.LBB11_493:
	v_lshrrev_b32_e32 v2, 24, v2
	s_delay_alu instid0(VALU_DEP_1)
	v_and_or_b32 v6, 0x80, v2, v3
.LBB11_494:
	s_or_b32 exec_lo, exec_lo, s6
.LBB11_495:
	s_delay_alu instid0(SALU_CYCLE_1)
	s_or_b32 exec_lo, exec_lo, s4
	s_mov_b32 s4, 0
	global_store_b8 v[4:5], v6, off
.LBB11_496:
	s_and_b32 vcc_lo, exec_lo, s4
	s_cbranch_vccz .LBB11_506
; %bb.497:
	s_wait_xcnt 0x0
	v_cvt_f32_f64_e32 v2, v[0:1]
	s_mov_b32 s4, exec_lo
                                        ; implicit-def: $vgpr3
	s_delay_alu instid0(VALU_DEP_1) | instskip(NEXT) | instid1(VALU_DEP_1)
	v_and_b32_e32 v6, 0x7fffffff, v2
	v_cmpx_gt_u32_e32 0x43f00000, v6
	s_xor_b32 s4, exec_lo, s4
	s_cbranch_execz .LBB11_503
; %bb.498:
	s_mov_b32 s5, exec_lo
                                        ; implicit-def: $vgpr3
	v_cmpx_lt_u32_e32 0x3c7fffff, v6
	s_xor_b32 s5, exec_lo, s5
; %bb.499:
	v_bfe_u32 v3, v2, 20, 1
	s_delay_alu instid0(VALU_DEP_1) | instskip(NEXT) | instid1(VALU_DEP_1)
	v_add3_u32 v3, v2, v3, 0x407ffff
	v_and_b32_e32 v6, 0xff00000, v3
	v_lshrrev_b32_e32 v3, 20, v3
	s_delay_alu instid0(VALU_DEP_2) | instskip(NEXT) | instid1(VALU_DEP_2)
	v_cmp_ne_u32_e32 vcc_lo, 0x7f00000, v6
	v_cndmask_b32_e32 v3, 0x7e, v3, vcc_lo
; %bb.500:
	s_and_not1_saveexec_b32 s5, s5
; %bb.501:
	v_add_f32_e64 v3, 0x46800000, |v2|
; %bb.502:
	s_or_b32 exec_lo, exec_lo, s5
                                        ; implicit-def: $vgpr6
.LBB11_503:
	s_and_not1_saveexec_b32 s4, s4
; %bb.504:
	v_mov_b32_e32 v3, 0x7f
	v_cmp_lt_u32_e32 vcc_lo, 0x7f800000, v6
	s_delay_alu instid0(VALU_DEP_2)
	v_cndmask_b32_e32 v3, 0x7e, v3, vcc_lo
; %bb.505:
	s_or_b32 exec_lo, exec_lo, s4
	v_lshrrev_b32_e32 v2, 24, v2
	s_delay_alu instid0(VALU_DEP_1)
	v_and_or_b32 v2, 0x80, v2, v3
	global_store_b8 v[4:5], v2, off
.LBB11_506:
	s_mov_b32 s4, 0
.LBB11_507:
	s_delay_alu instid0(SALU_CYCLE_1)
	s_and_not1_b32 vcc_lo, exec_lo, s4
	s_cbranch_vccnz .LBB11_517
; %bb.508:
	s_wait_xcnt 0x0
	v_cvt_f32_f64_e32 v2, v[0:1]
	s_mov_b32 s4, exec_lo
                                        ; implicit-def: $vgpr3
	s_delay_alu instid0(VALU_DEP_1) | instskip(NEXT) | instid1(VALU_DEP_1)
	v_and_b32_e32 v6, 0x7fffffff, v2
	v_cmpx_gt_u32_e32 0x47800000, v6
	s_xor_b32 s4, exec_lo, s4
	s_cbranch_execz .LBB11_514
; %bb.509:
	s_mov_b32 s5, exec_lo
                                        ; implicit-def: $vgpr3
	v_cmpx_lt_u32_e32 0x387fffff, v6
	s_xor_b32 s5, exec_lo, s5
; %bb.510:
	v_bfe_u32 v3, v2, 21, 1
	s_delay_alu instid0(VALU_DEP_1) | instskip(NEXT) | instid1(VALU_DEP_1)
	v_add3_u32 v3, v2, v3, 0x80fffff
	v_lshrrev_b32_e32 v3, 21, v3
; %bb.511:
	s_and_not1_saveexec_b32 s5, s5
; %bb.512:
	v_add_f32_e64 v3, 0x43000000, |v2|
; %bb.513:
	s_or_b32 exec_lo, exec_lo, s5
                                        ; implicit-def: $vgpr6
.LBB11_514:
	s_and_not1_saveexec_b32 s4, s4
; %bb.515:
	v_mov_b32_e32 v3, 0x7f
	v_cmp_lt_u32_e32 vcc_lo, 0x7f800000, v6
	s_delay_alu instid0(VALU_DEP_2)
	v_cndmask_b32_e32 v3, 0x7c, v3, vcc_lo
; %bb.516:
	s_or_b32 exec_lo, exec_lo, s4
	v_lshrrev_b32_e32 v2, 24, v2
	s_delay_alu instid0(VALU_DEP_1)
	v_and_or_b32 v2, 0x80, v2, v3
	global_store_b8 v[4:5], v2, off
.LBB11_517:
	s_mov_b32 s4, 0
.LBB11_518:
	s_delay_alu instid0(SALU_CYCLE_1)
	s_and_not1_b32 vcc_lo, exec_lo, s4
	s_mov_b32 s4, 0
	s_cbranch_vccnz .LBB11_526
; %bb.519:
	s_cmp_gt_i32 s2, 14
	s_mov_b32 s4, -1
	s_cbranch_scc0 .LBB11_523
; %bb.520:
	s_cmp_eq_u32 s2, 15
	s_mov_b32 s0, -1
	s_cbranch_scc0 .LBB11_522
; %bb.521:
	s_wait_xcnt 0x0
	v_cvt_f32_f64_e32 v2, v[0:1]
	s_mov_b32 s0, 0
	s_delay_alu instid0(VALU_DEP_1) | instskip(SKIP_1) | instid1(VALU_DEP_2)
	v_bfe_u32 v3, v2, 16, 1
	v_cmp_o_f32_e32 vcc_lo, v2, v2
	v_add3_u32 v3, v2, v3, 0x7fff
	s_delay_alu instid0(VALU_DEP_1) | instskip(NEXT) | instid1(VALU_DEP_1)
	v_lshrrev_b32_e32 v3, 16, v3
	v_cndmask_b32_e32 v2, 0x7fc0, v3, vcc_lo
	global_store_b16 v[4:5], v2, off
.LBB11_522:
	s_mov_b32 s4, 0
.LBB11_523:
	s_delay_alu instid0(SALU_CYCLE_1)
	s_and_b32 vcc_lo, exec_lo, s4
	s_mov_b32 s4, 0
	s_cbranch_vccz .LBB11_526
; %bb.524:
	s_cmp_lg_u32 s2, 11
	s_mov_b32 s4, -1
	s_cselect_b32 s2, -1, 0
	s_and_not1_b32 s0, s0, exec_lo
	s_and_b32 s2, s2, exec_lo
	s_delay_alu instid0(SALU_CYCLE_1)
	s_or_b32 s0, s0, s2
	s_branch .LBB11_526
.LBB11_525:
	s_mov_b32 s4, 0
.LBB11_526:
	s_and_b32 s2, s3, exec_lo
	s_and_not1_b32 s3, s49, exec_lo
	s_and_b32 s5, s0, exec_lo
	s_and_b32 s0, s4, exec_lo
	s_or_b32 s3, s3, s5
.LBB11_527:
	s_wait_xcnt 0x0
	s_or_b32 exec_lo, exec_lo, s42
	s_delay_alu instid0(SALU_CYCLE_1)
	s_and_not1_b32 s4, s49, exec_lo
	s_and_b32 s3, s3, exec_lo
	s_and_b32 s2, s2, exec_lo
	;; [unrolled: 1-line block ×3, first 2 shown]
	s_or_b32 s49, s4, s3
.LBB11_528:
	s_or_b32 exec_lo, exec_lo, s48
	s_delay_alu instid0(SALU_CYCLE_1)
	s_and_not1_b32 s3, s46, exec_lo
	s_and_b32 s4, s49, exec_lo
	s_and_b32 s2, s2, exec_lo
	;; [unrolled: 1-line block ×3, first 2 shown]
	s_or_b32 s46, s3, s4
.LBB11_529:
	s_or_b32 exec_lo, exec_lo, s47
	s_delay_alu instid0(SALU_CYCLE_1)
	s_and_b32 s3, s2, exec_lo
	s_and_not1_b32 s2, s28, exec_lo
	s_and_b32 s4, s46, exec_lo
	s_and_b32 s27, s0, exec_lo
	s_or_b32 s28, s2, s4
	s_or_b32 exec_lo, exec_lo, s45
	s_mov_b32 s0, 0
	s_and_saveexec_b32 s2, s28
	s_cbranch_execz .LBB11_146
.LBB11_530:
	s_mov_b32 s0, exec_lo
	s_and_not1_b32 s27, s27, exec_lo
	s_trap 2
	s_or_b32 exec_lo, exec_lo, s2
	s_and_saveexec_b32 s2, s27
	s_delay_alu instid0(SALU_CYCLE_1)
	s_xor_b32 s2, exec_lo, s2
	s_cbranch_execnz .LBB11_147
.LBB11_531:
	s_or_b32 exec_lo, exec_lo, s2
	s_and_saveexec_b32 s2, s3
	s_delay_alu instid0(SALU_CYCLE_1)
	s_xor_b32 s2, exec_lo, s2
	s_cbranch_execz .LBB11_569
.LBB11_532:
	s_sext_i32_i16 s4, s1
	s_mov_b32 s3, -1
	s_cmp_lt_i32 s4, 5
	s_cbranch_scc1 .LBB11_553
; %bb.533:
	s_cmp_lt_i32 s4, 8
	s_cbranch_scc1 .LBB11_543
; %bb.534:
	;; [unrolled: 3-line block ×3, first 2 shown]
	s_cmp_gt_i32 s4, 9
	s_cbranch_scc0 .LBB11_537
; %bb.536:
	v_mov_b32_e32 v2, 0
	s_mov_b32 s3, 0
	s_delay_alu instid0(VALU_DEP_1)
	v_mov_b32_e32 v3, v2
	global_store_b128 v[4:5], v[0:3], off
.LBB11_537:
	s_and_not1_b32 vcc_lo, exec_lo, s3
	s_cbranch_vccnz .LBB11_539
; %bb.538:
	s_wait_xcnt 0x0
	v_cvt_f32_f64_e32 v2, v[0:1]
	v_mov_b32_e32 v3, 0
	global_store_b64 v[4:5], v[2:3], off
.LBB11_539:
	s_mov_b32 s3, 0
.LBB11_540:
	s_delay_alu instid0(SALU_CYCLE_1)
	s_and_not1_b32 vcc_lo, exec_lo, s3
	s_cbranch_vccnz .LBB11_542
; %bb.541:
	s_wait_xcnt 0x0
	v_and_or_b32 v2, 0x1ff, v1, v0
	v_lshrrev_b32_e32 v3, 8, v1
	v_bfe_u32 v6, v1, 20, 11
	s_delay_alu instid0(VALU_DEP_3) | instskip(NEXT) | instid1(VALU_DEP_2)
	v_cmp_ne_u32_e32 vcc_lo, 0, v2
	v_sub_nc_u32_e32 v7, 0x3f1, v6
	v_cndmask_b32_e64 v2, 0, 1, vcc_lo
	s_delay_alu instid0(VALU_DEP_1) | instskip(NEXT) | instid1(VALU_DEP_3)
	v_and_or_b32 v2, 0xffe, v3, v2
	v_med3_i32 v3, v7, 0, 13
	s_delay_alu instid0(VALU_DEP_2) | instskip(NEXT) | instid1(VALU_DEP_1)
	v_or_b32_e32 v7, 0x1000, v2
	v_lshrrev_b32_e32 v8, v3, v7
	s_delay_alu instid0(VALU_DEP_1) | instskip(NEXT) | instid1(VALU_DEP_1)
	v_lshlrev_b32_e32 v3, v3, v8
	v_cmp_ne_u32_e32 vcc_lo, v3, v7
	v_cndmask_b32_e64 v3, 0, 1, vcc_lo
	s_delay_alu instid0(VALU_DEP_1) | instskip(SKIP_1) | instid1(VALU_DEP_1)
	v_or_b32_e32 v3, v8, v3
	v_add_nc_u32_e32 v6, 0xfffffc10, v6
	v_lshl_or_b32 v7, v6, 12, v2
	v_cmp_gt_i32_e32 vcc_lo, 1, v6
	s_delay_alu instid0(VALU_DEP_2) | instskip(NEXT) | instid1(VALU_DEP_1)
	v_cndmask_b32_e32 v3, v7, v3, vcc_lo
	v_dual_lshrrev_b32 v3, 2, v3 :: v_dual_bitop2_b32 v7, 7, v3 bitop3:0x40
	s_delay_alu instid0(VALU_DEP_1) | instskip(SKIP_4) | instid1(VALU_DEP_2)
	v_cmp_lt_i32_e32 vcc_lo, 5, v7
	v_cndmask_b32_e64 v8, 0, 1, vcc_lo
	v_cmp_eq_u32_e32 vcc_lo, 3, v7
	v_cndmask_b32_e64 v7, 0, 1, vcc_lo
	v_cmp_ne_u32_e32 vcc_lo, 0, v2
	v_or_b32_e32 v7, v7, v8
	s_delay_alu instid0(VALU_DEP_1) | instskip(NEXT) | instid1(VALU_DEP_1)
	v_dual_mov_b32 v8, 0x7e00 :: v_dual_add_nc_u32 v3, v3, v7
	v_cndmask_b32_e32 v2, 0x7c00, v8, vcc_lo
	v_cmp_gt_i32_e32 vcc_lo, 31, v6
	v_lshrrev_b32_e32 v7, 16, v1
	s_delay_alu instid0(VALU_DEP_4) | instskip(SKIP_1) | instid1(VALU_DEP_2)
	v_cndmask_b32_e32 v3, 0x7c00, v3, vcc_lo
	v_cmp_eq_u32_e32 vcc_lo, 0x40f, v6
	v_cndmask_b32_e32 v2, v3, v2, vcc_lo
	s_delay_alu instid0(VALU_DEP_4) | instskip(NEXT) | instid1(VALU_DEP_1)
	v_and_b32_e32 v3, 0x8000, v7
	v_bitop3_b32 v2, v3, 0xffff, v2 bitop3:0xc8
	global_store_b32 v[4:5], v2, off
.LBB11_542:
	s_mov_b32 s3, 0
.LBB11_543:
	s_delay_alu instid0(SALU_CYCLE_1)
	s_and_not1_b32 vcc_lo, exec_lo, s3
	s_cbranch_vccnz .LBB11_552
; %bb.544:
	s_sext_i32_i16 s4, s1
	s_mov_b32 s3, -1
	s_cmp_lt_i32 s4, 6
	s_cbranch_scc1 .LBB11_550
; %bb.545:
	s_cmp_gt_i32 s4, 6
	s_cbranch_scc0 .LBB11_547
; %bb.546:
	s_mov_b32 s3, 0
	global_store_b64 v[4:5], v[0:1], off
.LBB11_547:
	s_and_not1_b32 vcc_lo, exec_lo, s3
	s_cbranch_vccnz .LBB11_549
; %bb.548:
	s_wait_xcnt 0x0
	v_cvt_f32_f64_e32 v2, v[0:1]
	global_store_b32 v[4:5], v2, off
.LBB11_549:
	s_mov_b32 s3, 0
.LBB11_550:
	s_delay_alu instid0(SALU_CYCLE_1)
	s_and_not1_b32 vcc_lo, exec_lo, s3
	s_cbranch_vccnz .LBB11_552
; %bb.551:
	s_wait_xcnt 0x0
	v_and_or_b32 v2, 0x1ff, v1, v0
	v_lshrrev_b32_e32 v3, 8, v1
	v_bfe_u32 v6, v1, 20, 11
	s_delay_alu instid0(VALU_DEP_3) | instskip(NEXT) | instid1(VALU_DEP_2)
	v_cmp_ne_u32_e32 vcc_lo, 0, v2
	v_sub_nc_u32_e32 v7, 0x3f1, v6
	v_cndmask_b32_e64 v2, 0, 1, vcc_lo
	s_delay_alu instid0(VALU_DEP_1) | instskip(NEXT) | instid1(VALU_DEP_3)
	v_and_or_b32 v2, 0xffe, v3, v2
	v_med3_i32 v3, v7, 0, 13
	s_delay_alu instid0(VALU_DEP_2) | instskip(NEXT) | instid1(VALU_DEP_1)
	v_or_b32_e32 v7, 0x1000, v2
	v_lshrrev_b32_e32 v8, v3, v7
	s_delay_alu instid0(VALU_DEP_1) | instskip(NEXT) | instid1(VALU_DEP_1)
	v_lshlrev_b32_e32 v3, v3, v8
	v_cmp_ne_u32_e32 vcc_lo, v3, v7
	v_cndmask_b32_e64 v3, 0, 1, vcc_lo
	s_delay_alu instid0(VALU_DEP_1) | instskip(SKIP_1) | instid1(VALU_DEP_1)
	v_or_b32_e32 v3, v8, v3
	v_add_nc_u32_e32 v6, 0xfffffc10, v6
	v_lshl_or_b32 v7, v6, 12, v2
	v_cmp_gt_i32_e32 vcc_lo, 1, v6
	s_delay_alu instid0(VALU_DEP_2) | instskip(NEXT) | instid1(VALU_DEP_1)
	v_cndmask_b32_e32 v3, v7, v3, vcc_lo
	v_dual_lshrrev_b32 v3, 2, v3 :: v_dual_bitop2_b32 v7, 7, v3 bitop3:0x40
	s_delay_alu instid0(VALU_DEP_1) | instskip(SKIP_4) | instid1(VALU_DEP_2)
	v_cmp_lt_i32_e32 vcc_lo, 5, v7
	v_cndmask_b32_e64 v8, 0, 1, vcc_lo
	v_cmp_eq_u32_e32 vcc_lo, 3, v7
	v_cndmask_b32_e64 v7, 0, 1, vcc_lo
	v_cmp_ne_u32_e32 vcc_lo, 0, v2
	v_or_b32_e32 v7, v7, v8
	s_delay_alu instid0(VALU_DEP_1) | instskip(NEXT) | instid1(VALU_DEP_1)
	v_dual_mov_b32 v8, 0x7e00 :: v_dual_add_nc_u32 v3, v3, v7
	v_cndmask_b32_e32 v2, 0x7c00, v8, vcc_lo
	v_cmp_gt_i32_e32 vcc_lo, 31, v6
	s_delay_alu instid0(VALU_DEP_3) | instskip(SKIP_1) | instid1(VALU_DEP_2)
	v_cndmask_b32_e32 v3, 0x7c00, v3, vcc_lo
	v_cmp_eq_u32_e32 vcc_lo, 0x40f, v6
	v_dual_cndmask_b32 v2, v3, v2 :: v_dual_lshrrev_b32 v3, 16, v1
	s_delay_alu instid0(VALU_DEP_1)
	v_and_or_b32 v2, 0x8000, v3, v2
	global_store_b16 v[4:5], v2, off
.LBB11_552:
	s_mov_b32 s3, 0
.LBB11_553:
	s_delay_alu instid0(SALU_CYCLE_1)
	s_and_not1_b32 vcc_lo, exec_lo, s3
	s_cbranch_vccnz .LBB11_569
; %bb.554:
	s_sext_i32_i16 s4, s1
	s_mov_b32 s3, -1
	s_cmp_lt_i32 s4, 2
	s_cbranch_scc1 .LBB11_564
; %bb.555:
	s_cmp_lt_i32 s4, 3
	s_cbranch_scc1 .LBB11_561
; %bb.556:
	s_cmp_gt_i32 s4, 3
	s_cbranch_scc0 .LBB11_558
; %bb.557:
	s_wait_xcnt 0x0
	v_trunc_f64_e32 v[2:3], v[0:1]
	s_mov_b32 s3, 0
	s_delay_alu instid0(VALU_DEP_1) | instskip(NEXT) | instid1(VALU_DEP_1)
	v_ldexp_f64 v[6:7], v[2:3], 0xffffffe0
	v_floor_f64_e32 v[6:7], v[6:7]
	s_delay_alu instid0(VALU_DEP_1) | instskip(SKIP_1) | instid1(VALU_DEP_2)
	v_fmamk_f64 v[2:3], v[6:7], 0xc1f00000, v[2:3]
	v_cvt_i32_f64_e32 v7, v[6:7]
	v_cvt_u32_f64_e32 v6, v[2:3]
	global_store_b64 v[4:5], v[6:7], off
.LBB11_558:
	s_and_not1_b32 vcc_lo, exec_lo, s3
	s_cbranch_vccnz .LBB11_560
; %bb.559:
	s_wait_xcnt 0x0
	v_cvt_i32_f64_e32 v2, v[0:1]
	global_store_b32 v[4:5], v2, off
.LBB11_560:
	s_mov_b32 s3, 0
.LBB11_561:
	s_delay_alu instid0(SALU_CYCLE_1)
	s_and_not1_b32 vcc_lo, exec_lo, s3
	s_cbranch_vccnz .LBB11_563
; %bb.562:
	s_wait_xcnt 0x0
	v_cvt_i32_f64_e32 v2, v[0:1]
	global_store_b16 v[4:5], v2, off
.LBB11_563:
	s_mov_b32 s3, 0
.LBB11_564:
	s_delay_alu instid0(SALU_CYCLE_1)
	s_and_not1_b32 vcc_lo, exec_lo, s3
	s_cbranch_vccnz .LBB11_569
; %bb.565:
	s_sext_i32_i16 s1, s1
	s_delay_alu instid0(SALU_CYCLE_1)
	s_cmp_gt_i32 s1, 0
	s_mov_b32 s1, -1
	s_cbranch_scc0 .LBB11_567
; %bb.566:
	s_wait_xcnt 0x0
	v_cvt_i32_f64_e32 v2, v[0:1]
	s_mov_b32 s1, 0
	global_store_b8 v[4:5], v2, off
.LBB11_567:
	s_and_not1_b32 vcc_lo, exec_lo, s1
	s_cbranch_vccnz .LBB11_569
; %bb.568:
	s_wait_xcnt 0x0
	v_trunc_f64_e32 v[0:1], v[0:1]
	s_delay_alu instid0(VALU_DEP_1) | instskip(NEXT) | instid1(VALU_DEP_1)
	v_ldexp_f64 v[2:3], v[0:1], 0xffffffe0
	v_floor_f64_e32 v[2:3], v[2:3]
	s_delay_alu instid0(VALU_DEP_1) | instskip(NEXT) | instid1(VALU_DEP_1)
	v_fmamk_f64 v[0:1], v[2:3], 0xc1f00000, v[0:1]
	v_cvt_u32_f64_e32 v0, v[0:1]
	global_store_b8 v[4:5], v0, off
.LBB11_569:
	s_wait_xcnt 0x0
	s_or_b32 exec_lo, exec_lo, s2
	s_delay_alu instid0(SALU_CYCLE_1)
	s_and_b32 s16, s0, exec_lo
                                        ; implicit-def: $vgpr3
                                        ; implicit-def: $vgpr42
.LBB11_570:
	s_or_saveexec_b32 s17, s40
	s_mov_b32 s0, 0
                                        ; implicit-def: $sgpr1
                                        ; implicit-def: $vgpr4_vgpr5
                                        ; implicit-def: $vgpr0_vgpr1
	s_xor_b32 exec_lo, exec_lo, s17
	s_cbranch_execz .LBB11_1060
; %bb.571:
	v_cndmask_b32_e64 v0, 0, 1, s39
	s_and_not1_b32 vcc_lo, exec_lo, s39
	s_cbranch_vccnz .LBB11_577
; %bb.572:
	s_cmp_lg_u32 s11, 0
	s_mov_b32 s6, 0
	s_cbranch_scc0 .LBB11_578
; %bb.573:
	s_min_u32 s1, s33, 15
	s_delay_alu instid0(SALU_CYCLE_1)
	s_add_co_i32 s1, s1, 1
	s_cmp_eq_u32 s33, 2
	s_cbranch_scc1 .LBB11_579
; %bb.574:
	v_dual_mov_b32 v62, 0 :: v_dual_mov_b32 v2, 0
	v_mov_b32_e32 v1, v42
	s_and_b32 s0, s1, 28
	s_add_nc_u64 s[2:3], s[24:25], 0xc4
	s_mov_b32 s7, 0
	s_mov_b64 s[4:5], s[24:25]
.LBB11_575:                             ; =>This Inner Loop Header: Depth=1
	s_clause 0x1
	s_load_b256 s[36:43], s[4:5], 0x4
	s_load_b128 s[12:15], s[4:5], 0x24
	s_load_b256 s[44:51], s[2:3], 0x0
	s_add_co_i32 s7, s7, 4
	s_wait_xcnt 0x0
	s_add_nc_u64 s[4:5], s[4:5], 48
	s_cmp_lg_u32 s0, s7
	s_add_nc_u64 s[2:3], s[2:3], 32
	s_wait_kmcnt 0x0
	v_mul_hi_u32 v4, s37, v1
	s_delay_alu instid0(VALU_DEP_1) | instskip(NEXT) | instid1(VALU_DEP_1)
	v_add_nc_u32_e32 v4, v1, v4
	v_lshrrev_b32_e32 v4, s38, v4
	s_delay_alu instid0(VALU_DEP_1) | instskip(NEXT) | instid1(VALU_DEP_1)
	v_mul_hi_u32 v5, s40, v4
	v_add_nc_u32_e32 v5, v4, v5
	s_delay_alu instid0(VALU_DEP_1) | instskip(NEXT) | instid1(VALU_DEP_1)
	v_lshrrev_b32_e32 v5, s41, v5
	v_mul_hi_u32 v6, s43, v5
	s_delay_alu instid0(VALU_DEP_1) | instskip(SKIP_1) | instid1(VALU_DEP_1)
	v_add_nc_u32_e32 v6, v5, v6
	v_mul_lo_u32 v7, v4, s36
	v_sub_nc_u32_e32 v1, v1, v7
	v_mul_lo_u32 v7, v5, s39
	s_delay_alu instid0(VALU_DEP_4) | instskip(NEXT) | instid1(VALU_DEP_3)
	v_lshrrev_b32_e32 v6, s12, v6
	v_mad_u32 v2, v1, s45, v2
	v_mad_u32 v1, v1, s44, v62
	s_delay_alu instid0(VALU_DEP_4) | instskip(NEXT) | instid1(VALU_DEP_4)
	v_sub_nc_u32_e32 v4, v4, v7
	v_mul_hi_u32 v8, s14, v6
	v_mul_lo_u32 v7, v6, s42
	s_delay_alu instid0(VALU_DEP_3) | instskip(SKIP_1) | instid1(VALU_DEP_3)
	v_mad_u32 v2, v4, s47, v2
	v_mad_u32 v4, v4, s46, v1
	v_dual_add_nc_u32 v8, v6, v8 :: v_dual_sub_nc_u32 v5, v5, v7
	s_delay_alu instid0(VALU_DEP_1) | instskip(NEXT) | instid1(VALU_DEP_2)
	v_lshrrev_b32_e32 v1, s15, v8
	v_mad_u32 v2, v5, s49, v2
	s_delay_alu instid0(VALU_DEP_4) | instskip(NEXT) | instid1(VALU_DEP_3)
	v_mad_u32 v4, v5, s48, v4
	v_mul_lo_u32 v7, v1, s13
	s_delay_alu instid0(VALU_DEP_1) | instskip(NEXT) | instid1(VALU_DEP_1)
	v_sub_nc_u32_e32 v5, v6, v7
	v_mad_u32 v2, v5, s51, v2
	s_delay_alu instid0(VALU_DEP_4)
	v_mad_u32 v62, v5, s50, v4
	s_cbranch_scc1 .LBB11_575
; %bb.576:
	s_delay_alu instid0(VALU_DEP_2)
	v_mov_b32_e32 v63, v2
	s_and_b32 s4, s1, 3
	s_mov_b32 s1, 0
	s_cmp_eq_u32 s4, 0
	s_cbranch_scc0 .LBB11_580
	s_branch .LBB11_583
.LBB11_577:
	s_mov_b32 s6, -1
                                        ; implicit-def: $vgpr2
                                        ; implicit-def: $vgpr62
	s_branch .LBB11_583
.LBB11_578:
	v_dual_mov_b32 v2, 0 :: v_dual_mov_b32 v62, 0
	s_branch .LBB11_583
.LBB11_579:
	v_mov_b64_e32 v[62:63], 0
	v_mov_b32_e32 v1, v42
                                        ; implicit-def: $vgpr2
	s_and_b32 s4, s1, 3
	s_mov_b32 s1, 0
	s_cmp_eq_u32 s4, 0
	s_cbranch_scc1 .LBB11_583
.LBB11_580:
	s_lshl_b32 s2, s0, 3
	s_mov_b32 s3, s1
	s_mul_u64 s[8:9], s[0:1], 12
	s_add_nc_u64 s[2:3], s[24:25], s[2:3]
	s_delay_alu instid0(SALU_CYCLE_1)
	s_add_nc_u64 s[0:1], s[2:3], 0xc4
	s_add_nc_u64 s[2:3], s[24:25], s[8:9]
.LBB11_581:                             ; =>This Inner Loop Header: Depth=1
	s_load_b96 s[8:10], s[2:3], 0x4
	s_load_b64 s[12:13], s[0:1], 0x0
	s_add_co_i32 s4, s4, -1
	s_wait_xcnt 0x0
	s_add_nc_u64 s[2:3], s[2:3], 12
	s_cmp_lg_u32 s4, 0
	s_add_nc_u64 s[0:1], s[0:1], 8
	s_wait_kmcnt 0x0
	v_mul_hi_u32 v2, s9, v1
	s_delay_alu instid0(VALU_DEP_1) | instskip(NEXT) | instid1(VALU_DEP_1)
	v_add_nc_u32_e32 v2, v1, v2
	v_lshrrev_b32_e32 v2, s10, v2
	s_delay_alu instid0(VALU_DEP_1) | instskip(NEXT) | instid1(VALU_DEP_1)
	v_mul_lo_u32 v4, v2, s8
	v_sub_nc_u32_e32 v1, v1, v4
	s_delay_alu instid0(VALU_DEP_1)
	v_mad_u32 v63, v1, s13, v63
	v_mad_u32 v62, v1, s12, v62
	v_mov_b32_e32 v1, v2
	s_cbranch_scc1 .LBB11_581
; %bb.582:
	s_delay_alu instid0(VALU_DEP_3)
	v_mov_b32_e32 v2, v63
.LBB11_583:
	s_and_not1_b32 vcc_lo, exec_lo, s6
	s_cbranch_vccnz .LBB11_586
; %bb.584:
	s_clause 0x1
	s_load_b96 s[0:2], s[24:25], 0x4
	s_load_b64 s[4:5], s[24:25], 0xc4
	s_cmp_lt_u32 s11, 2
	s_wait_kmcnt 0x0
	v_mul_hi_u32 v1, s1, v42
	s_delay_alu instid0(VALU_DEP_1) | instskip(NEXT) | instid1(VALU_DEP_1)
	v_add_nc_u32_e32 v1, v42, v1
	v_lshrrev_b32_e32 v1, s2, v1
	s_delay_alu instid0(VALU_DEP_1) | instskip(NEXT) | instid1(VALU_DEP_1)
	v_mul_lo_u32 v2, v1, s0
	v_sub_nc_u32_e32 v4, v42, v2
	s_delay_alu instid0(VALU_DEP_1)
	v_mul_lo_u32 v2, v4, s5
	v_mul_lo_u32 v62, v4, s4
	s_cbranch_scc1 .LBB11_586
; %bb.585:
	s_clause 0x1
	s_load_b96 s[0:2], s[24:25], 0x10
	s_load_b64 s[4:5], s[24:25], 0xcc
	s_wait_kmcnt 0x0
	v_mul_hi_u32 v4, s1, v1
	s_delay_alu instid0(VALU_DEP_1) | instskip(NEXT) | instid1(VALU_DEP_1)
	v_add_nc_u32_e32 v4, v1, v4
	v_lshrrev_b32_e32 v4, s2, v4
	s_delay_alu instid0(VALU_DEP_1) | instskip(NEXT) | instid1(VALU_DEP_1)
	v_mul_lo_u32 v4, v4, s0
	v_sub_nc_u32_e32 v1, v1, v4
	s_delay_alu instid0(VALU_DEP_1)
	v_mad_u32 v62, v1, s4, v62
	v_mad_u32 v2, v1, s5, v2
.LBB11_586:
	v_cmp_ne_u32_e32 vcc_lo, 1, v0
	v_add_nc_u32_e32 v1, 0x80, v42
	s_cbranch_vccnz .LBB11_592
; %bb.587:
	s_cmp_lg_u32 s11, 0
	s_mov_b32 s6, 0
	s_cbranch_scc0 .LBB11_593
; %bb.588:
	s_min_u32 s1, s33, 15
	s_delay_alu instid0(SALU_CYCLE_1)
	s_add_co_i32 s1, s1, 1
	s_cmp_eq_u32 s33, 2
	s_cbranch_scc1 .LBB11_594
; %bb.589:
	v_dual_mov_b32 v60, 0 :: v_dual_mov_b32 v61, 0
	v_mov_b32_e32 v4, v1
	s_and_b32 s0, s1, 28
	s_add_nc_u64 s[2:3], s[24:25], 0xc4
	s_mov_b32 s7, 0
	s_mov_b64 s[4:5], s[24:25]
.LBB11_590:                             ; =>This Inner Loop Header: Depth=1
	s_clause 0x1
	s_load_b256 s[36:43], s[4:5], 0x4
	s_load_b128 s[12:15], s[4:5], 0x24
	s_load_b256 s[44:51], s[2:3], 0x0
	s_add_co_i32 s7, s7, 4
	s_wait_xcnt 0x0
	s_add_nc_u64 s[4:5], s[4:5], 48
	s_cmp_lg_u32 s0, s7
	s_add_nc_u64 s[2:3], s[2:3], 32
	s_wait_kmcnt 0x0
	v_mul_hi_u32 v5, s37, v4
	s_delay_alu instid0(VALU_DEP_1) | instskip(NEXT) | instid1(VALU_DEP_1)
	v_add_nc_u32_e32 v5, v4, v5
	v_lshrrev_b32_e32 v5, s38, v5
	s_delay_alu instid0(VALU_DEP_1) | instskip(NEXT) | instid1(VALU_DEP_1)
	v_mul_hi_u32 v6, s40, v5
	v_add_nc_u32_e32 v6, v5, v6
	s_delay_alu instid0(VALU_DEP_1) | instskip(NEXT) | instid1(VALU_DEP_1)
	v_lshrrev_b32_e32 v6, s41, v6
	v_mul_hi_u32 v7, s43, v6
	s_delay_alu instid0(VALU_DEP_1) | instskip(SKIP_1) | instid1(VALU_DEP_1)
	v_add_nc_u32_e32 v7, v6, v7
	v_mul_lo_u32 v8, v5, s36
	v_sub_nc_u32_e32 v4, v4, v8
	v_mul_lo_u32 v8, v6, s39
	s_delay_alu instid0(VALU_DEP_4) | instskip(NEXT) | instid1(VALU_DEP_3)
	v_lshrrev_b32_e32 v7, s12, v7
	v_mad_u32 v10, v4, s45, v61
	v_mad_u32 v4, v4, s44, v60
	s_delay_alu instid0(VALU_DEP_4) | instskip(NEXT) | instid1(VALU_DEP_4)
	v_sub_nc_u32_e32 v5, v5, v8
	v_mul_hi_u32 v9, s14, v7
	v_mul_lo_u32 v8, v7, s42
	s_delay_alu instid0(VALU_DEP_3) | instskip(SKIP_1) | instid1(VALU_DEP_3)
	v_mad_u32 v10, v5, s47, v10
	v_mad_u32 v5, v5, s46, v4
	v_dual_add_nc_u32 v9, v7, v9 :: v_dual_sub_nc_u32 v6, v6, v8
	s_delay_alu instid0(VALU_DEP_1) | instskip(NEXT) | instid1(VALU_DEP_2)
	v_lshrrev_b32_e32 v4, s15, v9
	v_mad_u32 v9, v6, s49, v10
	s_delay_alu instid0(VALU_DEP_4) | instskip(NEXT) | instid1(VALU_DEP_3)
	v_mad_u32 v5, v6, s48, v5
	v_mul_lo_u32 v8, v4, s13
	s_delay_alu instid0(VALU_DEP_1) | instskip(NEXT) | instid1(VALU_DEP_1)
	v_sub_nc_u32_e32 v6, v7, v8
	v_mad_u32 v61, v6, s51, v9
	s_delay_alu instid0(VALU_DEP_4)
	v_mad_u32 v60, v6, s50, v5
	s_cbranch_scc1 .LBB11_590
; %bb.591:
	s_and_b32 s4, s1, 3
	s_mov_b32 s1, 0
	s_cmp_eq_u32 s4, 0
	s_cbranch_scc0 .LBB11_595
	s_branch .LBB11_597
.LBB11_592:
	s_mov_b32 s6, -1
                                        ; implicit-def: $vgpr61
	s_branch .LBB11_597
.LBB11_593:
	v_dual_mov_b32 v61, 0 :: v_dual_mov_b32 v60, 0
	s_branch .LBB11_597
.LBB11_594:
	v_mov_b64_e32 v[60:61], 0
	v_mov_b32_e32 v4, v1
	s_mov_b32 s0, 0
	s_and_b32 s4, s1, 3
	s_mov_b32 s1, 0
	s_cmp_eq_u32 s4, 0
	s_cbranch_scc1 .LBB11_597
.LBB11_595:
	s_lshl_b32 s2, s0, 3
	s_mov_b32 s3, s1
	s_mul_u64 s[8:9], s[0:1], 12
	s_add_nc_u64 s[2:3], s[24:25], s[2:3]
	s_delay_alu instid0(SALU_CYCLE_1)
	s_add_nc_u64 s[0:1], s[2:3], 0xc4
	s_add_nc_u64 s[2:3], s[24:25], s[8:9]
.LBB11_596:                             ; =>This Inner Loop Header: Depth=1
	s_load_b96 s[8:10], s[2:3], 0x4
	s_load_b64 s[12:13], s[0:1], 0x0
	s_add_co_i32 s4, s4, -1
	s_wait_xcnt 0x0
	s_add_nc_u64 s[2:3], s[2:3], 12
	s_cmp_lg_u32 s4, 0
	s_add_nc_u64 s[0:1], s[0:1], 8
	s_wait_kmcnt 0x0
	v_mul_hi_u32 v5, s9, v4
	s_delay_alu instid0(VALU_DEP_1) | instskip(NEXT) | instid1(VALU_DEP_1)
	v_add_nc_u32_e32 v5, v4, v5
	v_lshrrev_b32_e32 v5, s10, v5
	s_delay_alu instid0(VALU_DEP_1) | instskip(NEXT) | instid1(VALU_DEP_1)
	v_mul_lo_u32 v6, v5, s8
	v_sub_nc_u32_e32 v4, v4, v6
	s_delay_alu instid0(VALU_DEP_1)
	v_mad_u32 v61, v4, s13, v61
	v_mad_u32 v60, v4, s12, v60
	v_mov_b32_e32 v4, v5
	s_cbranch_scc1 .LBB11_596
.LBB11_597:
	s_and_not1_b32 vcc_lo, exec_lo, s6
	s_cbranch_vccnz .LBB11_600
; %bb.598:
	s_clause 0x1
	s_load_b96 s[0:2], s[24:25], 0x4
	s_load_b64 s[4:5], s[24:25], 0xc4
	s_cmp_lt_u32 s11, 2
	s_wait_kmcnt 0x0
	v_mul_hi_u32 v4, s1, v1
	s_delay_alu instid0(VALU_DEP_1) | instskip(NEXT) | instid1(VALU_DEP_1)
	v_add_nc_u32_e32 v4, v1, v4
	v_lshrrev_b32_e32 v4, s2, v4
	s_delay_alu instid0(VALU_DEP_1) | instskip(NEXT) | instid1(VALU_DEP_1)
	v_mul_lo_u32 v5, v4, s0
	v_sub_nc_u32_e32 v1, v1, v5
	s_delay_alu instid0(VALU_DEP_1)
	v_mul_lo_u32 v61, v1, s5
	v_mul_lo_u32 v60, v1, s4
	s_cbranch_scc1 .LBB11_600
; %bb.599:
	s_clause 0x1
	s_load_b96 s[0:2], s[24:25], 0x10
	s_load_b64 s[4:5], s[24:25], 0xcc
	s_wait_kmcnt 0x0
	v_mul_hi_u32 v1, s1, v4
	s_delay_alu instid0(VALU_DEP_1) | instskip(NEXT) | instid1(VALU_DEP_1)
	v_add_nc_u32_e32 v1, v4, v1
	v_lshrrev_b32_e32 v1, s2, v1
	s_delay_alu instid0(VALU_DEP_1) | instskip(NEXT) | instid1(VALU_DEP_1)
	v_mul_lo_u32 v1, v1, s0
	v_sub_nc_u32_e32 v1, v4, v1
	s_delay_alu instid0(VALU_DEP_1)
	v_mad_u32 v60, v1, s4, v60
	v_mad_u32 v61, v1, s5, v61
.LBB11_600:
	v_cmp_ne_u32_e32 vcc_lo, 1, v0
	v_add_nc_u32_e32 v1, 0x100, v42
	s_cbranch_vccnz .LBB11_606
; %bb.601:
	s_cmp_lg_u32 s11, 0
	s_mov_b32 s6, 0
	s_cbranch_scc0 .LBB11_607
; %bb.602:
	s_min_u32 s1, s33, 15
	s_delay_alu instid0(SALU_CYCLE_1)
	s_add_co_i32 s1, s1, 1
	s_cmp_eq_u32 s33, 2
	s_cbranch_scc1 .LBB11_608
; %bb.603:
	v_dual_mov_b32 v58, 0 :: v_dual_mov_b32 v59, 0
	v_mov_b32_e32 v4, v1
	s_and_b32 s0, s1, 28
	s_add_nc_u64 s[2:3], s[24:25], 0xc4
	s_mov_b32 s7, 0
	s_mov_b64 s[4:5], s[24:25]
.LBB11_604:                             ; =>This Inner Loop Header: Depth=1
	s_clause 0x1
	s_load_b256 s[36:43], s[4:5], 0x4
	s_load_b128 s[12:15], s[4:5], 0x24
	s_load_b256 s[44:51], s[2:3], 0x0
	s_add_co_i32 s7, s7, 4
	s_wait_xcnt 0x0
	s_add_nc_u64 s[4:5], s[4:5], 48
	s_cmp_lg_u32 s0, s7
	s_add_nc_u64 s[2:3], s[2:3], 32
	s_wait_kmcnt 0x0
	v_mul_hi_u32 v5, s37, v4
	s_delay_alu instid0(VALU_DEP_1) | instskip(NEXT) | instid1(VALU_DEP_1)
	v_add_nc_u32_e32 v5, v4, v5
	v_lshrrev_b32_e32 v5, s38, v5
	s_delay_alu instid0(VALU_DEP_1) | instskip(NEXT) | instid1(VALU_DEP_1)
	v_mul_hi_u32 v6, s40, v5
	v_add_nc_u32_e32 v6, v5, v6
	s_delay_alu instid0(VALU_DEP_1) | instskip(NEXT) | instid1(VALU_DEP_1)
	v_lshrrev_b32_e32 v6, s41, v6
	v_mul_hi_u32 v7, s43, v6
	s_delay_alu instid0(VALU_DEP_1) | instskip(SKIP_1) | instid1(VALU_DEP_1)
	v_add_nc_u32_e32 v7, v6, v7
	v_mul_lo_u32 v8, v5, s36
	v_sub_nc_u32_e32 v4, v4, v8
	v_mul_lo_u32 v8, v6, s39
	s_delay_alu instid0(VALU_DEP_4) | instskip(NEXT) | instid1(VALU_DEP_3)
	v_lshrrev_b32_e32 v7, s12, v7
	v_mad_u32 v10, v4, s45, v59
	v_mad_u32 v4, v4, s44, v58
	s_delay_alu instid0(VALU_DEP_4) | instskip(NEXT) | instid1(VALU_DEP_4)
	v_sub_nc_u32_e32 v5, v5, v8
	v_mul_hi_u32 v9, s14, v7
	v_mul_lo_u32 v8, v7, s42
	s_delay_alu instid0(VALU_DEP_3) | instskip(SKIP_1) | instid1(VALU_DEP_3)
	v_mad_u32 v10, v5, s47, v10
	v_mad_u32 v5, v5, s46, v4
	v_dual_add_nc_u32 v9, v7, v9 :: v_dual_sub_nc_u32 v6, v6, v8
	s_delay_alu instid0(VALU_DEP_1) | instskip(NEXT) | instid1(VALU_DEP_2)
	v_lshrrev_b32_e32 v4, s15, v9
	v_mad_u32 v9, v6, s49, v10
	s_delay_alu instid0(VALU_DEP_4) | instskip(NEXT) | instid1(VALU_DEP_3)
	v_mad_u32 v5, v6, s48, v5
	v_mul_lo_u32 v8, v4, s13
	s_delay_alu instid0(VALU_DEP_1) | instskip(NEXT) | instid1(VALU_DEP_1)
	v_sub_nc_u32_e32 v6, v7, v8
	v_mad_u32 v59, v6, s51, v9
	s_delay_alu instid0(VALU_DEP_4)
	v_mad_u32 v58, v6, s50, v5
	s_cbranch_scc1 .LBB11_604
; %bb.605:
	s_and_b32 s4, s1, 3
	s_mov_b32 s1, 0
	s_cmp_eq_u32 s4, 0
	s_cbranch_scc0 .LBB11_609
	s_branch .LBB11_611
.LBB11_606:
	s_mov_b32 s6, -1
                                        ; implicit-def: $vgpr59
	s_branch .LBB11_611
.LBB11_607:
	v_dual_mov_b32 v59, 0 :: v_dual_mov_b32 v58, 0
	s_branch .LBB11_611
.LBB11_608:
	v_mov_b64_e32 v[58:59], 0
	v_mov_b32_e32 v4, v1
	s_mov_b32 s0, 0
	s_and_b32 s4, s1, 3
	s_mov_b32 s1, 0
	s_cmp_eq_u32 s4, 0
	s_cbranch_scc1 .LBB11_611
.LBB11_609:
	s_lshl_b32 s2, s0, 3
	s_mov_b32 s3, s1
	s_mul_u64 s[8:9], s[0:1], 12
	s_add_nc_u64 s[2:3], s[24:25], s[2:3]
	s_delay_alu instid0(SALU_CYCLE_1)
	s_add_nc_u64 s[0:1], s[2:3], 0xc4
	s_add_nc_u64 s[2:3], s[24:25], s[8:9]
.LBB11_610:                             ; =>This Inner Loop Header: Depth=1
	s_load_b96 s[8:10], s[2:3], 0x4
	s_load_b64 s[12:13], s[0:1], 0x0
	s_add_co_i32 s4, s4, -1
	s_wait_xcnt 0x0
	s_add_nc_u64 s[2:3], s[2:3], 12
	s_cmp_lg_u32 s4, 0
	s_add_nc_u64 s[0:1], s[0:1], 8
	s_wait_kmcnt 0x0
	v_mul_hi_u32 v5, s9, v4
	s_delay_alu instid0(VALU_DEP_1) | instskip(NEXT) | instid1(VALU_DEP_1)
	v_add_nc_u32_e32 v5, v4, v5
	v_lshrrev_b32_e32 v5, s10, v5
	s_delay_alu instid0(VALU_DEP_1) | instskip(NEXT) | instid1(VALU_DEP_1)
	v_mul_lo_u32 v6, v5, s8
	v_sub_nc_u32_e32 v4, v4, v6
	s_delay_alu instid0(VALU_DEP_1)
	v_mad_u32 v59, v4, s13, v59
	v_mad_u32 v58, v4, s12, v58
	v_mov_b32_e32 v4, v5
	s_cbranch_scc1 .LBB11_610
.LBB11_611:
	s_and_not1_b32 vcc_lo, exec_lo, s6
	s_cbranch_vccnz .LBB11_614
; %bb.612:
	s_clause 0x1
	s_load_b96 s[0:2], s[24:25], 0x4
	s_load_b64 s[4:5], s[24:25], 0xc4
	s_cmp_lt_u32 s11, 2
	s_wait_kmcnt 0x0
	v_mul_hi_u32 v4, s1, v1
	s_delay_alu instid0(VALU_DEP_1) | instskip(NEXT) | instid1(VALU_DEP_1)
	v_add_nc_u32_e32 v4, v1, v4
	v_lshrrev_b32_e32 v4, s2, v4
	s_delay_alu instid0(VALU_DEP_1) | instskip(NEXT) | instid1(VALU_DEP_1)
	v_mul_lo_u32 v5, v4, s0
	v_sub_nc_u32_e32 v1, v1, v5
	s_delay_alu instid0(VALU_DEP_1)
	v_mul_lo_u32 v59, v1, s5
	v_mul_lo_u32 v58, v1, s4
	s_cbranch_scc1 .LBB11_614
; %bb.613:
	s_clause 0x1
	s_load_b96 s[0:2], s[24:25], 0x10
	s_load_b64 s[4:5], s[24:25], 0xcc
	s_wait_kmcnt 0x0
	v_mul_hi_u32 v1, s1, v4
	s_delay_alu instid0(VALU_DEP_1) | instskip(NEXT) | instid1(VALU_DEP_1)
	v_add_nc_u32_e32 v1, v4, v1
	v_lshrrev_b32_e32 v1, s2, v1
	s_delay_alu instid0(VALU_DEP_1) | instskip(NEXT) | instid1(VALU_DEP_1)
	v_mul_lo_u32 v1, v1, s0
	v_sub_nc_u32_e32 v1, v4, v1
	s_delay_alu instid0(VALU_DEP_1)
	v_mad_u32 v58, v1, s4, v58
	v_mad_u32 v59, v1, s5, v59
.LBB11_614:
	v_cmp_ne_u32_e32 vcc_lo, 1, v0
	s_cbranch_vccnz .LBB11_620
; %bb.615:
	s_cmp_lg_u32 s11, 0
	s_mov_b32 s6, 0
	s_cbranch_scc0 .LBB11_621
; %bb.616:
	s_min_u32 s1, s33, 15
	s_delay_alu instid0(SALU_CYCLE_1)
	s_add_co_i32 s1, s1, 1
	s_cmp_eq_u32 s33, 2
	s_cbranch_scc1 .LBB11_622
; %bb.617:
	v_dual_mov_b32 v56, 0 :: v_dual_mov_b32 v57, 0
	v_mov_b32_e32 v0, v3
	s_and_b32 s0, s1, 28
	s_add_nc_u64 s[2:3], s[24:25], 0xc4
	s_mov_b32 s7, 0
	s_mov_b64 s[4:5], s[24:25]
.LBB11_618:                             ; =>This Inner Loop Header: Depth=1
	s_clause 0x1
	s_load_b256 s[36:43], s[4:5], 0x4
	s_load_b128 s[12:15], s[4:5], 0x24
	s_load_b256 s[44:51], s[2:3], 0x0
	s_add_co_i32 s7, s7, 4
	s_wait_xcnt 0x0
	s_add_nc_u64 s[4:5], s[4:5], 48
	s_cmp_lg_u32 s0, s7
	s_add_nc_u64 s[2:3], s[2:3], 32
	s_wait_kmcnt 0x0
	v_mul_hi_u32 v1, s37, v0
	s_delay_alu instid0(VALU_DEP_1) | instskip(NEXT) | instid1(VALU_DEP_1)
	v_add_nc_u32_e32 v1, v0, v1
	v_lshrrev_b32_e32 v1, s38, v1
	s_delay_alu instid0(VALU_DEP_1) | instskip(NEXT) | instid1(VALU_DEP_1)
	v_mul_lo_u32 v6, v1, s36
	v_sub_nc_u32_e32 v0, v0, v6
	v_mul_hi_u32 v4, s40, v1
	s_delay_alu instid0(VALU_DEP_2) | instskip(SKIP_1) | instid1(VALU_DEP_3)
	v_mad_u32 v8, v0, s45, v57
	v_mad_u32 v0, v0, s44, v56
	v_add_nc_u32_e32 v4, v1, v4
	s_delay_alu instid0(VALU_DEP_1) | instskip(NEXT) | instid1(VALU_DEP_1)
	v_lshrrev_b32_e32 v4, s41, v4
	v_mul_hi_u32 v5, s43, v4
	v_mul_lo_u32 v6, v4, s39
	s_delay_alu instid0(VALU_DEP_1) | instskip(NEXT) | instid1(VALU_DEP_1)
	v_dual_add_nc_u32 v5, v4, v5 :: v_dual_sub_nc_u32 v1, v1, v6
	v_lshrrev_b32_e32 v5, s12, v5
	s_delay_alu instid0(VALU_DEP_2) | instskip(SKIP_1) | instid1(VALU_DEP_3)
	v_mad_u32 v8, v1, s47, v8
	v_mad_u32 v1, v1, s46, v0
	v_mul_hi_u32 v7, s14, v5
	v_mul_lo_u32 v6, v5, s42
	s_delay_alu instid0(VALU_DEP_1) | instskip(NEXT) | instid1(VALU_DEP_1)
	v_dual_add_nc_u32 v7, v5, v7 :: v_dual_sub_nc_u32 v4, v4, v6
	v_lshrrev_b32_e32 v0, s15, v7
	s_delay_alu instid0(VALU_DEP_2) | instskip(SKIP_1) | instid1(VALU_DEP_3)
	v_mad_u32 v7, v4, s49, v8
	v_mad_u32 v1, v4, s48, v1
	v_mul_lo_u32 v6, v0, s13
	s_delay_alu instid0(VALU_DEP_1) | instskip(NEXT) | instid1(VALU_DEP_1)
	v_sub_nc_u32_e32 v4, v5, v6
	v_mad_u32 v57, v4, s51, v7
	s_delay_alu instid0(VALU_DEP_4)
	v_mad_u32 v56, v4, s50, v1
	s_cbranch_scc1 .LBB11_618
; %bb.619:
	s_and_b32 s4, s1, 3
	s_mov_b32 s1, 0
	s_cmp_eq_u32 s4, 0
	s_cbranch_scc0 .LBB11_623
	s_branch .LBB11_625
.LBB11_620:
	s_mov_b32 s6, -1
                                        ; implicit-def: $vgpr57
	s_branch .LBB11_625
.LBB11_621:
	v_dual_mov_b32 v57, 0 :: v_dual_mov_b32 v56, 0
	s_branch .LBB11_625
.LBB11_622:
	v_mov_b64_e32 v[56:57], 0
	v_mov_b32_e32 v0, v3
	s_mov_b32 s0, 0
	s_and_b32 s4, s1, 3
	s_mov_b32 s1, 0
	s_cmp_eq_u32 s4, 0
	s_cbranch_scc1 .LBB11_625
.LBB11_623:
	s_lshl_b32 s2, s0, 3
	s_mov_b32 s3, s1
	s_mul_u64 s[8:9], s[0:1], 12
	s_add_nc_u64 s[2:3], s[24:25], s[2:3]
	s_delay_alu instid0(SALU_CYCLE_1)
	s_add_nc_u64 s[0:1], s[2:3], 0xc4
	s_add_nc_u64 s[2:3], s[24:25], s[8:9]
.LBB11_624:                             ; =>This Inner Loop Header: Depth=1
	s_load_b96 s[8:10], s[2:3], 0x4
	s_load_b64 s[12:13], s[0:1], 0x0
	s_add_co_i32 s4, s4, -1
	s_wait_xcnt 0x0
	s_add_nc_u64 s[2:3], s[2:3], 12
	s_cmp_lg_u32 s4, 0
	s_add_nc_u64 s[0:1], s[0:1], 8
	s_wait_kmcnt 0x0
	v_mul_hi_u32 v1, s9, v0
	s_delay_alu instid0(VALU_DEP_1) | instskip(NEXT) | instid1(VALU_DEP_1)
	v_add_nc_u32_e32 v1, v0, v1
	v_lshrrev_b32_e32 v1, s10, v1
	s_delay_alu instid0(VALU_DEP_1) | instskip(NEXT) | instid1(VALU_DEP_1)
	v_mul_lo_u32 v4, v1, s8
	v_sub_nc_u32_e32 v0, v0, v4
	s_delay_alu instid0(VALU_DEP_1)
	v_mad_u32 v57, v0, s13, v57
	v_mad_u32 v56, v0, s12, v56
	v_mov_b32_e32 v0, v1
	s_cbranch_scc1 .LBB11_624
.LBB11_625:
	s_and_not1_b32 vcc_lo, exec_lo, s6
	s_cbranch_vccnz .LBB11_628
; %bb.626:
	s_clause 0x1
	s_load_b96 s[0:2], s[24:25], 0x4
	s_load_b64 s[4:5], s[24:25], 0xc4
	s_cmp_lt_u32 s11, 2
	s_wait_kmcnt 0x0
	v_mul_hi_u32 v0, s1, v3
	s_delay_alu instid0(VALU_DEP_1) | instskip(NEXT) | instid1(VALU_DEP_1)
	v_add_nc_u32_e32 v0, v3, v0
	v_lshrrev_b32_e32 v0, s2, v0
	s_delay_alu instid0(VALU_DEP_1) | instskip(NEXT) | instid1(VALU_DEP_1)
	v_mul_lo_u32 v1, v0, s0
	v_sub_nc_u32_e32 v1, v3, v1
	s_delay_alu instid0(VALU_DEP_1)
	v_mul_lo_u32 v57, v1, s5
	v_mul_lo_u32 v56, v1, s4
	s_cbranch_scc1 .LBB11_628
; %bb.627:
	s_clause 0x1
	s_load_b96 s[0:2], s[24:25], 0x10
	s_load_b64 s[4:5], s[24:25], 0xcc
	s_wait_kmcnt 0x0
	v_mul_hi_u32 v1, s1, v0
	s_delay_alu instid0(VALU_DEP_1) | instskip(NEXT) | instid1(VALU_DEP_1)
	v_add_nc_u32_e32 v1, v0, v1
	v_lshrrev_b32_e32 v1, s2, v1
	s_delay_alu instid0(VALU_DEP_1) | instskip(NEXT) | instid1(VALU_DEP_1)
	v_mul_lo_u32 v1, v1, s0
	v_sub_nc_u32_e32 v0, v0, v1
	s_delay_alu instid0(VALU_DEP_1)
	v_mad_u32 v56, v0, s4, v56
	v_mad_u32 v57, v0, s5, v57
.LBB11_628:
	v_mov_b32_e32 v63, 0
	s_get_pc_i64 s[18:19]
	s_add_nc_u64 s[18:19], s[18:19], _ZN2at6native6invokeIZZZNS0_12_GLOBAL__N_121bessel_y1_kernel_cudaERNS_18TensorIteratorBaseEENKUlvE_clEvENKUlvE_clEvEUldE_j15function_traitsIS7_EEENT1_11result_typeERKT_PrKPcPKT0_PKN3c1010ScalarTypeEi@rel64+4
	s_load_b128 s[12:15], s[24:25], 0x148
	global_load_u8 v46, v63, s[24:25] offset:346
	s_wait_kmcnt 0x0
	v_dual_mov_b32 v0, s14 :: v_dual_mov_b32 v1, s15
	s_wait_loadcnt 0x0
	v_mov_b32_e32 v3, v46
	s_swap_pc_i64 s[30:31], s[18:19]
	s_delay_alu instid0(VALU_DEP_2) | instskip(SKIP_3) | instid1(VALU_DEP_2)
	v_dual_mov_b32 v44, v0 :: v_dual_mov_b32 v45, v1
	v_dual_mov_b32 v0, s14 :: v_dual_mov_b32 v1, s15
	;; [unrolled: 1-line block ×3, first 2 shown]
	s_swap_pc_i64 s[30:31], s[18:19]
	v_dual_mov_b32 v42, v0 :: v_dual_mov_b32 v43, v1
	v_dual_mov_b32 v0, s14 :: v_dual_mov_b32 v1, s15
	;; [unrolled: 1-line block ×3, first 2 shown]
	s_swap_pc_i64 s[30:31], s[18:19]
	s_delay_alu instid0(VALU_DEP_2)
	v_dual_mov_b32 v40, v0 :: v_dual_mov_b32 v41, v1
	v_dual_mov_b32 v0, s14 :: v_dual_mov_b32 v1, s15
	;; [unrolled: 1-line block ×3, first 2 shown]
	s_swap_pc_i64 s[30:31], s[18:19]
	global_load_u8 v4, v63, s[24:25] offset:345
	s_wait_loadcnt 0x0
	v_and_b32_e32 v2, 0xffff, v4
	v_readfirstlane_b32 s1, v4
	s_delay_alu instid0(VALU_DEP_2)
	v_cmp_gt_i32_e32 vcc_lo, 11, v2
	v_add_nc_u64_e32 v[2:3], s[12:13], v[62:63]
	s_cbranch_vccnz .LBB11_707
; %bb.629:
	s_and_b32 s2, 0xffff, s1
	s_mov_b32 s5, -1
	s_mov_b32 s3, 0
	s_cmp_gt_i32 s2, 25
	s_mov_b32 s4, 0
	s_mov_b32 s0, 0
	s_cbranch_scc0 .LBB11_662
; %bb.630:
	s_cmp_gt_i32 s2, 28
	s_cbranch_scc0 .LBB11_645
; %bb.631:
	s_cmp_gt_i32 s2, 43
	s_cbranch_scc0 .LBB11_641
; %bb.632:
	s_cmp_gt_i32 s2, 45
	s_cbranch_scc0 .LBB11_635
; %bb.633:
	s_mov_b32 s0, -1
	s_mov_b32 s5, 0
	s_cmp_eq_u32 s2, 46
	s_cbranch_scc0 .LBB11_635
; %bb.634:
	v_cvt_f32_f64_e32 v4, v[44:45]
	s_mov_b32 s0, 0
	s_mov_b32 s4, -1
	s_delay_alu instid0(VALU_DEP_1) | instskip(SKIP_1) | instid1(VALU_DEP_2)
	v_bfe_u32 v5, v4, 16, 1
	v_cmp_o_f32_e32 vcc_lo, v4, v4
	v_add3_u32 v5, v4, v5, 0x7fff
	s_delay_alu instid0(VALU_DEP_1) | instskip(NEXT) | instid1(VALU_DEP_1)
	v_lshrrev_b32_e32 v5, 16, v5
	v_cndmask_b32_e32 v4, 0x7fc0, v5, vcc_lo
	global_store_b32 v[2:3], v4, off
.LBB11_635:
	s_and_b32 vcc_lo, exec_lo, s5
	s_cbranch_vccz .LBB11_640
; %bb.636:
	s_cmp_eq_u32 s2, 44
	s_mov_b32 s0, -1
	s_cbranch_scc0 .LBB11_640
; %bb.637:
	s_wait_xcnt 0x0
	v_cvt_f32_f64_e32 v4, v[44:45]
	v_mov_b32_e32 v5, 0xff
	s_mov_b32 s4, exec_lo
	s_delay_alu instid0(VALU_DEP_2) | instskip(NEXT) | instid1(VALU_DEP_1)
	v_bfe_u32 v6, v4, 23, 8
	v_cmpx_ne_u32_e32 0xff, v6
	s_cbranch_execz .LBB11_639
; %bb.638:
	v_and_b32_e32 v5, 0x400000, v4
	v_and_or_b32 v6, 0x3fffff, v4, v6
	v_lshrrev_b32_e32 v4, 23, v4
	s_delay_alu instid0(VALU_DEP_3) | instskip(NEXT) | instid1(VALU_DEP_3)
	v_cmp_ne_u32_e32 vcc_lo, 0, v5
	v_cmp_ne_u32_e64 s0, 0, v6
	s_and_b32 s0, vcc_lo, s0
	s_delay_alu instid0(SALU_CYCLE_1) | instskip(NEXT) | instid1(VALU_DEP_1)
	v_cndmask_b32_e64 v5, 0, 1, s0
	v_add_nc_u32_e32 v5, v4, v5
.LBB11_639:
	s_or_b32 exec_lo, exec_lo, s4
	s_mov_b32 s0, 0
	s_mov_b32 s4, -1
	global_store_b8 v[2:3], v5, off
.LBB11_640:
	s_mov_b32 s5, 0
.LBB11_641:
	s_delay_alu instid0(SALU_CYCLE_1)
	s_and_b32 vcc_lo, exec_lo, s5
	s_cbranch_vccz .LBB11_644
; %bb.642:
	s_cmp_eq_u32 s2, 29
	s_mov_b32 s0, -1
	s_cbranch_scc0 .LBB11_644
; %bb.643:
	s_wait_xcnt 0x0
	v_trunc_f64_e32 v[4:5], v[44:45]
	s_mov_b32 s0, 0
	s_mov_b32 s4, -1
	s_delay_alu instid0(VALU_DEP_1) | instskip(NEXT) | instid1(VALU_DEP_1)
	v_ldexp_f64 v[6:7], v[4:5], 0xffffffe0
	v_floor_f64_e32 v[6:7], v[6:7]
	s_delay_alu instid0(VALU_DEP_1) | instskip(SKIP_1) | instid1(VALU_DEP_2)
	v_fmamk_f64 v[4:5], v[6:7], 0xc1f00000, v[4:5]
	v_cvt_u32_f64_e32 v7, v[6:7]
	v_cvt_u32_f64_e32 v6, v[4:5]
	global_store_b64 v[2:3], v[6:7], off
.LBB11_644:
	s_mov_b32 s5, 0
.LBB11_645:
	s_delay_alu instid0(SALU_CYCLE_1)
	s_and_b32 vcc_lo, exec_lo, s5
	s_cbranch_vccz .LBB11_661
; %bb.646:
	s_cmp_lt_i32 s2, 27
	s_mov_b32 s4, -1
	s_cbranch_scc1 .LBB11_652
; %bb.647:
	s_cmp_gt_i32 s2, 27
	s_cbranch_scc0 .LBB11_649
; %bb.648:
	s_wait_xcnt 0x0
	v_cvt_u32_f64_e32 v4, v[44:45]
	s_mov_b32 s4, 0
	global_store_b32 v[2:3], v4, off
.LBB11_649:
	s_and_not1_b32 vcc_lo, exec_lo, s4
	s_cbranch_vccnz .LBB11_651
; %bb.650:
	s_wait_xcnt 0x0
	v_cvt_u32_f64_e32 v4, v[44:45]
	global_store_b16 v[2:3], v4, off
.LBB11_651:
	s_mov_b32 s4, 0
.LBB11_652:
	s_delay_alu instid0(SALU_CYCLE_1)
	s_and_not1_b32 vcc_lo, exec_lo, s4
	s_cbranch_vccnz .LBB11_660
; %bb.653:
	s_wait_xcnt 0x0
	v_cvt_f32_f64_e32 v4, v[44:45]
	v_mov_b32_e32 v6, 0x80
	s_mov_b32 s4, exec_lo
	s_delay_alu instid0(VALU_DEP_2) | instskip(NEXT) | instid1(VALU_DEP_1)
	v_and_b32_e32 v5, 0x7fffffff, v4
	v_cmpx_gt_u32_e32 0x43800000, v5
	s_cbranch_execz .LBB11_659
; %bb.654:
	v_cmp_lt_u32_e32 vcc_lo, 0x3bffffff, v5
	s_mov_b32 s5, 0
                                        ; implicit-def: $vgpr5
	s_and_saveexec_b32 s6, vcc_lo
	s_delay_alu instid0(SALU_CYCLE_1)
	s_xor_b32 s6, exec_lo, s6
	s_cbranch_execz .LBB11_1104
; %bb.655:
	v_bfe_u32 v5, v4, 20, 1
	s_mov_b32 s5, exec_lo
	s_delay_alu instid0(VALU_DEP_1) | instskip(NEXT) | instid1(VALU_DEP_1)
	v_add3_u32 v5, v4, v5, 0x487ffff
	v_lshrrev_b32_e32 v5, 20, v5
	s_and_not1_saveexec_b32 s6, s6
	s_cbranch_execnz .LBB11_1105
.LBB11_656:
	s_or_b32 exec_lo, exec_lo, s6
	v_mov_b32_e32 v6, 0
	s_and_saveexec_b32 s6, s5
.LBB11_657:
	v_lshrrev_b32_e32 v4, 24, v4
	s_delay_alu instid0(VALU_DEP_1)
	v_and_or_b32 v6, 0x80, v4, v5
.LBB11_658:
	s_or_b32 exec_lo, exec_lo, s6
.LBB11_659:
	s_delay_alu instid0(SALU_CYCLE_1)
	s_or_b32 exec_lo, exec_lo, s4
	global_store_b8 v[2:3], v6, off
.LBB11_660:
	s_mov_b32 s4, -1
.LBB11_661:
	s_mov_b32 s5, 0
.LBB11_662:
	s_delay_alu instid0(SALU_CYCLE_1)
	s_and_b32 vcc_lo, exec_lo, s5
	s_cbranch_vccz .LBB11_702
; %bb.663:
	s_cmp_gt_i32 s2, 22
	s_mov_b32 s3, -1
	s_cbranch_scc0 .LBB11_695
; %bb.664:
	s_cmp_lt_i32 s2, 24
	s_cbranch_scc1 .LBB11_684
; %bb.665:
	s_cmp_gt_i32 s2, 24
	s_cbranch_scc0 .LBB11_673
; %bb.666:
	s_wait_xcnt 0x0
	v_cvt_f32_f64_e32 v4, v[44:45]
	v_mov_b32_e32 v6, 0x80
	s_mov_b32 s3, exec_lo
	s_delay_alu instid0(VALU_DEP_2) | instskip(NEXT) | instid1(VALU_DEP_1)
	v_and_b32_e32 v5, 0x7fffffff, v4
	v_cmpx_gt_u32_e32 0x47800000, v5
	s_cbranch_execz .LBB11_672
; %bb.667:
	v_cmp_lt_u32_e32 vcc_lo, 0x37ffffff, v5
	s_mov_b32 s4, 0
                                        ; implicit-def: $vgpr5
	s_and_saveexec_b32 s5, vcc_lo
	s_delay_alu instid0(SALU_CYCLE_1)
	s_xor_b32 s5, exec_lo, s5
	s_cbranch_execz .LBB11_1107
; %bb.668:
	v_bfe_u32 v5, v4, 21, 1
	s_mov_b32 s4, exec_lo
	s_delay_alu instid0(VALU_DEP_1) | instskip(NEXT) | instid1(VALU_DEP_1)
	v_add3_u32 v5, v4, v5, 0x88fffff
	v_lshrrev_b32_e32 v5, 21, v5
	s_and_not1_saveexec_b32 s5, s5
	s_cbranch_execnz .LBB11_1108
.LBB11_669:
	s_or_b32 exec_lo, exec_lo, s5
	v_mov_b32_e32 v6, 0
	s_and_saveexec_b32 s5, s4
.LBB11_670:
	v_lshrrev_b32_e32 v4, 24, v4
	s_delay_alu instid0(VALU_DEP_1)
	v_and_or_b32 v6, 0x80, v4, v5
.LBB11_671:
	s_or_b32 exec_lo, exec_lo, s5
.LBB11_672:
	s_delay_alu instid0(SALU_CYCLE_1)
	s_or_b32 exec_lo, exec_lo, s3
	s_mov_b32 s3, 0
	global_store_b8 v[2:3], v6, off
.LBB11_673:
	s_and_b32 vcc_lo, exec_lo, s3
	s_cbranch_vccz .LBB11_683
; %bb.674:
	s_wait_xcnt 0x0
	v_cvt_f32_f64_e32 v4, v[44:45]
	s_mov_b32 s3, exec_lo
                                        ; implicit-def: $vgpr5
	s_delay_alu instid0(VALU_DEP_1) | instskip(NEXT) | instid1(VALU_DEP_1)
	v_and_b32_e32 v6, 0x7fffffff, v4
	v_cmpx_gt_u32_e32 0x43f00000, v6
	s_xor_b32 s3, exec_lo, s3
	s_cbranch_execz .LBB11_680
; %bb.675:
	s_mov_b32 s4, exec_lo
                                        ; implicit-def: $vgpr5
	v_cmpx_lt_u32_e32 0x3c7fffff, v6
	s_xor_b32 s4, exec_lo, s4
; %bb.676:
	v_bfe_u32 v5, v4, 20, 1
	s_delay_alu instid0(VALU_DEP_1) | instskip(NEXT) | instid1(VALU_DEP_1)
	v_add3_u32 v5, v4, v5, 0x407ffff
	v_and_b32_e32 v6, 0xff00000, v5
	v_lshrrev_b32_e32 v5, 20, v5
	s_delay_alu instid0(VALU_DEP_2) | instskip(NEXT) | instid1(VALU_DEP_2)
	v_cmp_ne_u32_e32 vcc_lo, 0x7f00000, v6
	v_cndmask_b32_e32 v5, 0x7e, v5, vcc_lo
; %bb.677:
	s_and_not1_saveexec_b32 s4, s4
; %bb.678:
	v_add_f32_e64 v5, 0x46800000, |v4|
; %bb.679:
	s_or_b32 exec_lo, exec_lo, s4
                                        ; implicit-def: $vgpr6
.LBB11_680:
	s_and_not1_saveexec_b32 s3, s3
; %bb.681:
	v_mov_b32_e32 v5, 0x7f
	v_cmp_lt_u32_e32 vcc_lo, 0x7f800000, v6
	s_delay_alu instid0(VALU_DEP_2)
	v_cndmask_b32_e32 v5, 0x7e, v5, vcc_lo
; %bb.682:
	s_or_b32 exec_lo, exec_lo, s3
	v_lshrrev_b32_e32 v4, 24, v4
	s_delay_alu instid0(VALU_DEP_1)
	v_and_or_b32 v4, 0x80, v4, v5
	global_store_b8 v[2:3], v4, off
.LBB11_683:
	s_mov_b32 s3, 0
.LBB11_684:
	s_delay_alu instid0(SALU_CYCLE_1)
	s_and_not1_b32 vcc_lo, exec_lo, s3
	s_cbranch_vccnz .LBB11_694
; %bb.685:
	s_wait_xcnt 0x0
	v_cvt_f32_f64_e32 v4, v[44:45]
	s_mov_b32 s3, exec_lo
                                        ; implicit-def: $vgpr5
	s_delay_alu instid0(VALU_DEP_1) | instskip(NEXT) | instid1(VALU_DEP_1)
	v_and_b32_e32 v6, 0x7fffffff, v4
	v_cmpx_gt_u32_e32 0x47800000, v6
	s_xor_b32 s3, exec_lo, s3
	s_cbranch_execz .LBB11_691
; %bb.686:
	s_mov_b32 s4, exec_lo
                                        ; implicit-def: $vgpr5
	v_cmpx_lt_u32_e32 0x387fffff, v6
	s_xor_b32 s4, exec_lo, s4
; %bb.687:
	v_bfe_u32 v5, v4, 21, 1
	s_delay_alu instid0(VALU_DEP_1) | instskip(NEXT) | instid1(VALU_DEP_1)
	v_add3_u32 v5, v4, v5, 0x80fffff
	v_lshrrev_b32_e32 v5, 21, v5
; %bb.688:
	s_and_not1_saveexec_b32 s4, s4
; %bb.689:
	v_add_f32_e64 v5, 0x43000000, |v4|
; %bb.690:
	s_or_b32 exec_lo, exec_lo, s4
                                        ; implicit-def: $vgpr6
.LBB11_691:
	s_and_not1_saveexec_b32 s3, s3
; %bb.692:
	v_mov_b32_e32 v5, 0x7f
	v_cmp_lt_u32_e32 vcc_lo, 0x7f800000, v6
	s_delay_alu instid0(VALU_DEP_2)
	v_cndmask_b32_e32 v5, 0x7c, v5, vcc_lo
; %bb.693:
	s_or_b32 exec_lo, exec_lo, s3
	v_lshrrev_b32_e32 v4, 24, v4
	s_delay_alu instid0(VALU_DEP_1)
	v_and_or_b32 v4, 0x80, v4, v5
	global_store_b8 v[2:3], v4, off
.LBB11_694:
	s_mov_b32 s3, 0
	s_mov_b32 s4, -1
.LBB11_695:
	s_and_not1_b32 vcc_lo, exec_lo, s3
	s_mov_b32 s3, 0
	s_cbranch_vccnz .LBB11_702
; %bb.696:
	s_cmp_gt_i32 s2, 14
	s_mov_b32 s3, -1
	s_cbranch_scc0 .LBB11_700
; %bb.697:
	s_cmp_eq_u32 s2, 15
	s_mov_b32 s0, -1
	s_cbranch_scc0 .LBB11_699
; %bb.698:
	s_wait_xcnt 0x0
	v_cvt_f32_f64_e32 v4, v[44:45]
	s_mov_b32 s0, 0
	s_mov_b32 s4, -1
	s_delay_alu instid0(VALU_DEP_1) | instskip(SKIP_1) | instid1(VALU_DEP_2)
	v_bfe_u32 v5, v4, 16, 1
	v_cmp_o_f32_e32 vcc_lo, v4, v4
	v_add3_u32 v5, v4, v5, 0x7fff
	s_delay_alu instid0(VALU_DEP_1) | instskip(NEXT) | instid1(VALU_DEP_1)
	v_lshrrev_b32_e32 v5, 16, v5
	v_cndmask_b32_e32 v4, 0x7fc0, v5, vcc_lo
	global_store_b16 v[2:3], v4, off
.LBB11_699:
	s_mov_b32 s3, 0
.LBB11_700:
	s_delay_alu instid0(SALU_CYCLE_1)
	s_and_b32 vcc_lo, exec_lo, s3
	s_mov_b32 s3, 0
	s_cbranch_vccz .LBB11_702
; %bb.701:
	s_cmp_lg_u32 s2, 11
	s_mov_b32 s3, -1
	s_cselect_b32 s0, -1, 0
.LBB11_702:
	s_delay_alu instid0(SALU_CYCLE_1)
	s_and_b32 vcc_lo, exec_lo, s0
	s_mov_b32 s2, s16
	s_cbranch_vccnz .LBB11_1106
; %bb.703:
	s_and_not1_b32 vcc_lo, exec_lo, s3
	s_cbranch_vccnz .LBB11_705
.LBB11_704:
	v_cmp_neq_f64_e32 vcc_lo, 0, v[44:45]
	s_mov_b32 s4, -1
	s_wait_xcnt 0x0
	v_cndmask_b32_e64 v4, 0, 1, vcc_lo
	global_store_b8 v[2:3], v4, off
.LBB11_705:
.LBB11_706:
	s_and_not1_b32 vcc_lo, exec_lo, s4
	s_cbranch_vccz .LBB11_746
	s_branch .LBB11_1058
.LBB11_707:
	s_mov_b32 s4, 0
	s_mov_b32 s2, s16
	s_cbranch_execz .LBB11_706
; %bb.708:
	s_and_b32 s0, 0xffff, s1
	s_mov_b32 s3, -1
	s_cmp_lt_i32 s0, 5
	s_cbranch_scc1 .LBB11_729
; %bb.709:
	s_cmp_lt_i32 s0, 8
	s_cbranch_scc1 .LBB11_719
; %bb.710:
	;; [unrolled: 3-line block ×3, first 2 shown]
	s_cmp_gt_i32 s0, 9
	s_cbranch_scc0 .LBB11_713
; %bb.712:
	v_mov_b32_e32 v46, 0
	s_mov_b32 s3, 0
	s_delay_alu instid0(VALU_DEP_1)
	v_mov_b32_e32 v47, v46
	global_store_b128 v[2:3], v[44:47], off
.LBB11_713:
	s_and_not1_b32 vcc_lo, exec_lo, s3
	s_cbranch_vccnz .LBB11_715
; %bb.714:
	s_wait_xcnt 0x0
	v_cvt_f32_f64_e32 v4, v[44:45]
	v_mov_b32_e32 v5, 0
	global_store_b64 v[2:3], v[4:5], off
.LBB11_715:
	s_mov_b32 s3, 0
.LBB11_716:
	s_delay_alu instid0(SALU_CYCLE_1)
	s_and_not1_b32 vcc_lo, exec_lo, s3
	s_cbranch_vccnz .LBB11_718
; %bb.717:
	s_wait_xcnt 0x0
	v_and_or_b32 v4, 0x1ff, v45, v44
	v_lshrrev_b32_e32 v5, 8, v45
	v_bfe_u32 v6, v45, 20, 11
	s_delay_alu instid0(VALU_DEP_3) | instskip(NEXT) | instid1(VALU_DEP_2)
	v_cmp_ne_u32_e32 vcc_lo, 0, v4
	v_sub_nc_u32_e32 v7, 0x3f1, v6
	v_add_nc_u32_e32 v6, 0xfffffc10, v6
	v_cndmask_b32_e64 v4, 0, 1, vcc_lo
	s_delay_alu instid0(VALU_DEP_1) | instskip(NEXT) | instid1(VALU_DEP_4)
	v_and_or_b32 v4, 0xffe, v5, v4
	v_med3_i32 v5, v7, 0, 13
	s_delay_alu instid0(VALU_DEP_2) | instskip(NEXT) | instid1(VALU_DEP_1)
	v_or_b32_e32 v7, 0x1000, v4
	v_lshrrev_b32_e32 v8, v5, v7
	s_delay_alu instid0(VALU_DEP_1) | instskip(NEXT) | instid1(VALU_DEP_1)
	v_lshlrev_b32_e32 v5, v5, v8
	v_cmp_ne_u32_e32 vcc_lo, v5, v7
	v_lshl_or_b32 v7, v6, 12, v4
	v_cndmask_b32_e64 v5, 0, 1, vcc_lo
	v_cmp_gt_i32_e32 vcc_lo, 1, v6
	s_delay_alu instid0(VALU_DEP_2) | instskip(NEXT) | instid1(VALU_DEP_1)
	v_or_b32_e32 v5, v8, v5
	v_cndmask_b32_e32 v5, v7, v5, vcc_lo
	s_delay_alu instid0(VALU_DEP_1) | instskip(NEXT) | instid1(VALU_DEP_1)
	v_dual_lshrrev_b32 v5, 2, v5 :: v_dual_bitop2_b32 v7, 7, v5 bitop3:0x40
	v_cmp_lt_i32_e32 vcc_lo, 5, v7
	v_cndmask_b32_e64 v8, 0, 1, vcc_lo
	v_cmp_eq_u32_e32 vcc_lo, 3, v7
	v_cndmask_b32_e64 v7, 0, 1, vcc_lo
	v_cmp_ne_u32_e32 vcc_lo, 0, v4
	s_delay_alu instid0(VALU_DEP_2) | instskip(NEXT) | instid1(VALU_DEP_1)
	v_or_b32_e32 v7, v7, v8
	v_dual_mov_b32 v8, 0x7e00 :: v_dual_add_nc_u32 v5, v5, v7
	s_delay_alu instid0(VALU_DEP_1) | instskip(SKIP_2) | instid1(VALU_DEP_4)
	v_cndmask_b32_e32 v4, 0x7c00, v8, vcc_lo
	v_cmp_gt_i32_e32 vcc_lo, 31, v6
	v_lshrrev_b32_e32 v7, 16, v45
	v_cndmask_b32_e32 v5, 0x7c00, v5, vcc_lo
	v_cmp_eq_u32_e32 vcc_lo, 0x40f, v6
	s_delay_alu instid0(VALU_DEP_2) | instskip(NEXT) | instid1(VALU_DEP_4)
	v_cndmask_b32_e32 v4, v5, v4, vcc_lo
	v_and_b32_e32 v5, 0x8000, v7
	s_delay_alu instid0(VALU_DEP_1)
	v_bitop3_b32 v4, v5, 0xffff, v4 bitop3:0xc8
	global_store_b32 v[2:3], v4, off
.LBB11_718:
	s_mov_b32 s3, 0
.LBB11_719:
	s_delay_alu instid0(SALU_CYCLE_1)
	s_and_not1_b32 vcc_lo, exec_lo, s3
	s_cbranch_vccnz .LBB11_728
; %bb.720:
	s_cmp_lt_i32 s0, 6
	s_mov_b32 s3, -1
	s_cbranch_scc1 .LBB11_726
; %bb.721:
	s_cmp_gt_i32 s0, 6
	s_cbranch_scc0 .LBB11_723
; %bb.722:
	s_mov_b32 s3, 0
	global_store_b64 v[2:3], v[44:45], off
.LBB11_723:
	s_and_not1_b32 vcc_lo, exec_lo, s3
	s_cbranch_vccnz .LBB11_725
; %bb.724:
	s_wait_xcnt 0x0
	v_cvt_f32_f64_e32 v4, v[44:45]
	global_store_b32 v[2:3], v4, off
.LBB11_725:
	s_mov_b32 s3, 0
.LBB11_726:
	s_delay_alu instid0(SALU_CYCLE_1)
	s_and_not1_b32 vcc_lo, exec_lo, s3
	s_cbranch_vccnz .LBB11_728
; %bb.727:
	s_wait_xcnt 0x0
	v_and_or_b32 v4, 0x1ff, v45, v44
	v_lshrrev_b32_e32 v5, 8, v45
	v_bfe_u32 v6, v45, 20, 11
	s_delay_alu instid0(VALU_DEP_3) | instskip(NEXT) | instid1(VALU_DEP_2)
	v_cmp_ne_u32_e32 vcc_lo, 0, v4
	v_sub_nc_u32_e32 v7, 0x3f1, v6
	v_add_nc_u32_e32 v6, 0xfffffc10, v6
	v_cndmask_b32_e64 v4, 0, 1, vcc_lo
	s_delay_alu instid0(VALU_DEP_1) | instskip(NEXT) | instid1(VALU_DEP_4)
	v_and_or_b32 v4, 0xffe, v5, v4
	v_med3_i32 v5, v7, 0, 13
	s_delay_alu instid0(VALU_DEP_2) | instskip(NEXT) | instid1(VALU_DEP_1)
	v_or_b32_e32 v7, 0x1000, v4
	v_lshrrev_b32_e32 v8, v5, v7
	s_delay_alu instid0(VALU_DEP_1) | instskip(NEXT) | instid1(VALU_DEP_1)
	v_lshlrev_b32_e32 v5, v5, v8
	v_cmp_ne_u32_e32 vcc_lo, v5, v7
	v_lshl_or_b32 v7, v6, 12, v4
	v_cndmask_b32_e64 v5, 0, 1, vcc_lo
	v_cmp_gt_i32_e32 vcc_lo, 1, v6
	s_delay_alu instid0(VALU_DEP_2) | instskip(NEXT) | instid1(VALU_DEP_1)
	v_or_b32_e32 v5, v8, v5
	v_cndmask_b32_e32 v5, v7, v5, vcc_lo
	s_delay_alu instid0(VALU_DEP_1) | instskip(NEXT) | instid1(VALU_DEP_1)
	v_dual_lshrrev_b32 v5, 2, v5 :: v_dual_bitop2_b32 v7, 7, v5 bitop3:0x40
	v_cmp_lt_i32_e32 vcc_lo, 5, v7
	v_cndmask_b32_e64 v8, 0, 1, vcc_lo
	v_cmp_eq_u32_e32 vcc_lo, 3, v7
	v_cndmask_b32_e64 v7, 0, 1, vcc_lo
	v_cmp_ne_u32_e32 vcc_lo, 0, v4
	s_delay_alu instid0(VALU_DEP_2) | instskip(NEXT) | instid1(VALU_DEP_1)
	v_or_b32_e32 v7, v7, v8
	v_dual_mov_b32 v8, 0x7e00 :: v_dual_add_nc_u32 v5, v5, v7
	s_delay_alu instid0(VALU_DEP_1) | instskip(SKIP_1) | instid1(VALU_DEP_3)
	v_cndmask_b32_e32 v4, 0x7c00, v8, vcc_lo
	v_cmp_gt_i32_e32 vcc_lo, 31, v6
	v_cndmask_b32_e32 v5, 0x7c00, v5, vcc_lo
	v_cmp_eq_u32_e32 vcc_lo, 0x40f, v6
	s_delay_alu instid0(VALU_DEP_2) | instskip(NEXT) | instid1(VALU_DEP_1)
	v_dual_cndmask_b32 v4, v5, v4 :: v_dual_lshrrev_b32 v5, 16, v45
	v_and_or_b32 v4, 0x8000, v5, v4
	global_store_b16 v[2:3], v4, off
.LBB11_728:
	s_mov_b32 s3, 0
.LBB11_729:
	s_delay_alu instid0(SALU_CYCLE_1)
	s_and_not1_b32 vcc_lo, exec_lo, s3
	s_cbranch_vccnz .LBB11_745
; %bb.730:
	s_cmp_lt_i32 s0, 2
	s_mov_b32 s3, -1
	s_cbranch_scc1 .LBB11_740
; %bb.731:
	s_cmp_lt_i32 s0, 3
	s_cbranch_scc1 .LBB11_737
; %bb.732:
	s_cmp_gt_i32 s0, 3
	s_cbranch_scc0 .LBB11_734
; %bb.733:
	s_wait_xcnt 0x0
	v_trunc_f64_e32 v[4:5], v[44:45]
	s_mov_b32 s3, 0
	s_delay_alu instid0(VALU_DEP_1) | instskip(NEXT) | instid1(VALU_DEP_1)
	v_ldexp_f64 v[6:7], v[4:5], 0xffffffe0
	v_floor_f64_e32 v[6:7], v[6:7]
	s_delay_alu instid0(VALU_DEP_1) | instskip(SKIP_1) | instid1(VALU_DEP_2)
	v_fmamk_f64 v[4:5], v[6:7], 0xc1f00000, v[4:5]
	v_cvt_i32_f64_e32 v7, v[6:7]
	v_cvt_u32_f64_e32 v6, v[4:5]
	global_store_b64 v[2:3], v[6:7], off
.LBB11_734:
	s_and_not1_b32 vcc_lo, exec_lo, s3
	s_cbranch_vccnz .LBB11_736
; %bb.735:
	s_wait_xcnt 0x0
	v_cvt_i32_f64_e32 v4, v[44:45]
	global_store_b32 v[2:3], v4, off
.LBB11_736:
	s_mov_b32 s3, 0
.LBB11_737:
	s_delay_alu instid0(SALU_CYCLE_1)
	s_and_not1_b32 vcc_lo, exec_lo, s3
	s_cbranch_vccnz .LBB11_739
; %bb.738:
	s_wait_xcnt 0x0
	v_cvt_i32_f64_e32 v4, v[44:45]
	global_store_b16 v[2:3], v4, off
.LBB11_739:
	s_mov_b32 s3, 0
.LBB11_740:
	s_delay_alu instid0(SALU_CYCLE_1)
	s_and_not1_b32 vcc_lo, exec_lo, s3
	s_cbranch_vccnz .LBB11_745
; %bb.741:
	s_cmp_gt_i32 s0, 0
	s_mov_b32 s0, -1
	s_cbranch_scc0 .LBB11_743
; %bb.742:
	s_wait_xcnt 0x0
	v_cvt_i32_f64_e32 v4, v[44:45]
	s_mov_b32 s0, 0
	global_store_b8 v[2:3], v4, off
.LBB11_743:
	s_and_not1_b32 vcc_lo, exec_lo, s0
	s_cbranch_vccnz .LBB11_745
; %bb.744:
	s_wait_xcnt 0x0
	v_trunc_f64_e32 v[4:5], v[44:45]
	s_delay_alu instid0(VALU_DEP_1) | instskip(NEXT) | instid1(VALU_DEP_1)
	v_ldexp_f64 v[6:7], v[4:5], 0xffffffe0
	v_floor_f64_e32 v[6:7], v[6:7]
	s_delay_alu instid0(VALU_DEP_1) | instskip(NEXT) | instid1(VALU_DEP_1)
	v_fmamk_f64 v[4:5], v[6:7], 0xc1f00000, v[4:5]
	v_cvt_u32_f64_e32 v4, v[4:5]
	global_store_b8 v[2:3], v4, off
.LBB11_745:
.LBB11_746:
	v_mov_b32_e32 v61, 0
	s_and_b32 s3, 0xffff, s1
	s_delay_alu instid0(SALU_CYCLE_1) | instskip(SKIP_1) | instid1(VALU_DEP_1)
	s_cmp_lt_i32 s3, 11
	s_wait_xcnt 0x0
	v_add_nc_u64_e32 v[2:3], s[12:13], v[60:61]
	s_cbranch_scc1 .LBB11_825
; %bb.747:
	s_mov_b32 s6, -1
	s_mov_b32 s4, 0
	s_cmp_gt_i32 s3, 25
	s_mov_b32 s5, 0
	s_mov_b32 s0, 0
	s_cbranch_scc0 .LBB11_780
; %bb.748:
	s_cmp_gt_i32 s3, 28
	s_cbranch_scc0 .LBB11_763
; %bb.749:
	s_cmp_gt_i32 s3, 43
	;; [unrolled: 3-line block ×3, first 2 shown]
	s_cbranch_scc0 .LBB11_753
; %bb.751:
	s_mov_b32 s0, -1
	s_mov_b32 s6, 0
	s_cmp_eq_u32 s3, 46
	s_cbranch_scc0 .LBB11_753
; %bb.752:
	v_cvt_f32_f64_e32 v4, v[42:43]
	s_mov_b32 s0, 0
	s_mov_b32 s5, -1
	s_delay_alu instid0(VALU_DEP_1) | instskip(SKIP_1) | instid1(VALU_DEP_2)
	v_bfe_u32 v5, v4, 16, 1
	v_cmp_o_f32_e32 vcc_lo, v4, v4
	v_add3_u32 v5, v4, v5, 0x7fff
	s_delay_alu instid0(VALU_DEP_1) | instskip(NEXT) | instid1(VALU_DEP_1)
	v_lshrrev_b32_e32 v5, 16, v5
	v_cndmask_b32_e32 v4, 0x7fc0, v5, vcc_lo
	global_store_b32 v[2:3], v4, off
.LBB11_753:
	s_and_b32 vcc_lo, exec_lo, s6
	s_cbranch_vccz .LBB11_758
; %bb.754:
	s_cmp_eq_u32 s3, 44
	s_mov_b32 s0, -1
	s_cbranch_scc0 .LBB11_758
; %bb.755:
	s_wait_xcnt 0x0
	v_cvt_f32_f64_e32 v4, v[42:43]
	v_mov_b32_e32 v5, 0xff
	s_mov_b32 s5, exec_lo
	s_delay_alu instid0(VALU_DEP_2) | instskip(NEXT) | instid1(VALU_DEP_1)
	v_bfe_u32 v6, v4, 23, 8
	v_cmpx_ne_u32_e32 0xff, v6
	s_cbranch_execz .LBB11_757
; %bb.756:
	v_and_b32_e32 v5, 0x400000, v4
	v_and_or_b32 v6, 0x3fffff, v4, v6
	v_lshrrev_b32_e32 v4, 23, v4
	s_delay_alu instid0(VALU_DEP_3) | instskip(NEXT) | instid1(VALU_DEP_3)
	v_cmp_ne_u32_e32 vcc_lo, 0, v5
	v_cmp_ne_u32_e64 s0, 0, v6
	s_and_b32 s0, vcc_lo, s0
	s_delay_alu instid0(SALU_CYCLE_1) | instskip(NEXT) | instid1(VALU_DEP_1)
	v_cndmask_b32_e64 v5, 0, 1, s0
	v_add_nc_u32_e32 v5, v4, v5
.LBB11_757:
	s_or_b32 exec_lo, exec_lo, s5
	s_mov_b32 s0, 0
	s_mov_b32 s5, -1
	global_store_b8 v[2:3], v5, off
.LBB11_758:
	s_mov_b32 s6, 0
.LBB11_759:
	s_delay_alu instid0(SALU_CYCLE_1)
	s_and_b32 vcc_lo, exec_lo, s6
	s_cbranch_vccz .LBB11_762
; %bb.760:
	s_cmp_eq_u32 s3, 29
	s_mov_b32 s0, -1
	s_cbranch_scc0 .LBB11_762
; %bb.761:
	s_wait_xcnt 0x0
	v_trunc_f64_e32 v[4:5], v[42:43]
	s_mov_b32 s0, 0
	s_mov_b32 s5, -1
	s_delay_alu instid0(VALU_DEP_1) | instskip(NEXT) | instid1(VALU_DEP_1)
	v_ldexp_f64 v[6:7], v[4:5], 0xffffffe0
	v_floor_f64_e32 v[6:7], v[6:7]
	s_delay_alu instid0(VALU_DEP_1) | instskip(SKIP_1) | instid1(VALU_DEP_2)
	v_fmamk_f64 v[4:5], v[6:7], 0xc1f00000, v[4:5]
	v_cvt_u32_f64_e32 v7, v[6:7]
	v_cvt_u32_f64_e32 v6, v[4:5]
	global_store_b64 v[2:3], v[6:7], off
.LBB11_762:
	s_mov_b32 s6, 0
.LBB11_763:
	s_delay_alu instid0(SALU_CYCLE_1)
	s_and_b32 vcc_lo, exec_lo, s6
	s_cbranch_vccz .LBB11_779
; %bb.764:
	s_cmp_lt_i32 s3, 27
	s_mov_b32 s5, -1
	s_cbranch_scc1 .LBB11_770
; %bb.765:
	s_cmp_gt_i32 s3, 27
	s_cbranch_scc0 .LBB11_767
; %bb.766:
	s_wait_xcnt 0x0
	v_cvt_u32_f64_e32 v4, v[42:43]
	s_mov_b32 s5, 0
	global_store_b32 v[2:3], v4, off
.LBB11_767:
	s_and_not1_b32 vcc_lo, exec_lo, s5
	s_cbranch_vccnz .LBB11_769
; %bb.768:
	s_wait_xcnt 0x0
	v_cvt_u32_f64_e32 v4, v[42:43]
	global_store_b16 v[2:3], v4, off
.LBB11_769:
	s_mov_b32 s5, 0
.LBB11_770:
	s_delay_alu instid0(SALU_CYCLE_1)
	s_and_not1_b32 vcc_lo, exec_lo, s5
	s_cbranch_vccnz .LBB11_778
; %bb.771:
	s_wait_xcnt 0x0
	v_cvt_f32_f64_e32 v4, v[42:43]
	v_mov_b32_e32 v6, 0x80
	s_mov_b32 s5, exec_lo
	s_delay_alu instid0(VALU_DEP_2) | instskip(NEXT) | instid1(VALU_DEP_1)
	v_and_b32_e32 v5, 0x7fffffff, v4
	v_cmpx_gt_u32_e32 0x43800000, v5
	s_cbranch_execz .LBB11_777
; %bb.772:
	v_cmp_lt_u32_e32 vcc_lo, 0x3bffffff, v5
	s_mov_b32 s6, 0
                                        ; implicit-def: $vgpr5
	s_and_saveexec_b32 s7, vcc_lo
	s_delay_alu instid0(SALU_CYCLE_1)
	s_xor_b32 s7, exec_lo, s7
	s_cbranch_execz .LBB11_1109
; %bb.773:
	v_bfe_u32 v5, v4, 20, 1
	s_mov_b32 s6, exec_lo
	s_delay_alu instid0(VALU_DEP_1) | instskip(NEXT) | instid1(VALU_DEP_1)
	v_add3_u32 v5, v4, v5, 0x487ffff
	v_lshrrev_b32_e32 v5, 20, v5
	s_and_not1_saveexec_b32 s7, s7
	s_cbranch_execnz .LBB11_1110
.LBB11_774:
	s_or_b32 exec_lo, exec_lo, s7
	v_mov_b32_e32 v6, 0
	s_and_saveexec_b32 s7, s6
.LBB11_775:
	v_lshrrev_b32_e32 v4, 24, v4
	s_delay_alu instid0(VALU_DEP_1)
	v_and_or_b32 v6, 0x80, v4, v5
.LBB11_776:
	s_or_b32 exec_lo, exec_lo, s7
.LBB11_777:
	s_delay_alu instid0(SALU_CYCLE_1)
	s_or_b32 exec_lo, exec_lo, s5
	global_store_b8 v[2:3], v6, off
.LBB11_778:
	s_mov_b32 s5, -1
.LBB11_779:
	s_mov_b32 s6, 0
.LBB11_780:
	s_delay_alu instid0(SALU_CYCLE_1)
	s_and_b32 vcc_lo, exec_lo, s6
	s_cbranch_vccz .LBB11_820
; %bb.781:
	s_cmp_gt_i32 s3, 22
	s_mov_b32 s4, -1
	s_cbranch_scc0 .LBB11_813
; %bb.782:
	s_cmp_lt_i32 s3, 24
	s_cbranch_scc1 .LBB11_802
; %bb.783:
	s_cmp_gt_i32 s3, 24
	s_cbranch_scc0 .LBB11_791
; %bb.784:
	s_wait_xcnt 0x0
	v_cvt_f32_f64_e32 v4, v[42:43]
	v_mov_b32_e32 v6, 0x80
	s_mov_b32 s4, exec_lo
	s_delay_alu instid0(VALU_DEP_2) | instskip(NEXT) | instid1(VALU_DEP_1)
	v_and_b32_e32 v5, 0x7fffffff, v4
	v_cmpx_gt_u32_e32 0x47800000, v5
	s_cbranch_execz .LBB11_790
; %bb.785:
	v_cmp_lt_u32_e32 vcc_lo, 0x37ffffff, v5
	s_mov_b32 s5, 0
                                        ; implicit-def: $vgpr5
	s_and_saveexec_b32 s6, vcc_lo
	s_delay_alu instid0(SALU_CYCLE_1)
	s_xor_b32 s6, exec_lo, s6
	s_cbranch_execz .LBB11_1112
; %bb.786:
	v_bfe_u32 v5, v4, 21, 1
	s_mov_b32 s5, exec_lo
	s_delay_alu instid0(VALU_DEP_1) | instskip(NEXT) | instid1(VALU_DEP_1)
	v_add3_u32 v5, v4, v5, 0x88fffff
	v_lshrrev_b32_e32 v5, 21, v5
	s_and_not1_saveexec_b32 s6, s6
	s_cbranch_execnz .LBB11_1113
.LBB11_787:
	s_or_b32 exec_lo, exec_lo, s6
	v_mov_b32_e32 v6, 0
	s_and_saveexec_b32 s6, s5
.LBB11_788:
	v_lshrrev_b32_e32 v4, 24, v4
	s_delay_alu instid0(VALU_DEP_1)
	v_and_or_b32 v6, 0x80, v4, v5
.LBB11_789:
	s_or_b32 exec_lo, exec_lo, s6
.LBB11_790:
	s_delay_alu instid0(SALU_CYCLE_1)
	s_or_b32 exec_lo, exec_lo, s4
	s_mov_b32 s4, 0
	global_store_b8 v[2:3], v6, off
.LBB11_791:
	s_and_b32 vcc_lo, exec_lo, s4
	s_cbranch_vccz .LBB11_801
; %bb.792:
	s_wait_xcnt 0x0
	v_cvt_f32_f64_e32 v4, v[42:43]
	s_mov_b32 s4, exec_lo
                                        ; implicit-def: $vgpr5
	s_delay_alu instid0(VALU_DEP_1) | instskip(NEXT) | instid1(VALU_DEP_1)
	v_and_b32_e32 v6, 0x7fffffff, v4
	v_cmpx_gt_u32_e32 0x43f00000, v6
	s_xor_b32 s4, exec_lo, s4
	s_cbranch_execz .LBB11_798
; %bb.793:
	s_mov_b32 s5, exec_lo
                                        ; implicit-def: $vgpr5
	v_cmpx_lt_u32_e32 0x3c7fffff, v6
	s_xor_b32 s5, exec_lo, s5
; %bb.794:
	v_bfe_u32 v5, v4, 20, 1
	s_delay_alu instid0(VALU_DEP_1) | instskip(NEXT) | instid1(VALU_DEP_1)
	v_add3_u32 v5, v4, v5, 0x407ffff
	v_and_b32_e32 v6, 0xff00000, v5
	v_lshrrev_b32_e32 v5, 20, v5
	s_delay_alu instid0(VALU_DEP_2) | instskip(NEXT) | instid1(VALU_DEP_2)
	v_cmp_ne_u32_e32 vcc_lo, 0x7f00000, v6
	v_cndmask_b32_e32 v5, 0x7e, v5, vcc_lo
; %bb.795:
	s_and_not1_saveexec_b32 s5, s5
; %bb.796:
	v_add_f32_e64 v5, 0x46800000, |v4|
; %bb.797:
	s_or_b32 exec_lo, exec_lo, s5
                                        ; implicit-def: $vgpr6
.LBB11_798:
	s_and_not1_saveexec_b32 s4, s4
; %bb.799:
	v_mov_b32_e32 v5, 0x7f
	v_cmp_lt_u32_e32 vcc_lo, 0x7f800000, v6
	s_delay_alu instid0(VALU_DEP_2)
	v_cndmask_b32_e32 v5, 0x7e, v5, vcc_lo
; %bb.800:
	s_or_b32 exec_lo, exec_lo, s4
	v_lshrrev_b32_e32 v4, 24, v4
	s_delay_alu instid0(VALU_DEP_1)
	v_and_or_b32 v4, 0x80, v4, v5
	global_store_b8 v[2:3], v4, off
.LBB11_801:
	s_mov_b32 s4, 0
.LBB11_802:
	s_delay_alu instid0(SALU_CYCLE_1)
	s_and_not1_b32 vcc_lo, exec_lo, s4
	s_cbranch_vccnz .LBB11_812
; %bb.803:
	s_wait_xcnt 0x0
	v_cvt_f32_f64_e32 v4, v[42:43]
	s_mov_b32 s4, exec_lo
                                        ; implicit-def: $vgpr5
	s_delay_alu instid0(VALU_DEP_1) | instskip(NEXT) | instid1(VALU_DEP_1)
	v_and_b32_e32 v6, 0x7fffffff, v4
	v_cmpx_gt_u32_e32 0x47800000, v6
	s_xor_b32 s4, exec_lo, s4
	s_cbranch_execz .LBB11_809
; %bb.804:
	s_mov_b32 s5, exec_lo
                                        ; implicit-def: $vgpr5
	v_cmpx_lt_u32_e32 0x387fffff, v6
	s_xor_b32 s5, exec_lo, s5
; %bb.805:
	v_bfe_u32 v5, v4, 21, 1
	s_delay_alu instid0(VALU_DEP_1) | instskip(NEXT) | instid1(VALU_DEP_1)
	v_add3_u32 v5, v4, v5, 0x80fffff
	v_lshrrev_b32_e32 v5, 21, v5
; %bb.806:
	s_and_not1_saveexec_b32 s5, s5
; %bb.807:
	v_add_f32_e64 v5, 0x43000000, |v4|
; %bb.808:
	s_or_b32 exec_lo, exec_lo, s5
                                        ; implicit-def: $vgpr6
.LBB11_809:
	s_and_not1_saveexec_b32 s4, s4
; %bb.810:
	v_mov_b32_e32 v5, 0x7f
	v_cmp_lt_u32_e32 vcc_lo, 0x7f800000, v6
	s_delay_alu instid0(VALU_DEP_2)
	v_cndmask_b32_e32 v5, 0x7c, v5, vcc_lo
; %bb.811:
	s_or_b32 exec_lo, exec_lo, s4
	v_lshrrev_b32_e32 v4, 24, v4
	s_delay_alu instid0(VALU_DEP_1)
	v_and_or_b32 v4, 0x80, v4, v5
	global_store_b8 v[2:3], v4, off
.LBB11_812:
	s_mov_b32 s4, 0
	s_mov_b32 s5, -1
.LBB11_813:
	s_and_not1_b32 vcc_lo, exec_lo, s4
	s_mov_b32 s4, 0
	s_cbranch_vccnz .LBB11_820
; %bb.814:
	s_cmp_gt_i32 s3, 14
	s_mov_b32 s4, -1
	s_cbranch_scc0 .LBB11_818
; %bb.815:
	s_cmp_eq_u32 s3, 15
	s_mov_b32 s0, -1
	s_cbranch_scc0 .LBB11_817
; %bb.816:
	s_wait_xcnt 0x0
	v_cvt_f32_f64_e32 v4, v[42:43]
	s_mov_b32 s0, 0
	s_mov_b32 s5, -1
	s_delay_alu instid0(VALU_DEP_1) | instskip(SKIP_1) | instid1(VALU_DEP_2)
	v_bfe_u32 v5, v4, 16, 1
	v_cmp_o_f32_e32 vcc_lo, v4, v4
	v_add3_u32 v5, v4, v5, 0x7fff
	s_delay_alu instid0(VALU_DEP_1) | instskip(NEXT) | instid1(VALU_DEP_1)
	v_lshrrev_b32_e32 v5, 16, v5
	v_cndmask_b32_e32 v4, 0x7fc0, v5, vcc_lo
	global_store_b16 v[2:3], v4, off
.LBB11_817:
	s_mov_b32 s4, 0
.LBB11_818:
	s_delay_alu instid0(SALU_CYCLE_1)
	s_and_b32 vcc_lo, exec_lo, s4
	s_mov_b32 s4, 0
	s_cbranch_vccz .LBB11_820
; %bb.819:
	s_cmp_lg_u32 s3, 11
	s_mov_b32 s4, -1
	s_cselect_b32 s0, -1, 0
.LBB11_820:
	s_delay_alu instid0(SALU_CYCLE_1)
	s_and_b32 vcc_lo, exec_lo, s0
	s_cbranch_vccnz .LBB11_1111
; %bb.821:
	s_and_not1_b32 vcc_lo, exec_lo, s4
	s_cbranch_vccnz .LBB11_823
.LBB11_822:
	v_cmp_neq_f64_e32 vcc_lo, 0, v[42:43]
	s_mov_b32 s5, -1
	s_wait_xcnt 0x0
	v_cndmask_b32_e64 v4, 0, 1, vcc_lo
	global_store_b8 v[2:3], v4, off
.LBB11_823:
.LBB11_824:
	s_and_not1_b32 vcc_lo, exec_lo, s5
	s_cbranch_vccz .LBB11_864
	s_branch .LBB11_1058
.LBB11_825:
	s_mov_b32 s5, 0
	s_cbranch_execz .LBB11_824
; %bb.826:
	s_cmp_lt_i32 s3, 5
	s_mov_b32 s0, -1
	s_cbranch_scc1 .LBB11_847
; %bb.827:
	s_cmp_lt_i32 s3, 8
	s_cbranch_scc1 .LBB11_837
; %bb.828:
	s_cmp_lt_i32 s3, 9
	s_cbranch_scc1 .LBB11_834
; %bb.829:
	s_cmp_gt_i32 s3, 9
	s_cbranch_scc0 .LBB11_831
; %bb.830:
	v_mov_b32_e32 v44, 0
	s_mov_b32 s0, 0
	s_delay_alu instid0(VALU_DEP_1)
	v_mov_b32_e32 v45, v44
	global_store_b128 v[2:3], v[42:45], off
.LBB11_831:
	s_and_not1_b32 vcc_lo, exec_lo, s0
	s_cbranch_vccnz .LBB11_833
; %bb.832:
	s_wait_xcnt 0x0
	v_cvt_f32_f64_e32 v4, v[42:43]
	v_mov_b32_e32 v5, 0
	global_store_b64 v[2:3], v[4:5], off
.LBB11_833:
	s_mov_b32 s0, 0
.LBB11_834:
	s_delay_alu instid0(SALU_CYCLE_1)
	s_and_not1_b32 vcc_lo, exec_lo, s0
	s_cbranch_vccnz .LBB11_836
; %bb.835:
	s_wait_xcnt 0x0
	v_and_or_b32 v4, 0x1ff, v43, v42
	v_lshrrev_b32_e32 v5, 8, v43
	v_bfe_u32 v6, v43, 20, 11
	s_delay_alu instid0(VALU_DEP_3) | instskip(NEXT) | instid1(VALU_DEP_2)
	v_cmp_ne_u32_e32 vcc_lo, 0, v4
	v_sub_nc_u32_e32 v7, 0x3f1, v6
	v_add_nc_u32_e32 v6, 0xfffffc10, v6
	v_cndmask_b32_e64 v4, 0, 1, vcc_lo
	s_delay_alu instid0(VALU_DEP_1) | instskip(NEXT) | instid1(VALU_DEP_4)
	v_and_or_b32 v4, 0xffe, v5, v4
	v_med3_i32 v5, v7, 0, 13
	s_delay_alu instid0(VALU_DEP_2) | instskip(NEXT) | instid1(VALU_DEP_1)
	v_or_b32_e32 v7, 0x1000, v4
	v_lshrrev_b32_e32 v8, v5, v7
	s_delay_alu instid0(VALU_DEP_1) | instskip(NEXT) | instid1(VALU_DEP_1)
	v_lshlrev_b32_e32 v5, v5, v8
	v_cmp_ne_u32_e32 vcc_lo, v5, v7
	v_lshl_or_b32 v7, v6, 12, v4
	v_cndmask_b32_e64 v5, 0, 1, vcc_lo
	v_cmp_gt_i32_e32 vcc_lo, 1, v6
	s_delay_alu instid0(VALU_DEP_2) | instskip(NEXT) | instid1(VALU_DEP_1)
	v_or_b32_e32 v5, v8, v5
	v_cndmask_b32_e32 v5, v7, v5, vcc_lo
	s_delay_alu instid0(VALU_DEP_1) | instskip(NEXT) | instid1(VALU_DEP_1)
	v_dual_lshrrev_b32 v5, 2, v5 :: v_dual_bitop2_b32 v7, 7, v5 bitop3:0x40
	v_cmp_lt_i32_e32 vcc_lo, 5, v7
	v_cndmask_b32_e64 v8, 0, 1, vcc_lo
	v_cmp_eq_u32_e32 vcc_lo, 3, v7
	v_cndmask_b32_e64 v7, 0, 1, vcc_lo
	v_cmp_ne_u32_e32 vcc_lo, 0, v4
	s_delay_alu instid0(VALU_DEP_2) | instskip(NEXT) | instid1(VALU_DEP_1)
	v_or_b32_e32 v7, v7, v8
	v_dual_mov_b32 v8, 0x7e00 :: v_dual_add_nc_u32 v5, v5, v7
	s_delay_alu instid0(VALU_DEP_1) | instskip(SKIP_2) | instid1(VALU_DEP_4)
	v_cndmask_b32_e32 v4, 0x7c00, v8, vcc_lo
	v_cmp_gt_i32_e32 vcc_lo, 31, v6
	v_lshrrev_b32_e32 v7, 16, v43
	v_cndmask_b32_e32 v5, 0x7c00, v5, vcc_lo
	v_cmp_eq_u32_e32 vcc_lo, 0x40f, v6
	s_delay_alu instid0(VALU_DEP_2) | instskip(NEXT) | instid1(VALU_DEP_4)
	v_cndmask_b32_e32 v4, v5, v4, vcc_lo
	v_and_b32_e32 v5, 0x8000, v7
	s_delay_alu instid0(VALU_DEP_1)
	v_bitop3_b32 v4, v5, 0xffff, v4 bitop3:0xc8
	global_store_b32 v[2:3], v4, off
.LBB11_836:
	s_mov_b32 s0, 0
.LBB11_837:
	s_delay_alu instid0(SALU_CYCLE_1)
	s_and_not1_b32 vcc_lo, exec_lo, s0
	s_cbranch_vccnz .LBB11_846
; %bb.838:
	s_cmp_lt_i32 s3, 6
	s_mov_b32 s0, -1
	s_cbranch_scc1 .LBB11_844
; %bb.839:
	s_cmp_gt_i32 s3, 6
	s_cbranch_scc0 .LBB11_841
; %bb.840:
	s_mov_b32 s0, 0
	global_store_b64 v[2:3], v[42:43], off
.LBB11_841:
	s_and_not1_b32 vcc_lo, exec_lo, s0
	s_cbranch_vccnz .LBB11_843
; %bb.842:
	s_wait_xcnt 0x0
	v_cvt_f32_f64_e32 v4, v[42:43]
	global_store_b32 v[2:3], v4, off
.LBB11_843:
	s_mov_b32 s0, 0
.LBB11_844:
	s_delay_alu instid0(SALU_CYCLE_1)
	s_and_not1_b32 vcc_lo, exec_lo, s0
	s_cbranch_vccnz .LBB11_846
; %bb.845:
	s_wait_xcnt 0x0
	v_and_or_b32 v4, 0x1ff, v43, v42
	v_lshrrev_b32_e32 v5, 8, v43
	v_bfe_u32 v6, v43, 20, 11
	s_delay_alu instid0(VALU_DEP_3) | instskip(NEXT) | instid1(VALU_DEP_2)
	v_cmp_ne_u32_e32 vcc_lo, 0, v4
	v_sub_nc_u32_e32 v7, 0x3f1, v6
	v_add_nc_u32_e32 v6, 0xfffffc10, v6
	v_cndmask_b32_e64 v4, 0, 1, vcc_lo
	s_delay_alu instid0(VALU_DEP_1) | instskip(NEXT) | instid1(VALU_DEP_4)
	v_and_or_b32 v4, 0xffe, v5, v4
	v_med3_i32 v5, v7, 0, 13
	s_delay_alu instid0(VALU_DEP_2) | instskip(NEXT) | instid1(VALU_DEP_1)
	v_or_b32_e32 v7, 0x1000, v4
	v_lshrrev_b32_e32 v8, v5, v7
	s_delay_alu instid0(VALU_DEP_1) | instskip(NEXT) | instid1(VALU_DEP_1)
	v_lshlrev_b32_e32 v5, v5, v8
	v_cmp_ne_u32_e32 vcc_lo, v5, v7
	v_lshl_or_b32 v7, v6, 12, v4
	v_cndmask_b32_e64 v5, 0, 1, vcc_lo
	v_cmp_gt_i32_e32 vcc_lo, 1, v6
	s_delay_alu instid0(VALU_DEP_2) | instskip(NEXT) | instid1(VALU_DEP_1)
	v_or_b32_e32 v5, v8, v5
	v_cndmask_b32_e32 v5, v7, v5, vcc_lo
	s_delay_alu instid0(VALU_DEP_1) | instskip(NEXT) | instid1(VALU_DEP_1)
	v_dual_lshrrev_b32 v5, 2, v5 :: v_dual_bitop2_b32 v7, 7, v5 bitop3:0x40
	v_cmp_lt_i32_e32 vcc_lo, 5, v7
	v_cndmask_b32_e64 v8, 0, 1, vcc_lo
	v_cmp_eq_u32_e32 vcc_lo, 3, v7
	v_cndmask_b32_e64 v7, 0, 1, vcc_lo
	v_cmp_ne_u32_e32 vcc_lo, 0, v4
	s_delay_alu instid0(VALU_DEP_2) | instskip(NEXT) | instid1(VALU_DEP_1)
	v_or_b32_e32 v7, v7, v8
	v_dual_mov_b32 v8, 0x7e00 :: v_dual_add_nc_u32 v5, v5, v7
	s_delay_alu instid0(VALU_DEP_1) | instskip(SKIP_1) | instid1(VALU_DEP_3)
	v_cndmask_b32_e32 v4, 0x7c00, v8, vcc_lo
	v_cmp_gt_i32_e32 vcc_lo, 31, v6
	v_cndmask_b32_e32 v5, 0x7c00, v5, vcc_lo
	v_cmp_eq_u32_e32 vcc_lo, 0x40f, v6
	s_delay_alu instid0(VALU_DEP_2) | instskip(NEXT) | instid1(VALU_DEP_1)
	v_dual_cndmask_b32 v4, v5, v4 :: v_dual_lshrrev_b32 v5, 16, v43
	v_and_or_b32 v4, 0x8000, v5, v4
	global_store_b16 v[2:3], v4, off
.LBB11_846:
	s_mov_b32 s0, 0
.LBB11_847:
	s_delay_alu instid0(SALU_CYCLE_1)
	s_and_not1_b32 vcc_lo, exec_lo, s0
	s_cbranch_vccnz .LBB11_863
; %bb.848:
	s_cmp_lt_i32 s3, 2
	s_mov_b32 s0, -1
	s_cbranch_scc1 .LBB11_858
; %bb.849:
	s_cmp_lt_i32 s3, 3
	s_cbranch_scc1 .LBB11_855
; %bb.850:
	s_cmp_gt_i32 s3, 3
	s_cbranch_scc0 .LBB11_852
; %bb.851:
	s_wait_xcnt 0x0
	v_trunc_f64_e32 v[4:5], v[42:43]
	s_mov_b32 s0, 0
	s_delay_alu instid0(VALU_DEP_1) | instskip(NEXT) | instid1(VALU_DEP_1)
	v_ldexp_f64 v[6:7], v[4:5], 0xffffffe0
	v_floor_f64_e32 v[6:7], v[6:7]
	s_delay_alu instid0(VALU_DEP_1) | instskip(SKIP_1) | instid1(VALU_DEP_2)
	v_fmamk_f64 v[4:5], v[6:7], 0xc1f00000, v[4:5]
	v_cvt_i32_f64_e32 v7, v[6:7]
	v_cvt_u32_f64_e32 v6, v[4:5]
	global_store_b64 v[2:3], v[6:7], off
.LBB11_852:
	s_and_not1_b32 vcc_lo, exec_lo, s0
	s_cbranch_vccnz .LBB11_854
; %bb.853:
	s_wait_xcnt 0x0
	v_cvt_i32_f64_e32 v4, v[42:43]
	global_store_b32 v[2:3], v4, off
.LBB11_854:
	s_mov_b32 s0, 0
.LBB11_855:
	s_delay_alu instid0(SALU_CYCLE_1)
	s_and_not1_b32 vcc_lo, exec_lo, s0
	s_cbranch_vccnz .LBB11_857
; %bb.856:
	s_wait_xcnt 0x0
	v_cvt_i32_f64_e32 v4, v[42:43]
	global_store_b16 v[2:3], v4, off
.LBB11_857:
	s_mov_b32 s0, 0
.LBB11_858:
	s_delay_alu instid0(SALU_CYCLE_1)
	s_and_not1_b32 vcc_lo, exec_lo, s0
	s_cbranch_vccnz .LBB11_863
; %bb.859:
	s_cmp_gt_i32 s3, 0
	s_mov_b32 s0, -1
	s_cbranch_scc0 .LBB11_861
; %bb.860:
	s_wait_xcnt 0x0
	v_cvt_i32_f64_e32 v4, v[42:43]
	s_mov_b32 s0, 0
	global_store_b8 v[2:3], v4, off
.LBB11_861:
	s_and_not1_b32 vcc_lo, exec_lo, s0
	s_cbranch_vccnz .LBB11_863
; %bb.862:
	s_wait_xcnt 0x0
	v_trunc_f64_e32 v[4:5], v[42:43]
	s_delay_alu instid0(VALU_DEP_1) | instskip(NEXT) | instid1(VALU_DEP_1)
	v_ldexp_f64 v[6:7], v[4:5], 0xffffffe0
	v_floor_f64_e32 v[6:7], v[6:7]
	s_delay_alu instid0(VALU_DEP_1) | instskip(NEXT) | instid1(VALU_DEP_1)
	v_fmamk_f64 v[4:5], v[6:7], 0xc1f00000, v[4:5]
	v_cvt_u32_f64_e32 v4, v[4:5]
	global_store_b8 v[2:3], v4, off
.LBB11_863:
.LBB11_864:
	v_mov_b32_e32 v59, 0
	s_cmp_lt_i32 s3, 11
	s_wait_xcnt 0x0
	s_delay_alu instid0(VALU_DEP_1)
	v_add_nc_u64_e32 v[2:3], s[12:13], v[58:59]
	s_cbranch_scc1 .LBB11_1019
; %bb.865:
	s_mov_b32 s6, -1
	s_mov_b32 s4, 0
	s_cmp_gt_i32 s3, 25
	s_mov_b32 s5, 0
	s_mov_b32 s0, 0
	s_cbranch_scc0 .LBB11_898
; %bb.866:
	s_cmp_gt_i32 s3, 28
	s_cbranch_scc0 .LBB11_881
; %bb.867:
	s_cmp_gt_i32 s3, 43
	;; [unrolled: 3-line block ×3, first 2 shown]
	s_cbranch_scc0 .LBB11_871
; %bb.869:
	s_mov_b32 s0, -1
	s_mov_b32 s6, 0
	s_cmp_eq_u32 s3, 46
	s_cbranch_scc0 .LBB11_871
; %bb.870:
	v_cvt_f32_f64_e32 v4, v[40:41]
	s_mov_b32 s0, 0
	s_mov_b32 s5, -1
	s_delay_alu instid0(VALU_DEP_1) | instskip(SKIP_1) | instid1(VALU_DEP_2)
	v_bfe_u32 v5, v4, 16, 1
	v_cmp_o_f32_e32 vcc_lo, v4, v4
	v_add3_u32 v5, v4, v5, 0x7fff
	s_delay_alu instid0(VALU_DEP_1) | instskip(NEXT) | instid1(VALU_DEP_1)
	v_lshrrev_b32_e32 v5, 16, v5
	v_cndmask_b32_e32 v4, 0x7fc0, v5, vcc_lo
	global_store_b32 v[2:3], v4, off
.LBB11_871:
	s_and_b32 vcc_lo, exec_lo, s6
	s_cbranch_vccz .LBB11_876
; %bb.872:
	s_cmp_eq_u32 s3, 44
	s_mov_b32 s0, -1
	s_cbranch_scc0 .LBB11_876
; %bb.873:
	s_wait_xcnt 0x0
	v_cvt_f32_f64_e32 v4, v[40:41]
	v_mov_b32_e32 v5, 0xff
	s_mov_b32 s5, exec_lo
	s_delay_alu instid0(VALU_DEP_2) | instskip(NEXT) | instid1(VALU_DEP_1)
	v_bfe_u32 v6, v4, 23, 8
	v_cmpx_ne_u32_e32 0xff, v6
	s_cbranch_execz .LBB11_875
; %bb.874:
	v_and_b32_e32 v5, 0x400000, v4
	v_and_or_b32 v6, 0x3fffff, v4, v6
	v_lshrrev_b32_e32 v4, 23, v4
	s_delay_alu instid0(VALU_DEP_3) | instskip(NEXT) | instid1(VALU_DEP_3)
	v_cmp_ne_u32_e32 vcc_lo, 0, v5
	v_cmp_ne_u32_e64 s0, 0, v6
	s_and_b32 s0, vcc_lo, s0
	s_delay_alu instid0(SALU_CYCLE_1) | instskip(NEXT) | instid1(VALU_DEP_1)
	v_cndmask_b32_e64 v5, 0, 1, s0
	v_add_nc_u32_e32 v5, v4, v5
.LBB11_875:
	s_or_b32 exec_lo, exec_lo, s5
	s_mov_b32 s0, 0
	s_mov_b32 s5, -1
	global_store_b8 v[2:3], v5, off
.LBB11_876:
	s_mov_b32 s6, 0
.LBB11_877:
	s_delay_alu instid0(SALU_CYCLE_1)
	s_and_b32 vcc_lo, exec_lo, s6
	s_cbranch_vccz .LBB11_880
; %bb.878:
	s_cmp_eq_u32 s3, 29
	s_mov_b32 s0, -1
	s_cbranch_scc0 .LBB11_880
; %bb.879:
	s_wait_xcnt 0x0
	v_trunc_f64_e32 v[4:5], v[40:41]
	s_mov_b32 s0, 0
	s_mov_b32 s5, -1
	s_delay_alu instid0(VALU_DEP_1) | instskip(NEXT) | instid1(VALU_DEP_1)
	v_ldexp_f64 v[6:7], v[4:5], 0xffffffe0
	v_floor_f64_e32 v[6:7], v[6:7]
	s_delay_alu instid0(VALU_DEP_1) | instskip(SKIP_1) | instid1(VALU_DEP_2)
	v_fmamk_f64 v[4:5], v[6:7], 0xc1f00000, v[4:5]
	v_cvt_u32_f64_e32 v7, v[6:7]
	v_cvt_u32_f64_e32 v6, v[4:5]
	global_store_b64 v[2:3], v[6:7], off
.LBB11_880:
	s_mov_b32 s6, 0
.LBB11_881:
	s_delay_alu instid0(SALU_CYCLE_1)
	s_and_b32 vcc_lo, exec_lo, s6
	s_cbranch_vccz .LBB11_897
; %bb.882:
	s_cmp_lt_i32 s3, 27
	s_mov_b32 s5, -1
	s_cbranch_scc1 .LBB11_888
; %bb.883:
	s_wait_xcnt 0x0
	v_cvt_u32_f64_e32 v4, v[40:41]
	s_cmp_gt_i32 s3, 27
	s_cbranch_scc0 .LBB11_885
; %bb.884:
	s_mov_b32 s5, 0
	global_store_b32 v[2:3], v4, off
.LBB11_885:
	s_and_not1_b32 vcc_lo, exec_lo, s5
	s_cbranch_vccnz .LBB11_887
; %bb.886:
	global_store_b16 v[2:3], v4, off
.LBB11_887:
	s_mov_b32 s5, 0
.LBB11_888:
	s_delay_alu instid0(SALU_CYCLE_1)
	s_and_not1_b32 vcc_lo, exec_lo, s5
	s_cbranch_vccnz .LBB11_896
; %bb.889:
	s_wait_xcnt 0x0
	v_cvt_f32_f64_e32 v4, v[40:41]
	v_mov_b32_e32 v6, 0x80
	s_mov_b32 s5, exec_lo
	s_delay_alu instid0(VALU_DEP_2) | instskip(NEXT) | instid1(VALU_DEP_1)
	v_and_b32_e32 v5, 0x7fffffff, v4
	v_cmpx_gt_u32_e32 0x43800000, v5
	s_cbranch_execz .LBB11_895
; %bb.890:
	v_cmp_lt_u32_e32 vcc_lo, 0x3bffffff, v5
	s_mov_b32 s6, 0
                                        ; implicit-def: $vgpr5
	s_and_saveexec_b32 s7, vcc_lo
	s_delay_alu instid0(SALU_CYCLE_1)
	s_xor_b32 s7, exec_lo, s7
	s_cbranch_execz .LBB11_1114
; %bb.891:
	v_bfe_u32 v5, v4, 20, 1
	s_mov_b32 s6, exec_lo
	s_delay_alu instid0(VALU_DEP_1) | instskip(NEXT) | instid1(VALU_DEP_1)
	v_add3_u32 v5, v4, v5, 0x487ffff
	v_lshrrev_b32_e32 v5, 20, v5
	s_and_not1_saveexec_b32 s7, s7
	s_cbranch_execnz .LBB11_1115
.LBB11_892:
	s_or_b32 exec_lo, exec_lo, s7
	v_mov_b32_e32 v6, 0
	s_and_saveexec_b32 s7, s6
.LBB11_893:
	v_lshrrev_b32_e32 v4, 24, v4
	s_delay_alu instid0(VALU_DEP_1)
	v_and_or_b32 v6, 0x80, v4, v5
.LBB11_894:
	s_or_b32 exec_lo, exec_lo, s7
.LBB11_895:
	s_delay_alu instid0(SALU_CYCLE_1)
	s_or_b32 exec_lo, exec_lo, s5
	global_store_b8 v[2:3], v6, off
.LBB11_896:
	s_mov_b32 s5, -1
.LBB11_897:
	s_mov_b32 s6, 0
.LBB11_898:
	s_delay_alu instid0(SALU_CYCLE_1)
	s_and_b32 vcc_lo, exec_lo, s6
	s_cbranch_vccz .LBB11_938
; %bb.899:
	s_cmp_gt_i32 s3, 22
	s_mov_b32 s4, -1
	s_cbranch_scc0 .LBB11_931
; %bb.900:
	s_cmp_lt_i32 s3, 24
	s_cbranch_scc1 .LBB11_920
; %bb.901:
	s_cmp_gt_i32 s3, 24
	s_cbranch_scc0 .LBB11_909
; %bb.902:
	s_wait_xcnt 0x0
	v_cvt_f32_f64_e32 v4, v[40:41]
	v_mov_b32_e32 v6, 0x80
	s_mov_b32 s4, exec_lo
	s_delay_alu instid0(VALU_DEP_2) | instskip(NEXT) | instid1(VALU_DEP_1)
	v_and_b32_e32 v5, 0x7fffffff, v4
	v_cmpx_gt_u32_e32 0x47800000, v5
	s_cbranch_execz .LBB11_908
; %bb.903:
	v_cmp_lt_u32_e32 vcc_lo, 0x37ffffff, v5
	s_mov_b32 s5, 0
                                        ; implicit-def: $vgpr5
	s_and_saveexec_b32 s6, vcc_lo
	s_delay_alu instid0(SALU_CYCLE_1)
	s_xor_b32 s6, exec_lo, s6
	s_cbranch_execz .LBB11_1117
; %bb.904:
	v_bfe_u32 v5, v4, 21, 1
	s_mov_b32 s5, exec_lo
	s_delay_alu instid0(VALU_DEP_1) | instskip(NEXT) | instid1(VALU_DEP_1)
	v_add3_u32 v5, v4, v5, 0x88fffff
	v_lshrrev_b32_e32 v5, 21, v5
	s_and_not1_saveexec_b32 s6, s6
	s_cbranch_execnz .LBB11_1118
.LBB11_905:
	s_or_b32 exec_lo, exec_lo, s6
	v_mov_b32_e32 v6, 0
	s_and_saveexec_b32 s6, s5
.LBB11_906:
	v_lshrrev_b32_e32 v4, 24, v4
	s_delay_alu instid0(VALU_DEP_1)
	v_and_or_b32 v6, 0x80, v4, v5
.LBB11_907:
	s_or_b32 exec_lo, exec_lo, s6
.LBB11_908:
	s_delay_alu instid0(SALU_CYCLE_1)
	s_or_b32 exec_lo, exec_lo, s4
	s_mov_b32 s4, 0
	global_store_b8 v[2:3], v6, off
.LBB11_909:
	s_and_b32 vcc_lo, exec_lo, s4
	s_cbranch_vccz .LBB11_919
; %bb.910:
	s_wait_xcnt 0x0
	v_cvt_f32_f64_e32 v4, v[40:41]
	s_mov_b32 s4, exec_lo
                                        ; implicit-def: $vgpr5
	s_delay_alu instid0(VALU_DEP_1) | instskip(NEXT) | instid1(VALU_DEP_1)
	v_and_b32_e32 v6, 0x7fffffff, v4
	v_cmpx_gt_u32_e32 0x43f00000, v6
	s_xor_b32 s4, exec_lo, s4
	s_cbranch_execz .LBB11_916
; %bb.911:
	s_mov_b32 s5, exec_lo
                                        ; implicit-def: $vgpr5
	v_cmpx_lt_u32_e32 0x3c7fffff, v6
	s_xor_b32 s5, exec_lo, s5
; %bb.912:
	v_bfe_u32 v5, v4, 20, 1
	s_delay_alu instid0(VALU_DEP_1) | instskip(NEXT) | instid1(VALU_DEP_1)
	v_add3_u32 v5, v4, v5, 0x407ffff
	v_and_b32_e32 v6, 0xff00000, v5
	v_lshrrev_b32_e32 v5, 20, v5
	s_delay_alu instid0(VALU_DEP_2) | instskip(NEXT) | instid1(VALU_DEP_2)
	v_cmp_ne_u32_e32 vcc_lo, 0x7f00000, v6
	v_cndmask_b32_e32 v5, 0x7e, v5, vcc_lo
; %bb.913:
	s_and_not1_saveexec_b32 s5, s5
; %bb.914:
	v_add_f32_e64 v5, 0x46800000, |v4|
; %bb.915:
	s_or_b32 exec_lo, exec_lo, s5
                                        ; implicit-def: $vgpr6
.LBB11_916:
	s_and_not1_saveexec_b32 s4, s4
; %bb.917:
	v_mov_b32_e32 v5, 0x7f
	v_cmp_lt_u32_e32 vcc_lo, 0x7f800000, v6
	s_delay_alu instid0(VALU_DEP_2)
	v_cndmask_b32_e32 v5, 0x7e, v5, vcc_lo
; %bb.918:
	s_or_b32 exec_lo, exec_lo, s4
	v_lshrrev_b32_e32 v4, 24, v4
	s_delay_alu instid0(VALU_DEP_1)
	v_and_or_b32 v4, 0x80, v4, v5
	global_store_b8 v[2:3], v4, off
.LBB11_919:
	s_mov_b32 s4, 0
.LBB11_920:
	s_delay_alu instid0(SALU_CYCLE_1)
	s_and_not1_b32 vcc_lo, exec_lo, s4
	s_cbranch_vccnz .LBB11_930
; %bb.921:
	s_wait_xcnt 0x0
	v_cvt_f32_f64_e32 v4, v[40:41]
	s_mov_b32 s4, exec_lo
                                        ; implicit-def: $vgpr5
	s_delay_alu instid0(VALU_DEP_1) | instskip(NEXT) | instid1(VALU_DEP_1)
	v_and_b32_e32 v6, 0x7fffffff, v4
	v_cmpx_gt_u32_e32 0x47800000, v6
	s_xor_b32 s4, exec_lo, s4
	s_cbranch_execz .LBB11_927
; %bb.922:
	s_mov_b32 s5, exec_lo
                                        ; implicit-def: $vgpr5
	v_cmpx_lt_u32_e32 0x387fffff, v6
	s_xor_b32 s5, exec_lo, s5
; %bb.923:
	v_bfe_u32 v5, v4, 21, 1
	s_delay_alu instid0(VALU_DEP_1) | instskip(NEXT) | instid1(VALU_DEP_1)
	v_add3_u32 v5, v4, v5, 0x80fffff
	v_lshrrev_b32_e32 v5, 21, v5
; %bb.924:
	s_and_not1_saveexec_b32 s5, s5
; %bb.925:
	v_add_f32_e64 v5, 0x43000000, |v4|
; %bb.926:
	s_or_b32 exec_lo, exec_lo, s5
                                        ; implicit-def: $vgpr6
.LBB11_927:
	s_and_not1_saveexec_b32 s4, s4
; %bb.928:
	v_mov_b32_e32 v5, 0x7f
	v_cmp_lt_u32_e32 vcc_lo, 0x7f800000, v6
	s_delay_alu instid0(VALU_DEP_2)
	v_cndmask_b32_e32 v5, 0x7c, v5, vcc_lo
; %bb.929:
	s_or_b32 exec_lo, exec_lo, s4
	v_lshrrev_b32_e32 v4, 24, v4
	s_delay_alu instid0(VALU_DEP_1)
	v_and_or_b32 v4, 0x80, v4, v5
	global_store_b8 v[2:3], v4, off
.LBB11_930:
	s_mov_b32 s4, 0
	s_mov_b32 s5, -1
.LBB11_931:
	s_and_not1_b32 vcc_lo, exec_lo, s4
	s_mov_b32 s4, 0
	s_cbranch_vccnz .LBB11_938
; %bb.932:
	s_cmp_gt_i32 s3, 14
	s_mov_b32 s4, -1
	s_cbranch_scc0 .LBB11_936
; %bb.933:
	s_cmp_eq_u32 s3, 15
	s_mov_b32 s0, -1
	s_cbranch_scc0 .LBB11_935
; %bb.934:
	s_wait_xcnt 0x0
	v_cvt_f32_f64_e32 v4, v[40:41]
	s_mov_b32 s0, 0
	s_mov_b32 s5, -1
	s_delay_alu instid0(VALU_DEP_1) | instskip(SKIP_1) | instid1(VALU_DEP_2)
	v_bfe_u32 v5, v4, 16, 1
	v_cmp_o_f32_e32 vcc_lo, v4, v4
	v_add3_u32 v5, v4, v5, 0x7fff
	s_delay_alu instid0(VALU_DEP_1) | instskip(NEXT) | instid1(VALU_DEP_1)
	v_lshrrev_b32_e32 v5, 16, v5
	v_cndmask_b32_e32 v4, 0x7fc0, v5, vcc_lo
	global_store_b16 v[2:3], v4, off
.LBB11_935:
	s_mov_b32 s4, 0
.LBB11_936:
	s_delay_alu instid0(SALU_CYCLE_1)
	s_and_b32 vcc_lo, exec_lo, s4
	s_mov_b32 s4, 0
	s_cbranch_vccz .LBB11_938
; %bb.937:
	s_cmp_lg_u32 s3, 11
	s_mov_b32 s4, -1
	s_cselect_b32 s0, -1, 0
.LBB11_938:
	s_delay_alu instid0(SALU_CYCLE_1)
	s_and_b32 vcc_lo, exec_lo, s0
	s_cbranch_vccnz .LBB11_1116
; %bb.939:
	s_and_not1_b32 vcc_lo, exec_lo, s4
	s_cbranch_vccnz .LBB11_941
.LBB11_940:
	v_cmp_neq_f64_e32 vcc_lo, 0, v[40:41]
	s_mov_b32 s5, -1
	s_wait_xcnt 0x0
	v_cndmask_b32_e64 v4, 0, 1, vcc_lo
	global_store_b8 v[2:3], v4, off
.LBB11_941:
.LBB11_942:
	s_and_not1_b32 vcc_lo, exec_lo, s5
	s_cbranch_vccnz .LBB11_1058
.LBB11_943:
	v_mov_b32_e32 v57, 0
	s_cmp_lt_i32 s3, 11
	s_wait_xcnt 0x0
	s_delay_alu instid0(VALU_DEP_1)
	v_add_nc_u64_e32 v[4:5], s[12:13], v[56:57]
	s_cbranch_scc1 .LBB11_1103
; %bb.944:
	s_mov_b32 s5, -1
	s_mov_b32 s4, 0
	s_cmp_gt_i32 s3, 25
	s_mov_b32 s0, 0
	s_cbranch_scc0 .LBB11_977
; %bb.945:
	s_cmp_gt_i32 s3, 28
	s_cbranch_scc0 .LBB11_961
; %bb.946:
	s_cmp_gt_i32 s3, 43
	;; [unrolled: 3-line block ×3, first 2 shown]
	s_cbranch_scc0 .LBB11_951
; %bb.948:
	s_cmp_eq_u32 s3, 46
	s_mov_b32 s0, -1
	s_cbranch_scc0 .LBB11_950
; %bb.949:
	v_cvt_f32_f64_e32 v2, v[0:1]
	s_mov_b32 s0, 0
	s_delay_alu instid0(VALU_DEP_1) | instskip(SKIP_1) | instid1(VALU_DEP_2)
	v_bfe_u32 v3, v2, 16, 1
	v_cmp_o_f32_e32 vcc_lo, v2, v2
	v_add3_u32 v3, v2, v3, 0x7fff
	s_delay_alu instid0(VALU_DEP_1) | instskip(NEXT) | instid1(VALU_DEP_1)
	v_lshrrev_b32_e32 v3, 16, v3
	v_cndmask_b32_e32 v2, 0x7fc0, v3, vcc_lo
	global_store_b32 v[4:5], v2, off
.LBB11_950:
	s_mov_b32 s5, 0
.LBB11_951:
	s_delay_alu instid0(SALU_CYCLE_1)
	s_and_b32 vcc_lo, exec_lo, s5
	s_cbranch_vccz .LBB11_956
; %bb.952:
	s_cmp_eq_u32 s3, 44
	s_mov_b32 s0, -1
	s_cbranch_scc0 .LBB11_956
; %bb.953:
	s_wait_xcnt 0x0
	v_cvt_f32_f64_e32 v2, v[0:1]
	v_mov_b32_e32 v3, 0xff
	s_mov_b32 s5, exec_lo
	s_delay_alu instid0(VALU_DEP_2) | instskip(NEXT) | instid1(VALU_DEP_1)
	v_bfe_u32 v6, v2, 23, 8
	v_cmpx_ne_u32_e32 0xff, v6
	s_cbranch_execz .LBB11_955
; %bb.954:
	v_and_b32_e32 v3, 0x400000, v2
	v_and_or_b32 v6, 0x3fffff, v2, v6
	v_lshrrev_b32_e32 v2, 23, v2
	s_delay_alu instid0(VALU_DEP_3) | instskip(NEXT) | instid1(VALU_DEP_3)
	v_cmp_ne_u32_e32 vcc_lo, 0, v3
	v_cmp_ne_u32_e64 s0, 0, v6
	s_and_b32 s0, vcc_lo, s0
	s_delay_alu instid0(SALU_CYCLE_1) | instskip(NEXT) | instid1(VALU_DEP_1)
	v_cndmask_b32_e64 v3, 0, 1, s0
	v_add_nc_u32_e32 v3, v2, v3
.LBB11_955:
	s_or_b32 exec_lo, exec_lo, s5
	s_mov_b32 s0, 0
	global_store_b8 v[4:5], v3, off
.LBB11_956:
	s_mov_b32 s5, 0
.LBB11_957:
	s_delay_alu instid0(SALU_CYCLE_1)
	s_and_b32 vcc_lo, exec_lo, s5
	s_cbranch_vccz .LBB11_960
; %bb.958:
	s_cmp_eq_u32 s3, 29
	s_mov_b32 s0, -1
	s_cbranch_scc0 .LBB11_960
; %bb.959:
	s_wait_xcnt 0x0
	v_trunc_f64_e32 v[2:3], v[0:1]
	s_mov_b32 s0, 0
	s_delay_alu instid0(VALU_DEP_1) | instskip(NEXT) | instid1(VALU_DEP_1)
	v_ldexp_f64 v[6:7], v[2:3], 0xffffffe0
	v_floor_f64_e32 v[6:7], v[6:7]
	s_delay_alu instid0(VALU_DEP_1) | instskip(SKIP_1) | instid1(VALU_DEP_2)
	v_fmamk_f64 v[2:3], v[6:7], 0xc1f00000, v[2:3]
	v_cvt_u32_f64_e32 v7, v[6:7]
	v_cvt_u32_f64_e32 v6, v[2:3]
	global_store_b64 v[4:5], v[6:7], off
.LBB11_960:
	s_mov_b32 s5, 0
.LBB11_961:
	s_delay_alu instid0(SALU_CYCLE_1)
	s_and_b32 vcc_lo, exec_lo, s5
	s_cbranch_vccz .LBB11_976
; %bb.962:
	s_cmp_lt_i32 s3, 27
	s_mov_b32 s5, -1
	s_cbranch_scc1 .LBB11_968
; %bb.963:
	s_wait_xcnt 0x0
	v_cvt_u32_f64_e32 v2, v[0:1]
	s_cmp_gt_i32 s3, 27
	s_cbranch_scc0 .LBB11_965
; %bb.964:
	s_mov_b32 s5, 0
	global_store_b32 v[4:5], v2, off
.LBB11_965:
	s_and_not1_b32 vcc_lo, exec_lo, s5
	s_cbranch_vccnz .LBB11_967
; %bb.966:
	global_store_b16 v[4:5], v2, off
.LBB11_967:
	s_mov_b32 s5, 0
.LBB11_968:
	s_delay_alu instid0(SALU_CYCLE_1)
	s_and_not1_b32 vcc_lo, exec_lo, s5
	s_cbranch_vccnz .LBB11_976
; %bb.969:
	s_wait_xcnt 0x0
	v_cvt_f32_f64_e32 v2, v[0:1]
	v_mov_b32_e32 v6, 0x80
	s_mov_b32 s5, exec_lo
	s_delay_alu instid0(VALU_DEP_2) | instskip(NEXT) | instid1(VALU_DEP_1)
	v_and_b32_e32 v3, 0x7fffffff, v2
	v_cmpx_gt_u32_e32 0x43800000, v3
	s_cbranch_execz .LBB11_975
; %bb.970:
	v_cmp_lt_u32_e32 vcc_lo, 0x3bffffff, v3
	s_mov_b32 s6, 0
                                        ; implicit-def: $vgpr3
	s_and_saveexec_b32 s7, vcc_lo
	s_delay_alu instid0(SALU_CYCLE_1)
	s_xor_b32 s7, exec_lo, s7
	s_cbranch_execz .LBB11_1119
; %bb.971:
	v_bfe_u32 v3, v2, 20, 1
	s_mov_b32 s6, exec_lo
	s_delay_alu instid0(VALU_DEP_1) | instskip(NEXT) | instid1(VALU_DEP_1)
	v_add3_u32 v3, v2, v3, 0x487ffff
	v_lshrrev_b32_e32 v3, 20, v3
	s_and_not1_saveexec_b32 s7, s7
	s_cbranch_execnz .LBB11_1120
.LBB11_972:
	s_or_b32 exec_lo, exec_lo, s7
	v_mov_b32_e32 v6, 0
	s_and_saveexec_b32 s7, s6
.LBB11_973:
	v_lshrrev_b32_e32 v2, 24, v2
	s_delay_alu instid0(VALU_DEP_1)
	v_and_or_b32 v6, 0x80, v2, v3
.LBB11_974:
	s_or_b32 exec_lo, exec_lo, s7
.LBB11_975:
	s_delay_alu instid0(SALU_CYCLE_1)
	s_or_b32 exec_lo, exec_lo, s5
	global_store_b8 v[4:5], v6, off
.LBB11_976:
	s_mov_b32 s5, 0
.LBB11_977:
	s_delay_alu instid0(SALU_CYCLE_1)
	s_and_b32 vcc_lo, exec_lo, s5
	s_cbranch_vccz .LBB11_1017
; %bb.978:
	s_cmp_gt_i32 s3, 22
	s_mov_b32 s4, -1
	s_cbranch_scc0 .LBB11_1010
; %bb.979:
	s_cmp_lt_i32 s3, 24
	s_cbranch_scc1 .LBB11_999
; %bb.980:
	s_cmp_gt_i32 s3, 24
	s_cbranch_scc0 .LBB11_988
; %bb.981:
	s_wait_xcnt 0x0
	v_cvt_f32_f64_e32 v2, v[0:1]
	v_mov_b32_e32 v6, 0x80
	s_mov_b32 s4, exec_lo
	s_delay_alu instid0(VALU_DEP_2) | instskip(NEXT) | instid1(VALU_DEP_1)
	v_and_b32_e32 v3, 0x7fffffff, v2
	v_cmpx_gt_u32_e32 0x47800000, v3
	s_cbranch_execz .LBB11_987
; %bb.982:
	v_cmp_lt_u32_e32 vcc_lo, 0x37ffffff, v3
	s_mov_b32 s5, 0
                                        ; implicit-def: $vgpr3
	s_and_saveexec_b32 s6, vcc_lo
	s_delay_alu instid0(SALU_CYCLE_1)
	s_xor_b32 s6, exec_lo, s6
	s_cbranch_execz .LBB11_1124
; %bb.983:
	v_bfe_u32 v3, v2, 21, 1
	s_mov_b32 s5, exec_lo
	s_delay_alu instid0(VALU_DEP_1) | instskip(NEXT) | instid1(VALU_DEP_1)
	v_add3_u32 v3, v2, v3, 0x88fffff
	v_lshrrev_b32_e32 v3, 21, v3
	s_and_not1_saveexec_b32 s6, s6
	s_cbranch_execnz .LBB11_1125
.LBB11_984:
	s_or_b32 exec_lo, exec_lo, s6
	v_mov_b32_e32 v6, 0
	s_and_saveexec_b32 s6, s5
.LBB11_985:
	v_lshrrev_b32_e32 v2, 24, v2
	s_delay_alu instid0(VALU_DEP_1)
	v_and_or_b32 v6, 0x80, v2, v3
.LBB11_986:
	s_or_b32 exec_lo, exec_lo, s6
.LBB11_987:
	s_delay_alu instid0(SALU_CYCLE_1)
	s_or_b32 exec_lo, exec_lo, s4
	s_mov_b32 s4, 0
	global_store_b8 v[4:5], v6, off
.LBB11_988:
	s_and_b32 vcc_lo, exec_lo, s4
	s_cbranch_vccz .LBB11_998
; %bb.989:
	s_wait_xcnt 0x0
	v_cvt_f32_f64_e32 v2, v[0:1]
	s_mov_b32 s4, exec_lo
                                        ; implicit-def: $vgpr3
	s_delay_alu instid0(VALU_DEP_1) | instskip(NEXT) | instid1(VALU_DEP_1)
	v_and_b32_e32 v6, 0x7fffffff, v2
	v_cmpx_gt_u32_e32 0x43f00000, v6
	s_xor_b32 s4, exec_lo, s4
	s_cbranch_execz .LBB11_995
; %bb.990:
	s_mov_b32 s5, exec_lo
                                        ; implicit-def: $vgpr3
	v_cmpx_lt_u32_e32 0x3c7fffff, v6
	s_xor_b32 s5, exec_lo, s5
; %bb.991:
	v_bfe_u32 v3, v2, 20, 1
	s_delay_alu instid0(VALU_DEP_1) | instskip(NEXT) | instid1(VALU_DEP_1)
	v_add3_u32 v3, v2, v3, 0x407ffff
	v_and_b32_e32 v6, 0xff00000, v3
	v_lshrrev_b32_e32 v3, 20, v3
	s_delay_alu instid0(VALU_DEP_2) | instskip(NEXT) | instid1(VALU_DEP_2)
	v_cmp_ne_u32_e32 vcc_lo, 0x7f00000, v6
	v_cndmask_b32_e32 v3, 0x7e, v3, vcc_lo
; %bb.992:
	s_and_not1_saveexec_b32 s5, s5
; %bb.993:
	v_add_f32_e64 v3, 0x46800000, |v2|
; %bb.994:
	s_or_b32 exec_lo, exec_lo, s5
                                        ; implicit-def: $vgpr6
.LBB11_995:
	s_and_not1_saveexec_b32 s4, s4
; %bb.996:
	v_mov_b32_e32 v3, 0x7f
	v_cmp_lt_u32_e32 vcc_lo, 0x7f800000, v6
	s_delay_alu instid0(VALU_DEP_2)
	v_cndmask_b32_e32 v3, 0x7e, v3, vcc_lo
; %bb.997:
	s_or_b32 exec_lo, exec_lo, s4
	v_lshrrev_b32_e32 v2, 24, v2
	s_delay_alu instid0(VALU_DEP_1)
	v_and_or_b32 v2, 0x80, v2, v3
	global_store_b8 v[4:5], v2, off
.LBB11_998:
	s_mov_b32 s4, 0
.LBB11_999:
	s_delay_alu instid0(SALU_CYCLE_1)
	s_and_not1_b32 vcc_lo, exec_lo, s4
	s_cbranch_vccnz .LBB11_1009
; %bb.1000:
	s_wait_xcnt 0x0
	v_cvt_f32_f64_e32 v2, v[0:1]
	s_mov_b32 s4, exec_lo
                                        ; implicit-def: $vgpr3
	s_delay_alu instid0(VALU_DEP_1) | instskip(NEXT) | instid1(VALU_DEP_1)
	v_and_b32_e32 v6, 0x7fffffff, v2
	v_cmpx_gt_u32_e32 0x47800000, v6
	s_xor_b32 s4, exec_lo, s4
	s_cbranch_execz .LBB11_1006
; %bb.1001:
	s_mov_b32 s5, exec_lo
                                        ; implicit-def: $vgpr3
	v_cmpx_lt_u32_e32 0x387fffff, v6
	s_xor_b32 s5, exec_lo, s5
; %bb.1002:
	v_bfe_u32 v3, v2, 21, 1
	s_delay_alu instid0(VALU_DEP_1) | instskip(NEXT) | instid1(VALU_DEP_1)
	v_add3_u32 v3, v2, v3, 0x80fffff
	v_lshrrev_b32_e32 v3, 21, v3
; %bb.1003:
	s_and_not1_saveexec_b32 s5, s5
; %bb.1004:
	v_add_f32_e64 v3, 0x43000000, |v2|
; %bb.1005:
	s_or_b32 exec_lo, exec_lo, s5
                                        ; implicit-def: $vgpr6
.LBB11_1006:
	s_and_not1_saveexec_b32 s4, s4
; %bb.1007:
	v_mov_b32_e32 v3, 0x7f
	v_cmp_lt_u32_e32 vcc_lo, 0x7f800000, v6
	s_delay_alu instid0(VALU_DEP_2)
	v_cndmask_b32_e32 v3, 0x7c, v3, vcc_lo
; %bb.1008:
	s_or_b32 exec_lo, exec_lo, s4
	v_lshrrev_b32_e32 v2, 24, v2
	s_delay_alu instid0(VALU_DEP_1)
	v_and_or_b32 v2, 0x80, v2, v3
	global_store_b8 v[4:5], v2, off
.LBB11_1009:
	s_mov_b32 s4, 0
.LBB11_1010:
	s_delay_alu instid0(SALU_CYCLE_1)
	s_and_not1_b32 vcc_lo, exec_lo, s4
	s_mov_b32 s4, 0
	s_cbranch_vccnz .LBB11_1017
; %bb.1011:
	s_cmp_gt_i32 s3, 14
	s_mov_b32 s4, -1
	s_cbranch_scc0 .LBB11_1015
; %bb.1012:
	s_cmp_eq_u32 s3, 15
	s_mov_b32 s0, -1
	s_cbranch_scc0 .LBB11_1014
; %bb.1013:
	s_wait_xcnt 0x0
	v_cvt_f32_f64_e32 v2, v[0:1]
	s_mov_b32 s0, 0
	s_delay_alu instid0(VALU_DEP_1) | instskip(SKIP_1) | instid1(VALU_DEP_2)
	v_bfe_u32 v3, v2, 16, 1
	v_cmp_o_f32_e32 vcc_lo, v2, v2
	v_add3_u32 v3, v2, v3, 0x7fff
	s_delay_alu instid0(VALU_DEP_1) | instskip(NEXT) | instid1(VALU_DEP_1)
	v_lshrrev_b32_e32 v3, 16, v3
	v_cndmask_b32_e32 v2, 0x7fc0, v3, vcc_lo
	global_store_b16 v[4:5], v2, off
.LBB11_1014:
	s_mov_b32 s4, 0
.LBB11_1015:
	s_delay_alu instid0(SALU_CYCLE_1)
	s_and_b32 vcc_lo, exec_lo, s4
	s_mov_b32 s4, 0
	s_cbranch_vccz .LBB11_1017
; %bb.1016:
	s_cmp_lg_u32 s3, 11
	s_mov_b32 s4, -1
	s_cselect_b32 s0, -1, 0
.LBB11_1017:
	s_delay_alu instid0(SALU_CYCLE_1)
	s_and_b32 vcc_lo, exec_lo, s0
	s_cbranch_vccnz .LBB11_1121
.LBB11_1018:
	s_mov_b32 s0, 0
	s_branch .LBB11_1059
.LBB11_1019:
	s_mov_b32 s5, 0
	s_cbranch_execz .LBB11_942
; %bb.1020:
	s_cmp_lt_i32 s3, 5
	s_mov_b32 s0, -1
	s_cbranch_scc1 .LBB11_1041
; %bb.1021:
	s_cmp_lt_i32 s3, 8
	s_cbranch_scc1 .LBB11_1031
; %bb.1022:
	s_cmp_lt_i32 s3, 9
	s_cbranch_scc1 .LBB11_1028
; %bb.1023:
	s_cmp_gt_i32 s3, 9
	s_cbranch_scc0 .LBB11_1025
; %bb.1024:
	v_mov_b32_e32 v42, 0
	s_mov_b32 s0, 0
	s_delay_alu instid0(VALU_DEP_1)
	v_mov_b32_e32 v43, v42
	global_store_b128 v[2:3], v[40:43], off
.LBB11_1025:
	s_and_not1_b32 vcc_lo, exec_lo, s0
	s_cbranch_vccnz .LBB11_1027
; %bb.1026:
	s_wait_xcnt 0x0
	v_cvt_f32_f64_e32 v4, v[40:41]
	v_mov_b32_e32 v5, 0
	global_store_b64 v[2:3], v[4:5], off
.LBB11_1027:
	s_mov_b32 s0, 0
.LBB11_1028:
	s_delay_alu instid0(SALU_CYCLE_1)
	s_and_not1_b32 vcc_lo, exec_lo, s0
	s_cbranch_vccnz .LBB11_1030
; %bb.1029:
	s_wait_xcnt 0x0
	v_and_or_b32 v4, 0x1ff, v41, v40
	v_lshrrev_b32_e32 v5, 8, v41
	v_bfe_u32 v6, v41, 20, 11
	s_delay_alu instid0(VALU_DEP_3) | instskip(NEXT) | instid1(VALU_DEP_2)
	v_cmp_ne_u32_e32 vcc_lo, 0, v4
	v_sub_nc_u32_e32 v7, 0x3f1, v6
	v_add_nc_u32_e32 v6, 0xfffffc10, v6
	v_cndmask_b32_e64 v4, 0, 1, vcc_lo
	s_delay_alu instid0(VALU_DEP_1) | instskip(NEXT) | instid1(VALU_DEP_4)
	v_and_or_b32 v4, 0xffe, v5, v4
	v_med3_i32 v5, v7, 0, 13
	s_delay_alu instid0(VALU_DEP_2) | instskip(NEXT) | instid1(VALU_DEP_1)
	v_or_b32_e32 v7, 0x1000, v4
	v_lshrrev_b32_e32 v8, v5, v7
	s_delay_alu instid0(VALU_DEP_1) | instskip(NEXT) | instid1(VALU_DEP_1)
	v_lshlrev_b32_e32 v5, v5, v8
	v_cmp_ne_u32_e32 vcc_lo, v5, v7
	v_lshl_or_b32 v7, v6, 12, v4
	v_cndmask_b32_e64 v5, 0, 1, vcc_lo
	v_cmp_gt_i32_e32 vcc_lo, 1, v6
	s_delay_alu instid0(VALU_DEP_2) | instskip(NEXT) | instid1(VALU_DEP_1)
	v_or_b32_e32 v5, v8, v5
	v_cndmask_b32_e32 v5, v7, v5, vcc_lo
	s_delay_alu instid0(VALU_DEP_1) | instskip(NEXT) | instid1(VALU_DEP_1)
	v_dual_lshrrev_b32 v5, 2, v5 :: v_dual_bitop2_b32 v7, 7, v5 bitop3:0x40
	v_cmp_lt_i32_e32 vcc_lo, 5, v7
	v_cndmask_b32_e64 v8, 0, 1, vcc_lo
	v_cmp_eq_u32_e32 vcc_lo, 3, v7
	v_cndmask_b32_e64 v7, 0, 1, vcc_lo
	v_cmp_ne_u32_e32 vcc_lo, 0, v4
	s_delay_alu instid0(VALU_DEP_2) | instskip(NEXT) | instid1(VALU_DEP_1)
	v_or_b32_e32 v7, v7, v8
	v_dual_mov_b32 v8, 0x7e00 :: v_dual_add_nc_u32 v5, v5, v7
	s_delay_alu instid0(VALU_DEP_1) | instskip(SKIP_2) | instid1(VALU_DEP_4)
	v_cndmask_b32_e32 v4, 0x7c00, v8, vcc_lo
	v_cmp_gt_i32_e32 vcc_lo, 31, v6
	v_lshrrev_b32_e32 v7, 16, v41
	v_cndmask_b32_e32 v5, 0x7c00, v5, vcc_lo
	v_cmp_eq_u32_e32 vcc_lo, 0x40f, v6
	s_delay_alu instid0(VALU_DEP_2) | instskip(NEXT) | instid1(VALU_DEP_4)
	v_cndmask_b32_e32 v4, v5, v4, vcc_lo
	v_and_b32_e32 v5, 0x8000, v7
	s_delay_alu instid0(VALU_DEP_1)
	v_bitop3_b32 v4, v5, 0xffff, v4 bitop3:0xc8
	global_store_b32 v[2:3], v4, off
.LBB11_1030:
	s_mov_b32 s0, 0
.LBB11_1031:
	s_delay_alu instid0(SALU_CYCLE_1)
	s_and_not1_b32 vcc_lo, exec_lo, s0
	s_cbranch_vccnz .LBB11_1040
; %bb.1032:
	s_cmp_lt_i32 s3, 6
	s_mov_b32 s0, -1
	s_cbranch_scc1 .LBB11_1038
; %bb.1033:
	s_cmp_gt_i32 s3, 6
	s_cbranch_scc0 .LBB11_1035
; %bb.1034:
	s_mov_b32 s0, 0
	global_store_b64 v[2:3], v[40:41], off
.LBB11_1035:
	s_and_not1_b32 vcc_lo, exec_lo, s0
	s_cbranch_vccnz .LBB11_1037
; %bb.1036:
	s_wait_xcnt 0x0
	v_cvt_f32_f64_e32 v4, v[40:41]
	global_store_b32 v[2:3], v4, off
.LBB11_1037:
	s_mov_b32 s0, 0
.LBB11_1038:
	s_delay_alu instid0(SALU_CYCLE_1)
	s_and_not1_b32 vcc_lo, exec_lo, s0
	s_cbranch_vccnz .LBB11_1040
; %bb.1039:
	s_wait_xcnt 0x0
	v_and_or_b32 v4, 0x1ff, v41, v40
	v_lshrrev_b32_e32 v5, 8, v41
	v_bfe_u32 v6, v41, 20, 11
	s_delay_alu instid0(VALU_DEP_3) | instskip(NEXT) | instid1(VALU_DEP_2)
	v_cmp_ne_u32_e32 vcc_lo, 0, v4
	v_sub_nc_u32_e32 v7, 0x3f1, v6
	v_add_nc_u32_e32 v6, 0xfffffc10, v6
	v_cndmask_b32_e64 v4, 0, 1, vcc_lo
	s_delay_alu instid0(VALU_DEP_1) | instskip(NEXT) | instid1(VALU_DEP_4)
	v_and_or_b32 v4, 0xffe, v5, v4
	v_med3_i32 v5, v7, 0, 13
	s_delay_alu instid0(VALU_DEP_2) | instskip(NEXT) | instid1(VALU_DEP_1)
	v_or_b32_e32 v7, 0x1000, v4
	v_lshrrev_b32_e32 v8, v5, v7
	s_delay_alu instid0(VALU_DEP_1) | instskip(NEXT) | instid1(VALU_DEP_1)
	v_lshlrev_b32_e32 v5, v5, v8
	v_cmp_ne_u32_e32 vcc_lo, v5, v7
	v_lshl_or_b32 v7, v6, 12, v4
	v_cndmask_b32_e64 v5, 0, 1, vcc_lo
	v_cmp_gt_i32_e32 vcc_lo, 1, v6
	s_delay_alu instid0(VALU_DEP_2) | instskip(NEXT) | instid1(VALU_DEP_1)
	v_or_b32_e32 v5, v8, v5
	v_cndmask_b32_e32 v5, v7, v5, vcc_lo
	s_delay_alu instid0(VALU_DEP_1) | instskip(NEXT) | instid1(VALU_DEP_1)
	v_dual_lshrrev_b32 v5, 2, v5 :: v_dual_bitop2_b32 v7, 7, v5 bitop3:0x40
	v_cmp_lt_i32_e32 vcc_lo, 5, v7
	v_cndmask_b32_e64 v8, 0, 1, vcc_lo
	v_cmp_eq_u32_e32 vcc_lo, 3, v7
	v_cndmask_b32_e64 v7, 0, 1, vcc_lo
	v_cmp_ne_u32_e32 vcc_lo, 0, v4
	s_delay_alu instid0(VALU_DEP_2) | instskip(NEXT) | instid1(VALU_DEP_1)
	v_or_b32_e32 v7, v7, v8
	v_dual_mov_b32 v8, 0x7e00 :: v_dual_add_nc_u32 v5, v5, v7
	s_delay_alu instid0(VALU_DEP_1) | instskip(SKIP_1) | instid1(VALU_DEP_3)
	v_cndmask_b32_e32 v4, 0x7c00, v8, vcc_lo
	v_cmp_gt_i32_e32 vcc_lo, 31, v6
	v_cndmask_b32_e32 v5, 0x7c00, v5, vcc_lo
	v_cmp_eq_u32_e32 vcc_lo, 0x40f, v6
	s_delay_alu instid0(VALU_DEP_2) | instskip(NEXT) | instid1(VALU_DEP_1)
	v_dual_cndmask_b32 v4, v5, v4 :: v_dual_lshrrev_b32 v5, 16, v41
	v_and_or_b32 v4, 0x8000, v5, v4
	global_store_b16 v[2:3], v4, off
.LBB11_1040:
	s_mov_b32 s0, 0
.LBB11_1041:
	s_delay_alu instid0(SALU_CYCLE_1)
	s_and_not1_b32 vcc_lo, exec_lo, s0
	s_cbranch_vccnz .LBB11_1057
; %bb.1042:
	s_cmp_lt_i32 s3, 2
	s_mov_b32 s0, -1
	s_cbranch_scc1 .LBB11_1052
; %bb.1043:
	s_cmp_lt_i32 s3, 3
	s_cbranch_scc1 .LBB11_1049
; %bb.1044:
	s_cmp_gt_i32 s3, 3
	s_cbranch_scc0 .LBB11_1046
; %bb.1045:
	s_wait_xcnt 0x0
	v_trunc_f64_e32 v[4:5], v[40:41]
	s_mov_b32 s0, 0
	s_delay_alu instid0(VALU_DEP_1) | instskip(NEXT) | instid1(VALU_DEP_1)
	v_ldexp_f64 v[6:7], v[4:5], 0xffffffe0
	v_floor_f64_e32 v[6:7], v[6:7]
	s_delay_alu instid0(VALU_DEP_1) | instskip(SKIP_1) | instid1(VALU_DEP_2)
	v_fmamk_f64 v[4:5], v[6:7], 0xc1f00000, v[4:5]
	v_cvt_i32_f64_e32 v7, v[6:7]
	v_cvt_u32_f64_e32 v6, v[4:5]
	global_store_b64 v[2:3], v[6:7], off
.LBB11_1046:
	s_and_not1_b32 vcc_lo, exec_lo, s0
	s_cbranch_vccnz .LBB11_1048
; %bb.1047:
	s_wait_xcnt 0x0
	v_cvt_i32_f64_e32 v4, v[40:41]
	global_store_b32 v[2:3], v4, off
.LBB11_1048:
	s_mov_b32 s0, 0
.LBB11_1049:
	s_delay_alu instid0(SALU_CYCLE_1)
	s_and_not1_b32 vcc_lo, exec_lo, s0
	s_cbranch_vccnz .LBB11_1051
; %bb.1050:
	s_wait_xcnt 0x0
	v_cvt_i32_f64_e32 v4, v[40:41]
	global_store_b16 v[2:3], v4, off
.LBB11_1051:
	s_mov_b32 s0, 0
.LBB11_1052:
	s_delay_alu instid0(SALU_CYCLE_1)
	s_and_not1_b32 vcc_lo, exec_lo, s0
	s_cbranch_vccnz .LBB11_1057
; %bb.1053:
	s_cmp_gt_i32 s3, 0
	s_mov_b32 s0, -1
	s_cbranch_scc0 .LBB11_1055
; %bb.1054:
	s_wait_xcnt 0x0
	v_cvt_i32_f64_e32 v4, v[40:41]
	s_mov_b32 s0, 0
	global_store_b8 v[2:3], v4, off
.LBB11_1055:
	s_and_not1_b32 vcc_lo, exec_lo, s0
	s_cbranch_vccnz .LBB11_1057
; %bb.1056:
	s_wait_xcnt 0x0
	v_trunc_f64_e32 v[4:5], v[40:41]
	s_delay_alu instid0(VALU_DEP_1) | instskip(NEXT) | instid1(VALU_DEP_1)
	v_ldexp_f64 v[6:7], v[4:5], 0xffffffe0
	v_floor_f64_e32 v[6:7], v[6:7]
	s_delay_alu instid0(VALU_DEP_1) | instskip(NEXT) | instid1(VALU_DEP_1)
	v_fmamk_f64 v[4:5], v[6:7], 0xc1f00000, v[4:5]
	v_cvt_u32_f64_e32 v4, v[4:5]
	global_store_b8 v[2:3], v4, off
.LBB11_1057:
	s_branch .LBB11_943
.LBB11_1058:
	s_mov_b32 s0, 0
	s_mov_b32 s4, 0
                                        ; implicit-def: $sgpr1
                                        ; implicit-def: $vgpr4_vgpr5
.LBB11_1059:
	s_and_not1_b32 s3, s16, exec_lo
	s_and_b32 s2, s2, exec_lo
	s_and_b32 s0, s0, exec_lo
	;; [unrolled: 1-line block ×3, first 2 shown]
	s_or_b32 s16, s3, s2
.LBB11_1060:
	s_wait_xcnt 0x0
	s_or_b32 exec_lo, exec_lo, s17
	s_and_saveexec_b32 s2, s16
	s_cbranch_execz .LBB11_1063
; %bb.1061:
	; divergent unreachable
	s_or_b32 exec_lo, exec_lo, s2
	s_and_saveexec_b32 s2, s38
	s_delay_alu instid0(SALU_CYCLE_1)
	s_xor_b32 s2, exec_lo, s2
	s_cbranch_execnz .LBB11_1064
.LBB11_1062:
	s_or_b32 exec_lo, exec_lo, s2
	s_and_saveexec_b32 s2, s0
	s_cbranch_execnz .LBB11_1065
	s_branch .LBB11_1102
.LBB11_1063:
	s_or_b32 exec_lo, exec_lo, s2
	s_and_saveexec_b32 s2, s38
	s_delay_alu instid0(SALU_CYCLE_1)
	s_xor_b32 s2, exec_lo, s2
	s_cbranch_execz .LBB11_1062
.LBB11_1064:
	v_cmp_neq_f64_e32 vcc_lo, 0, v[0:1]
	v_cndmask_b32_e64 v2, 0, 1, vcc_lo
	global_store_b8 v[4:5], v2, off
	s_wait_xcnt 0x0
	s_or_b32 exec_lo, exec_lo, s2
	s_and_saveexec_b32 s2, s0
	s_cbranch_execz .LBB11_1102
.LBB11_1065:
	s_sext_i32_i16 s2, s1
	s_mov_b32 s0, -1
	s_cmp_lt_i32 s2, 5
	s_cbranch_scc1 .LBB11_1086
; %bb.1066:
	s_cmp_lt_i32 s2, 8
	s_cbranch_scc1 .LBB11_1076
; %bb.1067:
	;; [unrolled: 3-line block ×3, first 2 shown]
	s_cmp_gt_i32 s2, 9
	s_cbranch_scc0 .LBB11_1070
; %bb.1069:
	v_mov_b32_e32 v2, 0
	s_mov_b32 s0, 0
	s_delay_alu instid0(VALU_DEP_1)
	v_mov_b32_e32 v3, v2
	global_store_b128 v[4:5], v[0:3], off
.LBB11_1070:
	s_and_not1_b32 vcc_lo, exec_lo, s0
	s_cbranch_vccnz .LBB11_1072
; %bb.1071:
	s_wait_xcnt 0x0
	v_cvt_f32_f64_e32 v2, v[0:1]
	v_mov_b32_e32 v3, 0
	global_store_b64 v[4:5], v[2:3], off
.LBB11_1072:
	s_mov_b32 s0, 0
.LBB11_1073:
	s_delay_alu instid0(SALU_CYCLE_1)
	s_and_not1_b32 vcc_lo, exec_lo, s0
	s_cbranch_vccnz .LBB11_1075
; %bb.1074:
	s_wait_xcnt 0x0
	v_and_or_b32 v2, 0x1ff, v1, v0
	v_lshrrev_b32_e32 v3, 8, v1
	v_bfe_u32 v6, v1, 20, 11
	s_delay_alu instid0(VALU_DEP_3) | instskip(NEXT) | instid1(VALU_DEP_2)
	v_cmp_ne_u32_e32 vcc_lo, 0, v2
	v_sub_nc_u32_e32 v7, 0x3f1, v6
	v_cndmask_b32_e64 v2, 0, 1, vcc_lo
	s_delay_alu instid0(VALU_DEP_1) | instskip(NEXT) | instid1(VALU_DEP_3)
	v_and_or_b32 v2, 0xffe, v3, v2
	v_med3_i32 v3, v7, 0, 13
	s_delay_alu instid0(VALU_DEP_2) | instskip(NEXT) | instid1(VALU_DEP_1)
	v_or_b32_e32 v7, 0x1000, v2
	v_lshrrev_b32_e32 v8, v3, v7
	s_delay_alu instid0(VALU_DEP_1) | instskip(NEXT) | instid1(VALU_DEP_1)
	v_lshlrev_b32_e32 v3, v3, v8
	v_cmp_ne_u32_e32 vcc_lo, v3, v7
	v_cndmask_b32_e64 v3, 0, 1, vcc_lo
	s_delay_alu instid0(VALU_DEP_1) | instskip(SKIP_1) | instid1(VALU_DEP_1)
	v_or_b32_e32 v3, v8, v3
	v_add_nc_u32_e32 v6, 0xfffffc10, v6
	v_lshl_or_b32 v7, v6, 12, v2
	v_cmp_gt_i32_e32 vcc_lo, 1, v6
	s_delay_alu instid0(VALU_DEP_2) | instskip(NEXT) | instid1(VALU_DEP_1)
	v_cndmask_b32_e32 v3, v7, v3, vcc_lo
	v_dual_lshrrev_b32 v3, 2, v3 :: v_dual_bitop2_b32 v7, 7, v3 bitop3:0x40
	s_delay_alu instid0(VALU_DEP_1) | instskip(SKIP_4) | instid1(VALU_DEP_2)
	v_cmp_lt_i32_e32 vcc_lo, 5, v7
	v_cndmask_b32_e64 v8, 0, 1, vcc_lo
	v_cmp_eq_u32_e32 vcc_lo, 3, v7
	v_cndmask_b32_e64 v7, 0, 1, vcc_lo
	v_cmp_ne_u32_e32 vcc_lo, 0, v2
	v_or_b32_e32 v7, v7, v8
	s_delay_alu instid0(VALU_DEP_1) | instskip(NEXT) | instid1(VALU_DEP_1)
	v_dual_mov_b32 v8, 0x7e00 :: v_dual_add_nc_u32 v3, v3, v7
	v_cndmask_b32_e32 v2, 0x7c00, v8, vcc_lo
	v_cmp_gt_i32_e32 vcc_lo, 31, v6
	v_lshrrev_b32_e32 v7, 16, v1
	s_delay_alu instid0(VALU_DEP_4) | instskip(SKIP_1) | instid1(VALU_DEP_2)
	v_cndmask_b32_e32 v3, 0x7c00, v3, vcc_lo
	v_cmp_eq_u32_e32 vcc_lo, 0x40f, v6
	v_cndmask_b32_e32 v2, v3, v2, vcc_lo
	s_delay_alu instid0(VALU_DEP_4) | instskip(NEXT) | instid1(VALU_DEP_1)
	v_and_b32_e32 v3, 0x8000, v7
	v_bitop3_b32 v2, v3, 0xffff, v2 bitop3:0xc8
	global_store_b32 v[4:5], v2, off
.LBB11_1075:
	s_mov_b32 s0, 0
.LBB11_1076:
	s_delay_alu instid0(SALU_CYCLE_1)
	s_and_not1_b32 vcc_lo, exec_lo, s0
	s_cbranch_vccnz .LBB11_1085
; %bb.1077:
	s_sext_i32_i16 s2, s1
	s_mov_b32 s0, -1
	s_cmp_lt_i32 s2, 6
	s_cbranch_scc1 .LBB11_1083
; %bb.1078:
	s_cmp_gt_i32 s2, 6
	s_cbranch_scc0 .LBB11_1080
; %bb.1079:
	s_mov_b32 s0, 0
	global_store_b64 v[4:5], v[0:1], off
.LBB11_1080:
	s_and_not1_b32 vcc_lo, exec_lo, s0
	s_cbranch_vccnz .LBB11_1082
; %bb.1081:
	s_wait_xcnt 0x0
	v_cvt_f32_f64_e32 v2, v[0:1]
	global_store_b32 v[4:5], v2, off
.LBB11_1082:
	s_mov_b32 s0, 0
.LBB11_1083:
	s_delay_alu instid0(SALU_CYCLE_1)
	s_and_not1_b32 vcc_lo, exec_lo, s0
	s_cbranch_vccnz .LBB11_1085
; %bb.1084:
	s_wait_xcnt 0x0
	v_and_or_b32 v2, 0x1ff, v1, v0
	v_lshrrev_b32_e32 v3, 8, v1
	v_bfe_u32 v6, v1, 20, 11
	s_delay_alu instid0(VALU_DEP_3) | instskip(NEXT) | instid1(VALU_DEP_2)
	v_cmp_ne_u32_e32 vcc_lo, 0, v2
	v_sub_nc_u32_e32 v7, 0x3f1, v6
	v_cndmask_b32_e64 v2, 0, 1, vcc_lo
	s_delay_alu instid0(VALU_DEP_1) | instskip(NEXT) | instid1(VALU_DEP_3)
	v_and_or_b32 v2, 0xffe, v3, v2
	v_med3_i32 v3, v7, 0, 13
	s_delay_alu instid0(VALU_DEP_2) | instskip(NEXT) | instid1(VALU_DEP_1)
	v_or_b32_e32 v7, 0x1000, v2
	v_lshrrev_b32_e32 v8, v3, v7
	s_delay_alu instid0(VALU_DEP_1) | instskip(NEXT) | instid1(VALU_DEP_1)
	v_lshlrev_b32_e32 v3, v3, v8
	v_cmp_ne_u32_e32 vcc_lo, v3, v7
	v_cndmask_b32_e64 v3, 0, 1, vcc_lo
	s_delay_alu instid0(VALU_DEP_1) | instskip(SKIP_1) | instid1(VALU_DEP_1)
	v_or_b32_e32 v3, v8, v3
	v_add_nc_u32_e32 v6, 0xfffffc10, v6
	v_lshl_or_b32 v7, v6, 12, v2
	v_cmp_gt_i32_e32 vcc_lo, 1, v6
	s_delay_alu instid0(VALU_DEP_2) | instskip(NEXT) | instid1(VALU_DEP_1)
	v_cndmask_b32_e32 v3, v7, v3, vcc_lo
	v_dual_lshrrev_b32 v3, 2, v3 :: v_dual_bitop2_b32 v7, 7, v3 bitop3:0x40
	s_delay_alu instid0(VALU_DEP_1) | instskip(SKIP_4) | instid1(VALU_DEP_2)
	v_cmp_lt_i32_e32 vcc_lo, 5, v7
	v_cndmask_b32_e64 v8, 0, 1, vcc_lo
	v_cmp_eq_u32_e32 vcc_lo, 3, v7
	v_cndmask_b32_e64 v7, 0, 1, vcc_lo
	v_cmp_ne_u32_e32 vcc_lo, 0, v2
	v_or_b32_e32 v7, v7, v8
	s_delay_alu instid0(VALU_DEP_1) | instskip(NEXT) | instid1(VALU_DEP_1)
	v_dual_mov_b32 v8, 0x7e00 :: v_dual_add_nc_u32 v3, v3, v7
	v_cndmask_b32_e32 v2, 0x7c00, v8, vcc_lo
	v_cmp_gt_i32_e32 vcc_lo, 31, v6
	s_delay_alu instid0(VALU_DEP_3) | instskip(SKIP_1) | instid1(VALU_DEP_2)
	v_cndmask_b32_e32 v3, 0x7c00, v3, vcc_lo
	v_cmp_eq_u32_e32 vcc_lo, 0x40f, v6
	v_dual_cndmask_b32 v2, v3, v2 :: v_dual_lshrrev_b32 v3, 16, v1
	s_delay_alu instid0(VALU_DEP_1)
	v_and_or_b32 v2, 0x8000, v3, v2
	global_store_b16 v[4:5], v2, off
.LBB11_1085:
	s_mov_b32 s0, 0
.LBB11_1086:
	s_delay_alu instid0(SALU_CYCLE_1)
	s_and_not1_b32 vcc_lo, exec_lo, s0
	s_cbranch_vccnz .LBB11_1102
; %bb.1087:
	s_sext_i32_i16 s2, s1
	s_mov_b32 s0, -1
	s_cmp_lt_i32 s2, 2
	s_cbranch_scc1 .LBB11_1097
; %bb.1088:
	s_cmp_lt_i32 s2, 3
	s_cbranch_scc1 .LBB11_1094
; %bb.1089:
	s_cmp_gt_i32 s2, 3
	s_cbranch_scc0 .LBB11_1091
; %bb.1090:
	s_wait_xcnt 0x0
	v_trunc_f64_e32 v[2:3], v[0:1]
	s_mov_b32 s0, 0
	s_delay_alu instid0(VALU_DEP_1) | instskip(NEXT) | instid1(VALU_DEP_1)
	v_ldexp_f64 v[6:7], v[2:3], 0xffffffe0
	v_floor_f64_e32 v[6:7], v[6:7]
	s_delay_alu instid0(VALU_DEP_1) | instskip(SKIP_1) | instid1(VALU_DEP_2)
	v_fmamk_f64 v[2:3], v[6:7], 0xc1f00000, v[2:3]
	v_cvt_i32_f64_e32 v7, v[6:7]
	v_cvt_u32_f64_e32 v6, v[2:3]
	global_store_b64 v[4:5], v[6:7], off
.LBB11_1091:
	s_and_not1_b32 vcc_lo, exec_lo, s0
	s_cbranch_vccnz .LBB11_1093
; %bb.1092:
	s_wait_xcnt 0x0
	v_cvt_i32_f64_e32 v2, v[0:1]
	global_store_b32 v[4:5], v2, off
.LBB11_1093:
	s_mov_b32 s0, 0
.LBB11_1094:
	s_delay_alu instid0(SALU_CYCLE_1)
	s_and_not1_b32 vcc_lo, exec_lo, s0
	s_cbranch_vccnz .LBB11_1096
; %bb.1095:
	s_wait_xcnt 0x0
	v_cvt_i32_f64_e32 v2, v[0:1]
	global_store_b16 v[4:5], v2, off
.LBB11_1096:
	s_mov_b32 s0, 0
.LBB11_1097:
	s_delay_alu instid0(SALU_CYCLE_1)
	s_and_not1_b32 vcc_lo, exec_lo, s0
	s_cbranch_vccnz .LBB11_1102
; %bb.1098:
	s_sext_i32_i16 s0, s1
	s_delay_alu instid0(SALU_CYCLE_1)
	s_cmp_gt_i32 s0, 0
	s_mov_b32 s0, -1
	s_cbranch_scc0 .LBB11_1100
; %bb.1099:
	s_wait_xcnt 0x0
	v_cvt_i32_f64_e32 v2, v[0:1]
	s_mov_b32 s0, 0
	global_store_b8 v[4:5], v2, off
.LBB11_1100:
	s_and_not1_b32 vcc_lo, exec_lo, s0
	s_cbranch_vccnz .LBB11_1102
; %bb.1101:
	s_wait_xcnt 0x0
	v_trunc_f64_e32 v[0:1], v[0:1]
	s_delay_alu instid0(VALU_DEP_1) | instskip(NEXT) | instid1(VALU_DEP_1)
	v_ldexp_f64 v[2:3], v[0:1], 0xffffffe0
	v_floor_f64_e32 v[2:3], v[2:3]
	s_delay_alu instid0(VALU_DEP_1) | instskip(NEXT) | instid1(VALU_DEP_1)
	v_fmamk_f64 v[0:1], v[2:3], 0xc1f00000, v[0:1]
	v_cvt_u32_f64_e32 v0, v[0:1]
	global_store_b8 v[4:5], v0, off
	s_endpgm
.LBB11_1102:
	s_endpgm
.LBB11_1103:
	s_mov_b32 s4, 0
	s_mov_b32 s0, -1
	s_branch .LBB11_1059
.LBB11_1104:
	s_and_not1_saveexec_b32 s6, s6
	s_cbranch_execz .LBB11_656
.LBB11_1105:
	v_add_f32_e64 v5, 0x46000000, |v4|
	s_and_not1_b32 s5, s5, exec_lo
	s_delay_alu instid0(VALU_DEP_1) | instskip(NEXT) | instid1(VALU_DEP_1)
	v_and_b32_e32 v5, 0xff, v5
	v_cmp_ne_u32_e32 vcc_lo, 0, v5
	s_and_b32 s7, vcc_lo, exec_lo
	s_delay_alu instid0(SALU_CYCLE_1)
	s_or_b32 s5, s5, s7
	s_or_b32 exec_lo, exec_lo, s6
	v_mov_b32_e32 v6, 0
	s_and_saveexec_b32 s6, s5
	s_cbranch_execnz .LBB11_657
	s_branch .LBB11_658
.LBB11_1106:
	s_or_b32 s2, s16, exec_lo
	s_trap 2
	s_cbranch_execz .LBB11_704
	s_branch .LBB11_705
.LBB11_1107:
	s_and_not1_saveexec_b32 s5, s5
	s_cbranch_execz .LBB11_669
.LBB11_1108:
	v_add_f32_e64 v5, 0x42800000, |v4|
	s_and_not1_b32 s4, s4, exec_lo
	s_delay_alu instid0(VALU_DEP_1) | instskip(NEXT) | instid1(VALU_DEP_1)
	v_and_b32_e32 v5, 0xff, v5
	v_cmp_ne_u32_e32 vcc_lo, 0, v5
	s_and_b32 s6, vcc_lo, exec_lo
	s_delay_alu instid0(SALU_CYCLE_1)
	s_or_b32 s4, s4, s6
	s_or_b32 exec_lo, exec_lo, s5
	v_mov_b32_e32 v6, 0
	s_and_saveexec_b32 s5, s4
	s_cbranch_execnz .LBB11_670
	s_branch .LBB11_671
.LBB11_1109:
	s_and_not1_saveexec_b32 s7, s7
	s_cbranch_execz .LBB11_774
.LBB11_1110:
	v_add_f32_e64 v5, 0x46000000, |v4|
	s_and_not1_b32 s6, s6, exec_lo
	s_delay_alu instid0(VALU_DEP_1) | instskip(NEXT) | instid1(VALU_DEP_1)
	v_and_b32_e32 v5, 0xff, v5
	v_cmp_ne_u32_e32 vcc_lo, 0, v5
	s_and_b32 s8, vcc_lo, exec_lo
	s_delay_alu instid0(SALU_CYCLE_1)
	s_or_b32 s6, s6, s8
	s_or_b32 exec_lo, exec_lo, s7
	v_mov_b32_e32 v6, 0
	s_and_saveexec_b32 s7, s6
	s_cbranch_execnz .LBB11_775
	s_branch .LBB11_776
.LBB11_1111:
	s_or_b32 s2, s2, exec_lo
	s_trap 2
	s_cbranch_execz .LBB11_822
	s_branch .LBB11_823
.LBB11_1112:
	s_and_not1_saveexec_b32 s6, s6
	s_cbranch_execz .LBB11_787
.LBB11_1113:
	v_add_f32_e64 v5, 0x42800000, |v4|
	s_and_not1_b32 s5, s5, exec_lo
	s_delay_alu instid0(VALU_DEP_1) | instskip(NEXT) | instid1(VALU_DEP_1)
	v_and_b32_e32 v5, 0xff, v5
	v_cmp_ne_u32_e32 vcc_lo, 0, v5
	s_and_b32 s7, vcc_lo, exec_lo
	s_delay_alu instid0(SALU_CYCLE_1)
	s_or_b32 s5, s5, s7
	s_or_b32 exec_lo, exec_lo, s6
	v_mov_b32_e32 v6, 0
	s_and_saveexec_b32 s6, s5
	s_cbranch_execnz .LBB11_788
	s_branch .LBB11_789
.LBB11_1114:
	s_and_not1_saveexec_b32 s7, s7
	s_cbranch_execz .LBB11_892
.LBB11_1115:
	v_add_f32_e64 v5, 0x46000000, |v4|
	s_and_not1_b32 s6, s6, exec_lo
	s_delay_alu instid0(VALU_DEP_1) | instskip(NEXT) | instid1(VALU_DEP_1)
	v_and_b32_e32 v5, 0xff, v5
	v_cmp_ne_u32_e32 vcc_lo, 0, v5
	s_and_b32 s8, vcc_lo, exec_lo
	s_delay_alu instid0(SALU_CYCLE_1)
	s_or_b32 s6, s6, s8
	s_or_b32 exec_lo, exec_lo, s7
	v_mov_b32_e32 v6, 0
	s_and_saveexec_b32 s7, s6
	s_cbranch_execnz .LBB11_893
	s_branch .LBB11_894
.LBB11_1116:
	s_or_b32 s2, s2, exec_lo
	s_trap 2
	s_cbranch_execz .LBB11_940
	s_branch .LBB11_941
.LBB11_1117:
	s_and_not1_saveexec_b32 s6, s6
	s_cbranch_execz .LBB11_905
.LBB11_1118:
	v_add_f32_e64 v5, 0x42800000, |v4|
	s_and_not1_b32 s5, s5, exec_lo
	s_delay_alu instid0(VALU_DEP_1) | instskip(NEXT) | instid1(VALU_DEP_1)
	v_and_b32_e32 v5, 0xff, v5
	v_cmp_ne_u32_e32 vcc_lo, 0, v5
	s_and_b32 s7, vcc_lo, exec_lo
	s_delay_alu instid0(SALU_CYCLE_1)
	s_or_b32 s5, s5, s7
	s_or_b32 exec_lo, exec_lo, s6
	v_mov_b32_e32 v6, 0
	s_and_saveexec_b32 s6, s5
	s_cbranch_execnz .LBB11_906
	s_branch .LBB11_907
.LBB11_1119:
	s_and_not1_saveexec_b32 s7, s7
	s_cbranch_execz .LBB11_972
.LBB11_1120:
	v_add_f32_e64 v3, 0x46000000, |v2|
	s_and_not1_b32 s6, s6, exec_lo
	s_delay_alu instid0(VALU_DEP_1) | instskip(NEXT) | instid1(VALU_DEP_1)
	v_and_b32_e32 v3, 0xff, v3
	v_cmp_ne_u32_e32 vcc_lo, 0, v3
	s_and_b32 s8, vcc_lo, exec_lo
	s_delay_alu instid0(SALU_CYCLE_1)
	s_or_b32 s6, s6, s8
	s_or_b32 exec_lo, exec_lo, s7
	v_mov_b32_e32 v6, 0
	s_and_saveexec_b32 s7, s6
	s_cbranch_execnz .LBB11_973
	s_branch .LBB11_974
.LBB11_1121:
	s_mov_b32 s4, 0
	s_or_b32 s2, s2, exec_lo
	s_trap 2
	s_branch .LBB11_1018
.LBB11_1122:
	s_and_not1_saveexec_b32 s5, s5
	s_cbranch_execz .LBB11_480
.LBB11_1123:
	v_add_f32_e64 v3, 0x46000000, |v2|
	s_and_not1_b32 s4, s4, exec_lo
	s_delay_alu instid0(VALU_DEP_1) | instskip(NEXT) | instid1(VALU_DEP_1)
	v_and_b32_e32 v3, 0xff, v3
	v_cmp_ne_u32_e32 vcc_lo, 0, v3
	s_and_b32 s6, vcc_lo, exec_lo
	s_delay_alu instid0(SALU_CYCLE_1)
	s_or_b32 s4, s4, s6
	s_or_b32 exec_lo, exec_lo, s5
	v_mov_b32_e32 v6, 0
	s_and_saveexec_b32 s5, s4
	s_cbranch_execnz .LBB11_481
	s_branch .LBB11_482
.LBB11_1124:
	s_and_not1_saveexec_b32 s6, s6
	s_cbranch_execz .LBB11_984
.LBB11_1125:
	v_add_f32_e64 v3, 0x42800000, |v2|
	s_and_not1_b32 s5, s5, exec_lo
	s_delay_alu instid0(VALU_DEP_1) | instskip(NEXT) | instid1(VALU_DEP_1)
	v_and_b32_e32 v3, 0xff, v3
	v_cmp_ne_u32_e32 vcc_lo, 0, v3
	s_and_b32 s7, vcc_lo, exec_lo
	s_delay_alu instid0(SALU_CYCLE_1)
	s_or_b32 s5, s5, s7
	s_or_b32 exec_lo, exec_lo, s6
	v_mov_b32_e32 v6, 0
	s_and_saveexec_b32 s6, s5
	s_cbranch_execnz .LBB11_985
	s_branch .LBB11_986
.LBB11_1126:
	s_and_not1_saveexec_b32 s6, s6
	s_cbranch_execz .LBB11_492
.LBB11_1127:
	v_add_f32_e64 v3, 0x42800000, |v2|
	s_and_not1_b32 s5, s5, exec_lo
	s_delay_alu instid0(VALU_DEP_1) | instskip(NEXT) | instid1(VALU_DEP_1)
	v_and_b32_e32 v3, 0xff, v3
	v_cmp_ne_u32_e32 vcc_lo, 0, v3
	s_and_b32 s7, vcc_lo, exec_lo
	s_delay_alu instid0(SALU_CYCLE_1)
	s_or_b32 s5, s5, s7
	s_or_b32 exec_lo, exec_lo, s6
	v_mov_b32_e32 v6, 0
	s_and_saveexec_b32 s6, s5
	s_cbranch_execnz .LBB11_493
	s_branch .LBB11_494
	.section	.rodata,"a",@progbits
	.p2align	6, 0x0
	.amdhsa_kernel _ZN2at6native32elementwise_kernel_manual_unrollILi128ELi4EZNS0_15gpu_kernel_implIZZZNS0_12_GLOBAL__N_121bessel_y1_kernel_cudaERNS_18TensorIteratorBaseEENKUlvE_clEvENKUlvE_clEvEUldE_EEvS5_RKT_EUlibE0_EEviT1_
		.amdhsa_group_segment_fixed_size 0
		.amdhsa_private_segment_fixed_size 0
		.amdhsa_kernarg_size 360
		.amdhsa_user_sgpr_count 2
		.amdhsa_user_sgpr_dispatch_ptr 0
		.amdhsa_user_sgpr_queue_ptr 0
		.amdhsa_user_sgpr_kernarg_segment_ptr 1
		.amdhsa_user_sgpr_dispatch_id 0
		.amdhsa_user_sgpr_kernarg_preload_length 0
		.amdhsa_user_sgpr_kernarg_preload_offset 0
		.amdhsa_user_sgpr_private_segment_size 0
		.amdhsa_wavefront_size32 1
		.amdhsa_uses_dynamic_stack 0
		.amdhsa_enable_private_segment 0
		.amdhsa_system_sgpr_workgroup_id_x 1
		.amdhsa_system_sgpr_workgroup_id_y 0
		.amdhsa_system_sgpr_workgroup_id_z 0
		.amdhsa_system_sgpr_workgroup_info 0
		.amdhsa_system_vgpr_workitem_id 0
		.amdhsa_next_free_vgpr 84
		.amdhsa_next_free_sgpr 72
		.amdhsa_named_barrier_count 0
		.amdhsa_reserve_vcc 1
		.amdhsa_float_round_mode_32 0
		.amdhsa_float_round_mode_16_64 0
		.amdhsa_float_denorm_mode_32 3
		.amdhsa_float_denorm_mode_16_64 3
		.amdhsa_fp16_overflow 0
		.amdhsa_memory_ordered 1
		.amdhsa_forward_progress 1
		.amdhsa_inst_pref_size 227
		.amdhsa_round_robin_scheduling 0
		.amdhsa_exception_fp_ieee_invalid_op 0
		.amdhsa_exception_fp_denorm_src 0
		.amdhsa_exception_fp_ieee_div_zero 0
		.amdhsa_exception_fp_ieee_overflow 0
		.amdhsa_exception_fp_ieee_underflow 0
		.amdhsa_exception_fp_ieee_inexact 0
		.amdhsa_exception_int_div_zero 0
	.end_amdhsa_kernel
	.section	.text._ZN2at6native32elementwise_kernel_manual_unrollILi128ELi4EZNS0_15gpu_kernel_implIZZZNS0_12_GLOBAL__N_121bessel_y1_kernel_cudaERNS_18TensorIteratorBaseEENKUlvE_clEvENKUlvE_clEvEUldE_EEvS5_RKT_EUlibE0_EEviT1_,"axG",@progbits,_ZN2at6native32elementwise_kernel_manual_unrollILi128ELi4EZNS0_15gpu_kernel_implIZZZNS0_12_GLOBAL__N_121bessel_y1_kernel_cudaERNS_18TensorIteratorBaseEENKUlvE_clEvENKUlvE_clEvEUldE_EEvS5_RKT_EUlibE0_EEviT1_,comdat
.Lfunc_end11:
	.size	_ZN2at6native32elementwise_kernel_manual_unrollILi128ELi4EZNS0_15gpu_kernel_implIZZZNS0_12_GLOBAL__N_121bessel_y1_kernel_cudaERNS_18TensorIteratorBaseEENKUlvE_clEvENKUlvE_clEvEUldE_EEvS5_RKT_EUlibE0_EEviT1_, .Lfunc_end11-_ZN2at6native32elementwise_kernel_manual_unrollILi128ELi4EZNS0_15gpu_kernel_implIZZZNS0_12_GLOBAL__N_121bessel_y1_kernel_cudaERNS_18TensorIteratorBaseEENKUlvE_clEvENKUlvE_clEvEUldE_EEvS5_RKT_EUlibE0_EEviT1_
                                        ; -- End function
	.set _ZN2at6native32elementwise_kernel_manual_unrollILi128ELi4EZNS0_15gpu_kernel_implIZZZNS0_12_GLOBAL__N_121bessel_y1_kernel_cudaERNS_18TensorIteratorBaseEENKUlvE_clEvENKUlvE_clEvEUldE_EEvS5_RKT_EUlibE0_EEviT1_.num_vgpr, max(64, .L_ZN2at6native6invokeIZZZNS0_12_GLOBAL__N_121bessel_y1_kernel_cudaERNS_18TensorIteratorBaseEENKUlvE_clEvENKUlvE_clEvEUldE_j15function_traitsIS7_EEENT1_11result_typeERKT_PrKPcPKT0_PKN3c1010ScalarTypeEi.num_vgpr)
	.set _ZN2at6native32elementwise_kernel_manual_unrollILi128ELi4EZNS0_15gpu_kernel_implIZZZNS0_12_GLOBAL__N_121bessel_y1_kernel_cudaERNS_18TensorIteratorBaseEENKUlvE_clEvENKUlvE_clEvEUldE_EEvS5_RKT_EUlibE0_EEviT1_.num_agpr, max(0, .L_ZN2at6native6invokeIZZZNS0_12_GLOBAL__N_121bessel_y1_kernel_cudaERNS_18TensorIteratorBaseEENKUlvE_clEvENKUlvE_clEvEUldE_j15function_traitsIS7_EEENT1_11result_typeERKT_PrKPcPKT0_PKN3c1010ScalarTypeEi.num_agpr)
	.set _ZN2at6native32elementwise_kernel_manual_unrollILi128ELi4EZNS0_15gpu_kernel_implIZZZNS0_12_GLOBAL__N_121bessel_y1_kernel_cudaERNS_18TensorIteratorBaseEENKUlvE_clEvENKUlvE_clEvEUldE_EEvS5_RKT_EUlibE0_EEviT1_.numbered_sgpr, max(72, .L_ZN2at6native6invokeIZZZNS0_12_GLOBAL__N_121bessel_y1_kernel_cudaERNS_18TensorIteratorBaseEENKUlvE_clEvENKUlvE_clEvEUldE_j15function_traitsIS7_EEENT1_11result_typeERKT_PrKPcPKT0_PKN3c1010ScalarTypeEi.numbered_sgpr)
	.set _ZN2at6native32elementwise_kernel_manual_unrollILi128ELi4EZNS0_15gpu_kernel_implIZZZNS0_12_GLOBAL__N_121bessel_y1_kernel_cudaERNS_18TensorIteratorBaseEENKUlvE_clEvENKUlvE_clEvEUldE_EEvS5_RKT_EUlibE0_EEviT1_.num_named_barrier, max(0, .L_ZN2at6native6invokeIZZZNS0_12_GLOBAL__N_121bessel_y1_kernel_cudaERNS_18TensorIteratorBaseEENKUlvE_clEvENKUlvE_clEvEUldE_j15function_traitsIS7_EEENT1_11result_typeERKT_PrKPcPKT0_PKN3c1010ScalarTypeEi.num_named_barrier)
	.set _ZN2at6native32elementwise_kernel_manual_unrollILi128ELi4EZNS0_15gpu_kernel_implIZZZNS0_12_GLOBAL__N_121bessel_y1_kernel_cudaERNS_18TensorIteratorBaseEENKUlvE_clEvENKUlvE_clEvEUldE_EEvS5_RKT_EUlibE0_EEviT1_.private_seg_size, 0+max(.L_ZN2at6native6invokeIZZZNS0_12_GLOBAL__N_121bessel_y1_kernel_cudaERNS_18TensorIteratorBaseEENKUlvE_clEvENKUlvE_clEvEUldE_j15function_traitsIS7_EEENT1_11result_typeERKT_PrKPcPKT0_PKN3c1010ScalarTypeEi.private_seg_size)
	.set _ZN2at6native32elementwise_kernel_manual_unrollILi128ELi4EZNS0_15gpu_kernel_implIZZZNS0_12_GLOBAL__N_121bessel_y1_kernel_cudaERNS_18TensorIteratorBaseEENKUlvE_clEvENKUlvE_clEvEUldE_EEvS5_RKT_EUlibE0_EEviT1_.uses_vcc, or(1, .L_ZN2at6native6invokeIZZZNS0_12_GLOBAL__N_121bessel_y1_kernel_cudaERNS_18TensorIteratorBaseEENKUlvE_clEvENKUlvE_clEvEUldE_j15function_traitsIS7_EEENT1_11result_typeERKT_PrKPcPKT0_PKN3c1010ScalarTypeEi.uses_vcc)
	.set _ZN2at6native32elementwise_kernel_manual_unrollILi128ELi4EZNS0_15gpu_kernel_implIZZZNS0_12_GLOBAL__N_121bessel_y1_kernel_cudaERNS_18TensorIteratorBaseEENKUlvE_clEvENKUlvE_clEvEUldE_EEvS5_RKT_EUlibE0_EEviT1_.uses_flat_scratch, or(0, .L_ZN2at6native6invokeIZZZNS0_12_GLOBAL__N_121bessel_y1_kernel_cudaERNS_18TensorIteratorBaseEENKUlvE_clEvENKUlvE_clEvEUldE_j15function_traitsIS7_EEENT1_11result_typeERKT_PrKPcPKT0_PKN3c1010ScalarTypeEi.uses_flat_scratch)
	.set _ZN2at6native32elementwise_kernel_manual_unrollILi128ELi4EZNS0_15gpu_kernel_implIZZZNS0_12_GLOBAL__N_121bessel_y1_kernel_cudaERNS_18TensorIteratorBaseEENKUlvE_clEvENKUlvE_clEvEUldE_EEvS5_RKT_EUlibE0_EEviT1_.has_dyn_sized_stack, or(0, .L_ZN2at6native6invokeIZZZNS0_12_GLOBAL__N_121bessel_y1_kernel_cudaERNS_18TensorIteratorBaseEENKUlvE_clEvENKUlvE_clEvEUldE_j15function_traitsIS7_EEENT1_11result_typeERKT_PrKPcPKT0_PKN3c1010ScalarTypeEi.has_dyn_sized_stack)
	.set _ZN2at6native32elementwise_kernel_manual_unrollILi128ELi4EZNS0_15gpu_kernel_implIZZZNS0_12_GLOBAL__N_121bessel_y1_kernel_cudaERNS_18TensorIteratorBaseEENKUlvE_clEvENKUlvE_clEvEUldE_EEvS5_RKT_EUlibE0_EEviT1_.has_recursion, or(0, .L_ZN2at6native6invokeIZZZNS0_12_GLOBAL__N_121bessel_y1_kernel_cudaERNS_18TensorIteratorBaseEENKUlvE_clEvENKUlvE_clEvEUldE_j15function_traitsIS7_EEENT1_11result_typeERKT_PrKPcPKT0_PKN3c1010ScalarTypeEi.has_recursion)
	.set _ZN2at6native32elementwise_kernel_manual_unrollILi128ELi4EZNS0_15gpu_kernel_implIZZZNS0_12_GLOBAL__N_121bessel_y1_kernel_cudaERNS_18TensorIteratorBaseEENKUlvE_clEvENKUlvE_clEvEUldE_EEvS5_RKT_EUlibE0_EEviT1_.has_indirect_call, or(0, .L_ZN2at6native6invokeIZZZNS0_12_GLOBAL__N_121bessel_y1_kernel_cudaERNS_18TensorIteratorBaseEENKUlvE_clEvENKUlvE_clEvEUldE_j15function_traitsIS7_EEENT1_11result_typeERKT_PrKPcPKT0_PKN3c1010ScalarTypeEi.has_indirect_call)
	.section	.AMDGPU.csdata,"",@progbits
; Kernel info:
; codeLenInByte = 28932
; TotalNumSgprs: 74
; NumVgprs: 84
; ScratchSize: 0
; MemoryBound: 0
; FloatMode: 240
; IeeeMode: 1
; LDSByteSize: 0 bytes/workgroup (compile time only)
; SGPRBlocks: 0
; VGPRBlocks: 5
; NumSGPRsForWavesPerEU: 74
; NumVGPRsForWavesPerEU: 84
; NamedBarCnt: 0
; Occupancy: 10
; WaveLimiterHint : 1
; COMPUTE_PGM_RSRC2:SCRATCH_EN: 0
; COMPUTE_PGM_RSRC2:USER_SGPR: 2
; COMPUTE_PGM_RSRC2:TRAP_HANDLER: 0
; COMPUTE_PGM_RSRC2:TGID_X_EN: 1
; COMPUTE_PGM_RSRC2:TGID_Y_EN: 0
; COMPUTE_PGM_RSRC2:TGID_Z_EN: 0
; COMPUTE_PGM_RSRC2:TIDIG_COMP_CNT: 0
	.text
	.p2align	2                               ; -- Begin function _ZN2at6native25elementwise_kernel_helperILb0EZZZNS0_12_GLOBAL__N_121bessel_y1_kernel_cudaERNS_18TensorIteratorBaseEENKUlvE_clEvENKUlvE0_clEvEUlfE_NS0_6memory8policies11unroll_baseILi256ESt5arrayIPcLm2EE23TrivialOffsetCalculatorILi1EjESF_NS8_15LoadWithoutCastENS8_16StoreWithoutCastELi4ELi1EEEEEvT0_T1_
	.type	_ZN2at6native25elementwise_kernel_helperILb0EZZZNS0_12_GLOBAL__N_121bessel_y1_kernel_cudaERNS_18TensorIteratorBaseEENKUlvE_clEvENKUlvE0_clEvEUlfE_NS0_6memory8policies11unroll_baseILi256ESt5arrayIPcLm2EE23TrivialOffsetCalculatorILi1EjESF_NS8_15LoadWithoutCastENS8_16StoreWithoutCastELi4ELi1EEEEEvT0_T1_,@function
_ZN2at6native25elementwise_kernel_helperILb0EZZZNS0_12_GLOBAL__N_121bessel_y1_kernel_cudaERNS_18TensorIteratorBaseEENKUlvE_clEvENKUlvE0_clEvEUlfE_NS0_6memory8policies11unroll_baseILi256ESt5arrayIPcLm2EE23TrivialOffsetCalculatorILi1EjESF_NS8_15LoadWithoutCastENS8_16StoreWithoutCastELi4ELi1EEEEEvT0_T1_: ; @_ZN2at6native25elementwise_kernel_helperILb0EZZZNS0_12_GLOBAL__N_121bessel_y1_kernel_cudaERNS_18TensorIteratorBaseEENKUlvE_clEvENKUlvE0_clEvEUlfE_NS0_6memory8policies11unroll_baseILi256ESt5arrayIPcLm2EE23TrivialOffsetCalculatorILi1EjESF_NS8_15LoadWithoutCastENS8_16StoreWithoutCastELi4ELi1EEEEEvT0_T1_
; %bb.0:
	s_wait_loadcnt_dscnt 0x0
	s_wait_kmcnt 0x0
	s_bfe_u32 s0, ttmp6, 0x4000c
	s_and_b32 s1, ttmp6, 15
	s_add_co_i32 s0, s0, 1
	s_getreg_b32 s2, hwreg(HW_REG_IB_STS2, 6, 4)
	s_mul_i32 s0, ttmp9, s0
	v_and_b32_e32 v7, 0x3ff, v31
	s_add_co_i32 s1, s1, s0
	s_cmp_eq_u32 s2, 0
	v_mov_b32_e32 v13, 0
	s_cselect_b32 s0, ttmp9, s1
	v_add_nc_u32_e32 v10, 0x100, v7
	s_lshl_b32 s4, s0, 10
	v_cmp_lt_i32_e64 s0, v7, v4
	v_dual_mov_b32 v12, 0 :: v_dual_bitop2_b32 v8, s4, v7 bitop3:0x54
	v_mov_b32_e32 v5, v7
	s_and_saveexec_b32 s1, s0
	s_cbranch_execz .LBB12_2
; %bb.1:
	v_mov_b32_e32 v9, 0
	v_add_nc_u32_e32 v5, 0x100, v7
	s_delay_alu instid0(VALU_DEP_2)
	v_lshl_add_u64 v[14:15], v[8:9], 2, v[2:3]
	flat_load_b32 v13, v[14:15]
.LBB12_2:
	s_wait_xcnt 0x0
	s_or_b32 exec_lo, exec_lo, s1
	s_delay_alu instid0(SALU_CYCLE_1)
	s_mov_b32 s1, exec_lo
	v_cmpx_lt_i32_e64 v5, v4
	s_cbranch_execz .LBB12_4
; %bb.3:
	v_dual_mov_b32 v15, 0 :: v_dual_add_nc_u32 v14, s4, v5
	v_add_nc_u32_e32 v5, 0x100, v5
	s_delay_alu instid0(VALU_DEP_2)
	v_lshl_add_u64 v[14:15], v[14:15], 2, v[2:3]
	flat_load_b32 v12, v[14:15]
.LBB12_4:
	s_wait_xcnt 0x0
	s_or_b32 exec_lo, exec_lo, s1
	v_dual_mov_b32 v9, 0 :: v_dual_mov_b32 v11, 0
	s_mov_b32 s1, exec_lo
	v_cmpx_lt_i32_e64 v5, v4
	s_cbranch_execz .LBB12_6
; %bb.5:
	v_dual_mov_b32 v15, 0 :: v_dual_add_nc_u32 v14, s4, v5
	v_add_nc_u32_e32 v5, 0x100, v5
	s_delay_alu instid0(VALU_DEP_2)
	v_lshl_add_u64 v[14:15], v[14:15], 2, v[2:3]
	flat_load_b32 v11, v[14:15]
.LBB12_6:
	s_wait_xcnt 0x0
	s_or_b32 exec_lo, exec_lo, s1
	s_delay_alu instid0(SALU_CYCLE_1)
	s_mov_b32 s1, exec_lo
	v_cmpx_lt_i32_e64 v5, v4
	s_cbranch_execz .LBB12_8
; %bb.7:
	v_dual_mov_b32 v15, 0 :: v_dual_add_nc_u32 v14, s4, v5
	s_delay_alu instid0(VALU_DEP_1)
	v_lshl_add_u64 v[2:3], v[14:15], 2, v[2:3]
	flat_load_b32 v9, v[2:3]
.LBB12_8:
	s_wait_xcnt 0x0
	s_or_b32 exec_lo, exec_lo, s1
	v_mov_b32_e32 v2, 0
	s_delay_alu instid0(VALU_DEP_1)
	v_dual_mov_b32 v5, v2 :: v_dual_mov_b32 v6, v2
	v_mov_b32_e32 v3, v2
	s_and_saveexec_b32 s5, s0
	s_cbranch_execz .LBB12_26
; %bb.9:
                                        ; implicit-def: $vgpr2
	s_mov_b32 s1, exec_lo
	s_wait_loadcnt_dscnt 0x0
	v_cmpx_ge_f32_e32 0x40a00000, v13
	s_xor_b32 s6, exec_lo, s1
	s_cbranch_execz .LBB12_15
; %bb.10:
	v_mov_b32_e32 v2, 0xff800000
	s_mov_b32 s7, exec_lo
	v_cmpx_neq_f32_e32 0, v13
	s_cbranch_execz .LBB12_14
; %bb.11:
	v_mov_b32_e32 v2, 0x7fc00000
	s_mov_b32 s8, exec_lo
	v_cmpx_nge_f32_e32 0, v13
	s_cbranch_execz .LBB12_13
; %bb.12:
	v_cmp_gt_f32_e64 s1, 0x800000, v13
	v_mul_f32_e32 v2, v13, v13
	v_mov_b64_e32 v[14:15], 0x4c8c277d4e9695f3
	v_mov_b64_e32 v[18:19], 0x508bc61dd316b96b
	;; [unrolled: 1-line block ×3, first 2 shown]
	v_cndmask_b32_e64 v6, 0, 32, s1
	v_dual_fmaak_f32 v3, 0, v2, 0x4414934d :: v_dual_mul_f32 v16, 0, v2
	v_mov_b64_e32 v[22:23], 0x548a37dcce5691e2
	v_mov_b64_e32 v[24:25], 0x5832585252d295d0
	s_delay_alu instid0(VALU_DEP_4) | instskip(NEXT) | instid1(VALU_DEP_4)
	v_ldexp_f32 v6, v13, v6
	v_fmaak_f32 v3, v2, v3, 0x48660b06
	v_div_scale_f32 v29, s3, -1.0, v13, -1.0
	s_delay_alu instid0(VALU_DEP_3) | instskip(SKIP_1) | instid1(VALU_DEP_3)
	v_log_f32_e32 v6, v6
	v_fmaak_f32 v5, 0, v2, 0x441b3589
	v_mul_f32_e32 v17, v2, v3
	s_delay_alu instid0(VALU_DEP_2) | instskip(NEXT) | instid1(VALU_DEP_2)
	v_fmaak_f32 v5, v2, v5, 0x487af6d0
	v_pk_add_f32 v[14:15], v[16:17], v[14:15]
	s_delay_alu instid0(TRANS32_DEP_1) | instskip(NEXT) | instid1(VALU_DEP_3)
	v_mul_f32_e32 v30, 0x3f317217, v6
	v_fmaak_f32 v3, v2, v5, 0x4c9f4aa7
	s_delay_alu instid0(VALU_DEP_1) | instskip(NEXT) | instid1(VALU_DEP_1)
	v_fmaak_f32 v3, v2, v3, 0x50a509fc
	v_pk_fma_f32 v[14:15], v[2:3], v[14:15], v[18:19] op_sel_hi:[0,1,1]
	v_mul_f32_e32 v17, v2, v3
	v_mov_b64_e32 v[18:19], 0x580d1937d9e700d2
	s_delay_alu instid0(VALU_DEP_3) | instskip(NEXT) | instid1(VALU_DEP_3)
	v_pk_fma_f32 v[14:15], v[2:3], v[14:15], v[20:21] op_sel_hi:[0,1,1]
	v_pk_add_f32 v[16:17], v[16:17], v[22:23]
	v_mov_b64_e32 v[20:21], 0x5b741f1e5c33cd68
	v_mov_b64_e32 v[22:23], 0x5b9f0600d6845497
	s_delay_alu instid0(VALU_DEP_4) | instskip(NEXT) | instid1(VALU_DEP_4)
	v_pk_fma_f32 v[14:15], v[2:3], v[14:15], v[18:19] op_sel_hi:[0,1,1]
	v_pk_fma_f32 v[16:17], v[2:3], v[16:17], v[24:25] op_sel_hi:[0,1,1]
	v_mov_b64_e32 v[18:19], 0x5e5c878ddd2cf20b
	v_mov_b64_e32 v[24:25], 0x5e93bcac59515a15
	s_delay_alu instid0(VALU_DEP_4) | instskip(NEXT) | instid1(VALU_DEP_4)
	v_pk_fma_f32 v[14:15], v[2:3], v[14:15], v[20:21] op_sel_hi:[0,1,1]
	v_pk_fma_f32 v[16:17], v[2:3], v[16:17], v[22:23] op_sel_hi:[0,1,1]
	v_div_scale_f32 v20, null, v13, v13, -1.0
	s_delay_alu instid0(VALU_DEP_3) | instskip(NEXT) | instid1(VALU_DEP_3)
	v_pk_fma_f32 v[14:15], v[2:3], v[14:15], v[18:19] op_sel_hi:[0,1,1]
	v_pk_fma_f32 v[16:17], v[2:3], v[16:17], v[24:25] op_sel_hi:[0,1,1]
	s_delay_alu instid0(VALU_DEP_2) | instskip(NEXT) | instid1(VALU_DEP_2)
	v_div_scale_f32 v3, null, v15, v15, v14
	v_div_scale_f32 v5, null, v17, v17, v16
	v_div_scale_f32 v23, vcc_lo, v14, v15, v14
	s_delay_alu instid0(VALU_DEP_3) | instskip(NEXT) | instid1(VALU_DEP_2)
	v_rcp_f32_e32 v18, v3
	v_rcp_f32_e32 v19, v5
	v_div_scale_f32 v24, s2, v16, v17, v16
	s_delay_alu instid0(TRANS32_DEP_2) | instskip(NEXT) | instid1(TRANS32_DEP_1)
	v_fma_f32 v21, -v3, v18, 1.0
	v_fma_f32 v22, -v5, v19, 1.0
	s_delay_alu instid0(VALU_DEP_1) | instskip(SKIP_1) | instid1(VALU_DEP_1)
	v_dual_fmac_f32 v18, v21, v18 :: v_dual_fmac_f32 v19, v22, v19
	v_rcp_f32_e32 v21, v20
	v_dual_mul_f32 v22, v23, v18 :: v_dual_mul_f32 v25, v24, v19
	s_delay_alu instid0(TRANS32_DEP_1) | instskip(NEXT) | instid1(VALU_DEP_2)
	v_fma_f32 v26, -v20, v21, 1.0
	v_dual_fma_f32 v27, -v3, v22, v23 :: v_dual_fma_f32 v28, -v5, v25, v24
	s_delay_alu instid0(VALU_DEP_1) | instskip(NEXT) | instid1(VALU_DEP_2)
	v_dual_fmac_f32 v22, v27, v18 :: v_dual_fmac_f32 v21, v26, v21
	v_fmac_f32_e32 v25, v28, v19
	v_fma_f32 v26, 0x3f317217, v6, -v30
	s_delay_alu instid0(VALU_DEP_3) | instskip(NEXT) | instid1(VALU_DEP_3)
	v_dual_fma_f32 v3, -v3, v22, v23 :: v_dual_mul_f32 v23, v29, v21
	v_fma_f32 v5, -v5, v25, v24
	s_delay_alu instid0(VALU_DEP_3) | instskip(NEXT) | instid1(VALU_DEP_3)
	v_fmamk_f32 v24, v6, 0x3377d1cf, v26
	v_div_fmas_f32 v22, v3, v18, v22
	s_mov_b32 vcc_lo, s2
	s_delay_alu instid0(VALU_DEP_3) | instskip(SKIP_2) | instid1(VALU_DEP_3)
	v_div_fmas_f32 v3, v5, v19, v25
	v_cmp_gt_f32_e64 vcc_lo, 0x7f800000, |v6|
	v_mov_b64_e32 v[18:19], 0xc16ae95ac244dfb3
	v_div_fixup_f32 v16, v3, v17, v16
	v_fmac_f32_e32 v24, 0x3f317217, v6
	s_delay_alu instid0(VALU_DEP_3) | instskip(NEXT) | instid1(VALU_DEP_2)
	v_pk_add_f32 v[2:3], v[2:3], v[18:19] op_sel_hi:[0,1]
	v_dual_cndmask_b32 v6, v6, v24, vcc_lo :: v_dual_fma_f32 v5, -v20, v23, v29
	s_mov_b32 vcc_lo, s3
	s_delay_alu instid0(VALU_DEP_1) | instskip(SKIP_2) | instid1(VALU_DEP_2)
	v_fmac_f32_e32 v23, v5, v21
	v_mul_f32_e32 v5, v13, v16
	v_cndmask_b32_e64 v16, 0, 0x41b17218, s1
	v_dual_fma_f32 v17, -v20, v23, v29 :: v_dual_mul_f32 v3, v3, v5
	s_delay_alu instid0(VALU_DEP_2) | instskip(NEXT) | instid1(VALU_DEP_2)
	v_sub_f32_e32 v6, v6, v16
	v_div_fmas_f32 v5, v17, v21, v23
	s_delay_alu instid0(VALU_DEP_3) | instskip(NEXT) | instid1(VALU_DEP_2)
	v_mul_f32_e32 v2, v2, v3
	v_div_fixup_f32 v3, v5, v13, -1.0
	v_div_fixup_f32 v5, v22, v15, v14
	s_delay_alu instid0(VALU_DEP_2) | instskip(NEXT) | instid1(VALU_DEP_1)
	v_fmac_f32_e32 v3, v6, v2
	v_mul_f32_e32 v2, 0x3f22f983, v3
	s_delay_alu instid0(VALU_DEP_1)
	v_fmac_f32_e32 v2, v13, v5
.LBB12_13:
	s_or_b32 exec_lo, exec_lo, s8
.LBB12_14:
	s_delay_alu instid0(SALU_CYCLE_1)
	s_or_b32 exec_lo, exec_lo, s7
                                        ; implicit-def: $vgpr13
.LBB12_15:
	s_and_not1_saveexec_b32 s6, s6
	s_cbranch_execz .LBB12_25
; %bb.16:
	v_add_f32_e32 v2, 0xc016cbe4, v13
                                        ; implicit-def: $vgpr6
                                        ; implicit-def: $vgpr5
	s_delay_alu instid0(VALU_DEP_1) | instskip(SKIP_1) | instid1(VALU_DEP_2)
	v_and_b32_e32 v3, 0x7fffffff, v2
	v_cmp_ngt_f32_e64 s3, 0x48000000, |v2|
	v_lshrrev_b32_e32 v14, 23, v3
	s_and_saveexec_b32 s1, s3
	s_delay_alu instid0(SALU_CYCLE_1)
	s_xor_b32 s7, exec_lo, s1
	s_cbranch_execz .LBB12_18
; %bb.17:
	s_mov_b32 s1, 0x7fffff
	v_mov_b32_e32 v17, 0
	v_and_or_b32 v16, v3, s1, 0x800000
	s_mov_b64 s[8:9], 0xfe5163ab
	v_add_nc_u32_e32 v5, 0xffffff88, v14
	s_delay_alu instid0(VALU_DEP_2) | instskip(NEXT) | instid1(VALU_DEP_2)
	v_mul_u64_e32 v[18:19], s[8:9], v[16:17]
	v_cmp_lt_u32_e32 vcc_lo, 63, v5
	v_cndmask_b32_e64 v6, 0, 0xffffffc0, vcc_lo
	s_delay_alu instid0(VALU_DEP_3) | instskip(SKIP_2) | instid1(VALU_DEP_3)
	v_dual_mov_b32 v20, v19 :: v_dual_mov_b32 v21, v17
	v_dual_mov_b32 v23, v17 :: v_dual_mov_b32 v25, v17
	;; [unrolled: 1-line block ×3, first 2 shown]
	v_mad_nc_u64_u32 v[20:21], 0x3c439041, v16, v[20:21]
	v_dual_add_nc_u32 v5, v6, v5 :: v_dual_mov_b32 v31, v17
	s_delay_alu instid0(VALU_DEP_1) | instskip(NEXT) | instid1(VALU_DEP_3)
	v_cmp_lt_u32_e64 s1, 31, v5
	v_mov_b32_e32 v22, v21
	s_delay_alu instid0(VALU_DEP_2) | instskip(NEXT) | instid1(VALU_DEP_2)
	v_cndmask_b32_e64 v6, 0, 0xffffffe0, s1
	v_mad_nc_u64_u32 v[22:23], 0xdb629599, v16, v[22:23]
	s_delay_alu instid0(VALU_DEP_2) | instskip(NEXT) | instid1(VALU_DEP_1)
	v_add_nc_u32_e32 v5, v6, v5
	v_cmp_lt_u32_e64 s2, 31, v5
	s_delay_alu instid0(VALU_DEP_3) | instskip(NEXT) | instid1(VALU_DEP_2)
	v_mov_b32_e32 v24, v23
	v_cndmask_b32_e64 v6, 0, 0xffffffe0, s2
	v_cndmask_b32_e32 v18, v22, v18, vcc_lo
	s_delay_alu instid0(VALU_DEP_3) | instskip(NEXT) | instid1(VALU_DEP_1)
	v_mad_nc_u64_u32 v[24:25], 0xf534ddc0, v16, v[24:25]
	v_dual_cndmask_b32 v6, v24, v20 :: v_dual_add_nc_u32 v5, v6, v5
	s_delay_alu instid0(VALU_DEP_2) | instskip(NEXT) | instid1(VALU_DEP_1)
	v_mov_b32_e32 v26, v25
	v_mad_nc_u64_u32 v[26:27], 0xfc2757d1, v16, v[26:27]
	s_delay_alu instid0(VALU_DEP_1) | instskip(NEXT) | instid1(VALU_DEP_1)
	v_dual_mov_b32 v28, v27 :: v_dual_cndmask_b32 v19, v26, v22
	v_mad_nc_u64_u32 v[28:29], 0x4e441529, v16, v[28:29]
	s_delay_alu instid0(VALU_DEP_1) | instskip(NEXT) | instid1(VALU_DEP_1)
	v_dual_mov_b32 v30, v29 :: v_dual_cndmask_b32 v15, v28, v24
	v_mad_nc_u64_u32 v[16:17], 0xa2f9836e, v16, v[30:31]
	s_delay_alu instid0(VALU_DEP_1) | instskip(SKIP_1) | instid1(VALU_DEP_2)
	v_dual_cndmask_b32 v16, v16, v26 :: v_dual_cndmask_b32 v17, v17, v28
	v_cmp_eq_u32_e32 vcc_lo, 0, v5
	v_dual_cndmask_b32 v20, v16, v15, s1 :: v_dual_cndmask_b32 v16, v17, v16, s1
	v_dual_cndmask_b32 v15, v15, v19, s1 :: v_dual_sub_nc_u32 v17, 32, v5
	v_cndmask_b32_e64 v19, v19, v6, s1
	s_delay_alu instid0(VALU_DEP_3) | instskip(NEXT) | instid1(VALU_DEP_3)
	v_dual_cndmask_b32 v6, v6, v18, s1 :: v_dual_cndmask_b32 v16, v16, v20, s2
	v_cndmask_b32_e64 v20, v20, v15, s2
	s_delay_alu instid0(VALU_DEP_1) | instskip(NEXT) | instid1(VALU_DEP_1)
	v_alignbit_b32 v21, v16, v20, v17
	v_dual_cndmask_b32 v15, v15, v19, s2 :: v_dual_cndmask_b32 v5, v21, v16, vcc_lo
	s_delay_alu instid0(VALU_DEP_1) | instskip(NEXT) | instid1(VALU_DEP_2)
	v_alignbit_b32 v22, v20, v15, v17
	v_bfe_u32 v18, v5, 29, 1
	s_delay_alu instid0(VALU_DEP_1) | instskip(SKIP_1) | instid1(VALU_DEP_2)
	v_dual_cndmask_b32 v16, v22, v20, vcc_lo :: v_dual_sub_nc_u32 v20, 0, v18
	v_cndmask_b32_e64 v6, v19, v6, s2
	v_alignbit_b32 v19, v5, v16, 30
	s_delay_alu instid0(VALU_DEP_2) | instskip(NEXT) | instid1(VALU_DEP_1)
	v_alignbit_b32 v17, v15, v6, v17
	v_dual_cndmask_b32 v15, v17, v15, vcc_lo :: v_dual_bitop2_b32 v19, v19, v20 bitop3:0x14
	s_delay_alu instid0(VALU_DEP_1) | instskip(NEXT) | instid1(VALU_DEP_2)
	v_clz_i32_u32_e32 v17, v19
	v_alignbit_b32 v16, v16, v15, 30
	s_delay_alu instid0(VALU_DEP_2) | instskip(SKIP_1) | instid1(VALU_DEP_2)
	v_min_u32_e32 v17, 32, v17
	v_alignbit_b32 v6, v15, v6, 30
	v_dual_sub_nc_u32 v16, 31, v17 :: v_dual_bitop2_b32 v15, v16, v20 bitop3:0x14
	s_delay_alu instid0(VALU_DEP_2) | instskip(SKIP_1) | instid1(VALU_DEP_3)
	v_dual_lshrrev_b32 v20, 29, v5 :: v_dual_bitop2_b32 v6, v6, v20 bitop3:0x14
	v_lshlrev_b32_e32 v21, 23, v17
	v_alignbit_b32 v19, v19, v15, v16
	s_delay_alu instid0(VALU_DEP_3) | instskip(NEXT) | instid1(VALU_DEP_4)
	v_alignbit_b32 v6, v15, v6, v16
	v_lshlrev_b32_e32 v15, 31, v20
	s_delay_alu instid0(VALU_DEP_2) | instskip(NEXT) | instid1(VALU_DEP_2)
	v_alignbit_b32 v16, v19, v6, 9
	v_or_b32_e32 v20, 0.5, v15
	v_or_b32_e32 v15, 0x33000000, v15
	v_lshrrev_b32_e32 v19, 9, v19
	s_delay_alu instid0(VALU_DEP_4) | instskip(NEXT) | instid1(VALU_DEP_4)
	v_clz_i32_u32_e32 v22, v16
	v_sub_nc_u32_e32 v20, v20, v21
	s_delay_alu instid0(VALU_DEP_2) | instskip(NEXT) | instid1(VALU_DEP_2)
	v_min_u32_e32 v21, 32, v22
	v_or_b32_e32 v19, v19, v20
	s_delay_alu instid0(VALU_DEP_2) | instskip(SKIP_1) | instid1(VALU_DEP_2)
	v_not_b32_e32 v20, v21
	v_add_lshl_u32 v17, v21, v17, 23
	v_alignbit_b32 v6, v16, v6, v20
	s_delay_alu instid0(VALU_DEP_1) | instskip(SKIP_1) | instid1(VALU_DEP_2)
	v_dual_sub_nc_u32 v15, v15, v17 :: v_dual_lshrrev_b32 v6, 9, v6
	v_mul_f32_e32 v22, 0x3fc90fda, v19
	v_or_b32_e32 v6, v15, v6
	s_delay_alu instid0(VALU_DEP_2) | instskip(NEXT) | instid1(VALU_DEP_1)
	v_fma_f32 v16, 0x3fc90fda, v19, -v22
	v_fmamk_f32 v16, v19, 0x33a22168, v16
	s_delay_alu instid0(VALU_DEP_1) | instskip(NEXT) | instid1(VALU_DEP_1)
	v_fmac_f32_e32 v16, 0x3fc90fda, v6
	v_dual_add_f32 v5, v22, v16 :: v_dual_lshrrev_b32 v6, 30, v5
	s_delay_alu instid0(VALU_DEP_1)
	v_add_nc_u32_e32 v6, v18, v6
	s_or_saveexec_b32 s1, s7
	v_mul_f32_e64 v17, 0x3f22f983, |v2|
	s_xor_b32 exec_lo, exec_lo, s1
	s_branch .LBB12_19
.LBB12_18:
	s_or_saveexec_b32 s1, s7
	v_mul_f32_e64 v17, 0x3f22f983, |v2|
	s_xor_b32 exec_lo, exec_lo, s1
.LBB12_19:
	s_delay_alu instid0(VALU_DEP_1) | instskip(NEXT) | instid1(VALU_DEP_1)
	v_rndne_f32_e32 v6, v17
	v_fma_f32 v5, 0xbfc90fda, v6, |v2|
	s_delay_alu instid0(VALU_DEP_1) | instskip(NEXT) | instid1(VALU_DEP_1)
	v_fmamk_f32 v5, v6, 0xb3a22168, v5
	v_fmamk_f32 v5, v6, 0xa7c234c4, v5
	v_cvt_i32_f32_e32 v6, v6
; %bb.20:
	s_or_b32 exec_lo, exec_lo, s1
                                        ; implicit-def: $vgpr16
                                        ; implicit-def: $vgpr15
	s_and_saveexec_b32 s1, s3
	s_delay_alu instid0(SALU_CYCLE_1)
	s_xor_b32 s3, exec_lo, s1
	s_cbranch_execz .LBB12_22
; %bb.21:
	s_mov_b32 s1, 0x7fffff
	v_mov_b32_e32 v17, 0
	v_and_or_b32 v16, v3, s1, 0x800000
	s_mov_b64 s[8:9], 0xfe5163ab
	s_delay_alu instid0(VALU_DEP_1) | instid1(SALU_CYCLE_1)
	v_mul_u64_e32 v[18:19], s[8:9], v[16:17]
	s_delay_alu instid0(VALU_DEP_1) | instskip(SKIP_2) | instid1(VALU_DEP_3)
	v_dual_mov_b32 v20, v19 :: v_dual_mov_b32 v21, v17
	v_dual_mov_b32 v23, v17 :: v_dual_mov_b32 v25, v17
	;; [unrolled: 1-line block ×3, first 2 shown]
	v_mad_nc_u64_u32 v[20:21], 0x3c439041, v16, v[20:21]
	v_add_nc_u32_e32 v19, 0xffffff88, v14
	s_delay_alu instid0(VALU_DEP_1) | instskip(NEXT) | instid1(VALU_DEP_3)
	v_cmp_lt_u32_e32 vcc_lo, 63, v19
	v_mov_b32_e32 v22, v21
	v_cndmask_b32_e64 v21, 0, 0xffffffc0, vcc_lo
	s_delay_alu instid0(VALU_DEP_2) | instskip(NEXT) | instid1(VALU_DEP_1)
	v_mad_nc_u64_u32 v[22:23], 0xdb629599, v16, v[22:23]
	v_dual_mov_b32 v24, v23 :: v_dual_cndmask_b32 v18, v22, v18, vcc_lo
	s_delay_alu instid0(VALU_DEP_1) | instskip(NEXT) | instid1(VALU_DEP_1)
	v_mad_nc_u64_u32 v[24:25], 0xf534ddc0, v16, v[24:25]
	v_mov_b32_e32 v26, v25
	s_delay_alu instid0(VALU_DEP_1) | instskip(NEXT) | instid1(VALU_DEP_1)
	v_mad_nc_u64_u32 v[26:27], 0xfc2757d1, v16, v[26:27]
	v_mov_b32_e32 v28, v27
	s_delay_alu instid0(VALU_DEP_1) | instskip(NEXT) | instid1(VALU_DEP_1)
	v_mad_nc_u64_u32 v[14:15], 0x4e441529, v16, v[28:29]
	v_dual_mov_b32 v28, v15 :: v_dual_add_nc_u32 v19, v21, v19
	s_delay_alu instid0(VALU_DEP_1) | instskip(NEXT) | instid1(VALU_DEP_3)
	v_cmp_lt_u32_e64 s1, 31, v19
	v_cndmask_b32_e32 v21, v14, v24, vcc_lo
	s_delay_alu instid0(VALU_DEP_3) | instskip(NEXT) | instid1(VALU_DEP_3)
	v_mad_nc_u64_u32 v[16:17], 0xa2f9836e, v16, v[28:29]
	v_cndmask_b32_e64 v15, 0, 0xffffffe0, s1
	s_delay_alu instid0(VALU_DEP_1) | instskip(NEXT) | instid1(VALU_DEP_1)
	v_add_nc_u32_e32 v15, v15, v19
	v_cmp_lt_u32_e64 s2, 31, v15
	s_delay_alu instid0(VALU_DEP_4) | instskip(NEXT) | instid1(VALU_DEP_2)
	v_cndmask_b32_e32 v14, v17, v14, vcc_lo
	v_cndmask_b32_e64 v19, 0, 0xffffffe0, s2
	s_delay_alu instid0(VALU_DEP_1) | instskip(SKIP_1) | instid1(VALU_DEP_2)
	v_dual_cndmask_b32 v16, v16, v26 :: v_dual_add_nc_u32 v15, v19, v15
	v_dual_cndmask_b32 v17, v26, v22, vcc_lo :: v_dual_cndmask_b32 v19, v24, v20, vcc_lo
	v_dual_cndmask_b32 v20, v16, v21, s1 :: v_dual_cndmask_b32 v14, v14, v16, s1
	s_delay_alu instid0(VALU_DEP_3) | instskip(NEXT) | instid1(VALU_DEP_3)
	v_cmp_eq_u32_e32 vcc_lo, 0, v15
	v_dual_cndmask_b32 v16, v21, v17, s1 :: v_dual_sub_nc_u32 v21, 32, v15
	s_delay_alu instid0(VALU_DEP_3) | instskip(NEXT) | instid1(VALU_DEP_2)
	v_dual_cndmask_b32 v17, v17, v19, s1 :: v_dual_cndmask_b32 v14, v14, v20, s2
	v_dual_cndmask_b32 v15, v19, v18, s1 :: v_dual_cndmask_b32 v20, v20, v16, s2
	s_delay_alu instid0(VALU_DEP_2) | instskip(NEXT) | instid1(VALU_DEP_2)
	v_cndmask_b32_e64 v16, v16, v17, s2
	v_alignbit_b32 v23, v14, v20, v21
	s_delay_alu instid0(VALU_DEP_2) | instskip(NEXT) | instid1(VALU_DEP_1)
	v_alignbit_b32 v22, v20, v16, v21
	v_dual_cndmask_b32 v14, v23, v14, vcc_lo :: v_dual_cndmask_b32 v18, v22, v20, vcc_lo
	s_delay_alu instid0(VALU_DEP_1) | instskip(NEXT) | instid1(VALU_DEP_1)
	v_bfe_u32 v19, v14, 29, 1
	v_sub_nc_u32_e32 v20, 0, v19
	v_cndmask_b32_e64 v15, v17, v15, s2
	s_delay_alu instid0(VALU_DEP_4) | instskip(NEXT) | instid1(VALU_DEP_1)
	v_alignbit_b32 v17, v14, v18, 30
	v_xor_b32_e32 v17, v17, v20
	s_delay_alu instid0(VALU_DEP_3) | instskip(NEXT) | instid1(VALU_DEP_1)
	v_alignbit_b32 v21, v16, v15, v21
	v_cndmask_b32_e32 v16, v21, v16, vcc_lo
	s_delay_alu instid0(VALU_DEP_3) | instskip(NEXT) | instid1(VALU_DEP_2)
	v_clz_i32_u32_e32 v21, v17
	v_alignbit_b32 v18, v18, v16, 30
	s_delay_alu instid0(VALU_DEP_2) | instskip(SKIP_1) | instid1(VALU_DEP_2)
	v_min_u32_e32 v21, 32, v21
	v_alignbit_b32 v15, v16, v15, 30
	v_dual_sub_nc_u32 v18, 31, v21 :: v_dual_bitop2_b32 v16, v18, v20 bitop3:0x14
	s_delay_alu instid0(VALU_DEP_2) | instskip(SKIP_1) | instid1(VALU_DEP_3)
	v_dual_lshrrev_b32 v20, 29, v14 :: v_dual_bitop2_b32 v15, v15, v20 bitop3:0x14
	v_dual_lshlrev_b32 v22, 23, v21 :: v_dual_lshrrev_b32 v14, 30, v14
	v_alignbit_b32 v17, v17, v16, v18
	s_delay_alu instid0(VALU_DEP_3) | instskip(NEXT) | instid1(VALU_DEP_4)
	v_alignbit_b32 v15, v16, v15, v18
	v_lshlrev_b32_e32 v16, 31, v20
	s_delay_alu instid0(VALU_DEP_2) | instskip(NEXT) | instid1(VALU_DEP_2)
	v_alignbit_b32 v18, v17, v15, 9
	v_dual_lshrrev_b32 v17, 9, v17 :: v_dual_bitop2_b32 v20, 0.5, v16 bitop3:0x54
	v_or_b32_e32 v16, 0x33000000, v16
	s_delay_alu instid0(VALU_DEP_3) | instskip(NEXT) | instid1(VALU_DEP_3)
	v_clz_i32_u32_e32 v23, v18
	v_sub_nc_u32_e32 v20, v20, v22
	s_delay_alu instid0(VALU_DEP_2) | instskip(NEXT) | instid1(VALU_DEP_1)
	v_min_u32_e32 v22, 32, v23
	v_add_lshl_u32 v21, v22, v21, 23
	s_delay_alu instid0(VALU_DEP_3) | instskip(SKIP_1) | instid1(VALU_DEP_3)
	v_or_b32_e32 v17, v17, v20
	v_not_b32_e32 v20, v22
	v_sub_nc_u32_e32 v16, v16, v21
	s_delay_alu instid0(VALU_DEP_3) | instskip(NEXT) | instid1(VALU_DEP_3)
	v_mul_f32_e32 v23, 0x3fc90fda, v17
	v_alignbit_b32 v15, v18, v15, v20
	s_delay_alu instid0(VALU_DEP_2) | instskip(NEXT) | instid1(VALU_DEP_2)
	v_fma_f32 v18, 0x3fc90fda, v17, -v23
	v_lshrrev_b32_e32 v15, 9, v15
	s_delay_alu instid0(VALU_DEP_2) | instskip(NEXT) | instid1(VALU_DEP_2)
	v_fmamk_f32 v17, v17, 0x33a22168, v18
	v_dual_add_nc_u32 v16, v19, v14 :: v_dual_bitop2_b32 v15, v16, v15 bitop3:0x54
	s_delay_alu instid0(VALU_DEP_1) | instskip(NEXT) | instid1(VALU_DEP_1)
	v_fmac_f32_e32 v17, 0x3fc90fda, v15
	v_add_f32_e32 v15, v23, v17
                                        ; implicit-def: $vgpr17
	s_and_not1_saveexec_b32 s1, s3
	s_cbranch_execnz .LBB12_23
	s_branch .LBB12_24
.LBB12_22:
	s_and_not1_saveexec_b32 s1, s3
.LBB12_23:
	v_rndne_f32_e32 v14, v17
	s_delay_alu instid0(VALU_DEP_1) | instskip(SKIP_1) | instid1(VALU_DEP_2)
	v_fma_f32 v15, 0xbfc90fda, v14, |v2|
	v_cvt_i32_f32_e32 v16, v14
	v_fmamk_f32 v15, v14, 0xb3a22168, v15
	s_delay_alu instid0(VALU_DEP_1)
	v_fmamk_f32 v15, v14, 0xa7c234c4, v15
.LBB12_24:
	s_or_b32 exec_lo, exec_lo, s1
	v_div_scale_f32 v14, null, v13, v13, 0x40a00000
	v_div_scale_f32 v19, vcc_lo, 0x40a00000, v13, 0x40a00000
	s_mov_b32 s1, 0xb94c1982
	v_rcp_f32_e32 v17, v14
	v_mul_f32_e32 v26, 0x4f800000, v13
	s_mov_b32 s2, 0x37d75334
	v_and_b32_e32 v21, 1, v16
	v_xor_b32_e32 v3, v3, v2
	s_delay_alu instid0(TRANS32_DEP_1) | instskip(NEXT) | instid1(VALU_DEP_1)
	v_fma_f32 v18, -v14, v17, 1.0
	v_fmac_f32_e32 v17, v18, v17
	s_delay_alu instid0(VALU_DEP_1) | instskip(NEXT) | instid1(VALU_DEP_1)
	v_mul_f32_e32 v18, v19, v17
	v_fma_f32 v20, -v14, v18, v19
	s_delay_alu instid0(VALU_DEP_1) | instskip(NEXT) | instid1(VALU_DEP_1)
	v_dual_fmac_f32 v18, v20, v17 :: v_dual_mul_f32 v20, v15, v15
	v_fma_f32 v14, -v14, v18, v19
	s_delay_alu instid0(VALU_DEP_2) | instskip(NEXT) | instid1(VALU_DEP_2)
	v_fmaak_f32 v29, s1, v20, 0x3c0881c4
	v_div_fmas_f32 v14, v14, v17, v18
	v_mul_f32_e32 v17, v5, v5
	s_delay_alu instid0(VALU_DEP_3) | instskip(SKIP_1) | instid1(VALU_DEP_4)
	v_fmaak_f32 v29, v20, v29, 0xbe2aaa9d
	v_dual_lshlrev_b32 v6, 30, v6 :: v_dual_bitop2_b32 v18, 1, v6 bitop3:0x40
	v_div_fixup_f32 v14, v14, v13, 0x40a00000
	s_delay_alu instid0(VALU_DEP_4) | instskip(SKIP_1) | instid1(VALU_DEP_4)
	v_fmaak_f32 v27, s1, v17, 0x3c0881c4
	v_cmp_gt_f32_e64 s1, 0xf800000, v13
	v_cmp_eq_u32_e64 s3, 0, v18
	v_and_b32_e32 v6, 0x80000000, v6
	v_dual_mul_f32 v19, v14, v14 :: v_dual_lshlrev_b32 v16, 30, v16
	s_delay_alu instid0(VALU_DEP_4) | instskip(SKIP_1) | instid1(VALU_DEP_3)
	v_cndmask_b32_e64 v13, v13, v26, s1
	v_fmaak_f32 v27, v17, v27, 0xbe2aaa9d
	v_dual_mul_f32 v29, v20, v29 :: v_dual_fmaak_f32 v22, 0, v19, 0x3d513fd3
	v_fmaak_f32 v23, 0, v19, 0x3a15c4d9
	v_fmaak_f32 v25, 0, v19, 0x3a47c962
	v_sqrt_f32_e32 v33, v13
	v_fmaak_f32 v24, 0, v19, 0x42947983
	v_dual_fmaak_f32 v22, v19, v22, 0x409f6dae :: v_dual_mul_f32 v27, v17, v27
	v_fmaak_f32 v23, v19, v23, 0x3d8cfeeb
	v_fmaak_f32 v25, v19, v25, 0x3d95ca45
	v_dual_fmaak_f32 v30, s2, v20, 0xbab64f3b :: v_dual_fmac_f32 v15, v15, v29
	s_delay_alu instid0(TRANS32_DEP_1) | instid1(VALU_DEP_3)
	v_dual_fmaak_f32 v23, v19, v23, 0x3f8d754e :: v_dual_add_nc_u32 v38, 1, v33
	s_delay_alu instid0(VALU_DEP_3) | instskip(SKIP_1) | instid1(VALU_DEP_4)
	v_fmaak_f32 v25, v19, v25, 0x3f9047f6
	v_fmaak_f32 v22, v19, v22, 0x4297a5cd
	v_dual_fmaak_f32 v30, v20, v30, 0x3d2aabf7 :: v_dual_fmac_f32 v5, v5, v27
	s_delay_alu instid0(VALU_DEP_4) | instskip(NEXT) | instid1(VALU_DEP_4)
	v_fmaak_f32 v23, v19, v23, 0x40a25d18
	v_fmaak_f32 v25, v19, v25, 0x40a39628
	s_delay_alu instid0(VALU_DEP_4) | instskip(NEXT) | instid1(VALU_DEP_4)
	v_fmaak_f32 v22, v19, v22, 0x43b763ca
	v_fmaak_f32 v30, v20, v30, 0xbf000004
	;; [unrolled: 3-line block ×3, first 2 shown]
	s_delay_alu instid0(VALU_DEP_4) | instskip(NEXT) | instid1(VALU_DEP_4)
	v_fmaak_f32 v22, v19, v22, 0x4431b6ce
	v_fma_f32 v20, v20, v30, 1.0
	s_delay_alu instid0(VALU_DEP_4) | instskip(NEXT) | instid1(VALU_DEP_4)
	v_fmaak_f32 v23, v19, v23, 0x40a6b6ea
	v_fmaak_f32 v25, v19, v25, 0x40a6dd51
	s_delay_alu instid0(VALU_DEP_4) | instskip(NEXT) | instid1(VALU_DEP_3)
	v_fmaak_f32 v22, v19, v22, 0x44155f56
	v_fma_f32 v23, v19, v23, 1.0
	s_delay_alu instid0(VALU_DEP_3) | instskip(NEXT) | instid1(VALU_DEP_3)
	v_fma_f32 v25, v19, v25, 1.0
	v_fmaak_f32 v22, v19, v22, 0x4353b052
	s_delay_alu instid0(VALU_DEP_2) | instskip(SKIP_1) | instid1(VALU_DEP_1)
	v_div_scale_f32 v36, vcc_lo, v25, v23, v25
	v_fmaak_f32 v24, v19, v24, 0x44840e5d
	v_fmaak_f32 v24, v19, v24, 0x459bd349
	s_delay_alu instid0(VALU_DEP_1) | instskip(NEXT) | instid1(VALU_DEP_1)
	v_fmaak_f32 v24, v19, v24, 0x46156947
	v_fmaak_f32 v24, v19, v24, 0x45f9e855
	s_delay_alu instid0(VALU_DEP_1) | instskip(NEXT) | instid1(VALU_DEP_1)
	v_fmaak_f32 v24, v19, v24, 0x4530a316
	v_fmaak_f32 v24, v19, v24, 0x43a80bfb
	;; [unrolled: 1-line block ×3, first 2 shown]
	v_div_scale_f32 v22, null, v23, v23, v25
	s_delay_alu instid0(VALU_DEP_2) | instskip(NEXT) | instid1(VALU_DEP_2)
	v_div_scale_f32 v26, null, v24, v24, v19
	v_rcp_f32_e32 v31, v22
	s_delay_alu instid0(VALU_DEP_1) | instskip(NEXT) | instid1(TRANS32_DEP_2)
	v_rcp_f32_e32 v32, v26
	v_fma_f32 v34, -v22, v31, 1.0
	s_delay_alu instid0(TRANS32_DEP_1) | instskip(NEXT) | instid1(VALU_DEP_1)
	v_fma_f32 v35, -v26, v32, 1.0
	v_dual_fmac_f32 v31, v34, v31 :: v_dual_fmac_f32 v32, v35, v32
	s_delay_alu instid0(VALU_DEP_1) | instskip(NEXT) | instid1(VALU_DEP_1)
	v_dual_add_nc_u32 v35, -1, v33 :: v_dual_mul_f32 v37, v36, v31
	v_fma_f32 v27, -v22, v37, v36
	v_fmaak_f32 v28, s2, v17, 0xbab64f3b
	v_div_scale_f32 v34, s2, v19, v24, v19
	s_delay_alu instid0(VALU_DEP_4) | instskip(NEXT) | instid1(VALU_DEP_3)
	v_fma_f32 v29, -v35, v33, v13
	v_dual_fmac_f32 v37, v27, v31 :: v_dual_fmaak_f32 v28, v17, v28, 0x3d2aabf7
	s_delay_alu instid0(VALU_DEP_3) | instskip(NEXT) | instid1(VALU_DEP_2)
	v_mul_f32_e32 v39, v34, v32
	v_fmaak_f32 v28, v17, v28, 0xbf000004
	s_delay_alu instid0(VALU_DEP_1) | instskip(NEXT) | instid1(VALU_DEP_3)
	v_fma_f32 v17, v17, v28, 1.0
	v_fma_f32 v28, -v26, v39, v34
	s_delay_alu instid0(VALU_DEP_1) | instskip(SKIP_3) | instid1(VALU_DEP_4)
	v_dual_fmac_f32 v39, v28, v32 :: v_dual_cndmask_b32 v5, v17, v5, s3
	v_fma_f32 v17, -v22, v37, v36
	v_cmp_eq_u32_e64 s3, 0, v21
	v_fma_f32 v27, -v38, v33, v13
	v_fma_f32 v18, -v26, v39, v34
	v_xor3_b32 v3, v3, v6, v5
	v_div_fmas_f32 v17, v17, v31, v37
	s_mov_b32 vcc_lo, s2
	v_cndmask_b32_e64 v15, -v15, v20, s3
	v_div_fmas_f32 v18, v18, v32, v39
	v_cmp_ge_f32_e32 vcc_lo, 0, v29
	v_cmp_lt_f32_e64 s2, 0, v27
	s_delay_alu instid0(VALU_DEP_3) | instskip(SKIP_4) | instid1(VALU_DEP_4)
	v_div_fixup_f32 v5, v18, v24, v19
	v_cndmask_b32_e32 v20, v33, v35, vcc_lo
	v_cmp_class_f32_e64 vcc_lo, v2, 0x1f8
	v_bitop3_b32 v2, v16, v15, 0x80000000 bitop3:0x6c
	v_div_fixup_f32 v15, v17, v23, v25
	v_dual_mul_f32 v5, v14, v5 :: v_dual_cndmask_b32 v6, v20, v38, s2
	v_cndmask_b32_e32 v3, 0x7fc00000, v3, vcc_lo
	s_delay_alu instid0(VALU_DEP_4) | instskip(SKIP_1) | instid1(VALU_DEP_4)
	v_cndmask_b32_e32 v2, 0x7fc00000, v2, vcc_lo
	v_cmp_class_f32_e64 vcc_lo, v13, 0x260
	v_mul_f32_e32 v14, 0x37800000, v6
	s_delay_alu instid0(VALU_DEP_3) | instskip(NEXT) | instid1(VALU_DEP_1)
	v_mul_f32_e32 v2, v5, v2
	v_dual_cndmask_b32 v5, v6, v14, s1 :: v_dual_fmac_f32 v2, v15, v3
	s_delay_alu instid0(VALU_DEP_1) | instskip(NEXT) | instid1(VALU_DEP_1)
	v_dual_cndmask_b32 v3, v5, v13 :: v_dual_mul_f32 v2, 0x3f4c422a, v2
	v_div_scale_f32 v5, null, v3, v3, v2
	s_delay_alu instid0(VALU_DEP_1) | instskip(SKIP_1) | instid1(TRANS32_DEP_1)
	v_rcp_f32_e32 v6, v5
	v_nop
	v_fma_f32 v13, -v5, v6, 1.0
	s_delay_alu instid0(VALU_DEP_1) | instskip(SKIP_1) | instid1(VALU_DEP_1)
	v_fmac_f32_e32 v6, v13, v6
	v_div_scale_f32 v13, vcc_lo, v2, v3, v2
	v_mul_f32_e32 v14, v13, v6
	s_delay_alu instid0(VALU_DEP_1) | instskip(NEXT) | instid1(VALU_DEP_1)
	v_fma_f32 v15, -v5, v14, v13
	v_fmac_f32_e32 v14, v15, v6
	s_delay_alu instid0(VALU_DEP_1) | instskip(NEXT) | instid1(VALU_DEP_1)
	v_fma_f32 v5, -v5, v14, v13
	v_div_fmas_f32 v5, v5, v6, v14
	s_delay_alu instid0(VALU_DEP_1)
	v_div_fixup_f32 v2, v5, v3, v2
.LBB12_25:
	s_or_b32 exec_lo, exec_lo, s6
	v_mov_b32_e32 v5, 0
	s_delay_alu instid0(VALU_DEP_1)
	v_dual_mov_b32 v6, v5 :: v_dual_mov_b32 v3, v5
.LBB12_26:
	s_or_b32 exec_lo, exec_lo, s5
	s_delay_alu instid0(SALU_CYCLE_1)
	s_mov_b32 s5, exec_lo
	v_cmpx_lt_i32_e64 v10, v4
	s_cbranch_execz .LBB12_44
; %bb.27:
	s_mov_b32 s1, exec_lo
	s_wait_loadcnt_dscnt 0x0
	v_cmpx_ge_f32_e32 0x40a00000, v12
	s_xor_b32 s6, exec_lo, s1
                                        ; implicit-def: $vgpr5
	s_cbranch_execz .LBB12_33
; %bb.28:
	v_mov_b32_e32 v5, 0xff800000
	s_mov_b32 s7, exec_lo
	v_cmpx_neq_f32_e32 0, v12
	s_cbranch_execz .LBB12_32
; %bb.29:
	v_mov_b32_e32 v5, 0x7fc00000
	s_mov_b32 s8, exec_lo
	v_cmpx_nge_f32_e32 0, v12
	s_cbranch_execz .LBB12_31
; %bb.30:
	v_mul_f32_e32 v14, v12, v12
	v_mov_b64_e32 v[16:17], 0x4c8c277d4e9695f3
	v_mov_b64_e32 v[20:21], 0x508bc61dd316b96b
	v_mov_b64_e32 v[22:23], 0x5461faf856d04aa6
	v_mov_b64_e32 v[24:25], 0x548a37dcce5691e2
	v_dual_fmaak_f32 v5, 0, v14, 0x4414934d :: v_dual_mul_f32 v18, 0, v14
	v_fmaak_f32 v13, 0, v14, 0x441b3589
	v_mov_b64_e32 v[26:27], 0x5832585252d295d0
	v_cmp_gt_f32_e64 s1, 0x800000, v12
	s_delay_alu instid0(VALU_DEP_4) | instskip(SKIP_2) | instid1(VALU_DEP_3)
	v_fmaak_f32 v5, v14, v5, 0x48660b06
	v_div_scale_f32 v31, s3, -1.0, v12, -1.0
	v_fmaak_f32 v13, v14, v13, 0x487af6d0
	v_mul_f32_e32 v19, v14, v5
	s_delay_alu instid0(VALU_DEP_2) | instskip(NEXT) | instid1(VALU_DEP_2)
	v_fmaak_f32 v5, v14, v13, 0x4c9f4aa7
	v_pk_add_f32 v[16:17], v[18:19], v[16:17]
	s_delay_alu instid0(VALU_DEP_2) | instskip(NEXT) | instid1(VALU_DEP_2)
	v_fmaak_f32 v5, v14, v5, 0x50a509fc
	v_pk_fma_f32 v[16:17], v[14:15], v[16:17], v[20:21] op_sel_hi:[0,1,1]
	v_mov_b64_e32 v[20:21], 0x580d1937d9e700d2
	s_delay_alu instid0(VALU_DEP_3) | instskip(NEXT) | instid1(VALU_DEP_3)
	v_mul_f32_e32 v19, v14, v5
	v_pk_fma_f32 v[16:17], v[14:15], v[16:17], v[22:23] op_sel_hi:[0,1,1]
	v_mov_b64_e32 v[22:23], 0x5b741f1e5c33cd68
	s_delay_alu instid0(VALU_DEP_3) | instskip(SKIP_1) | instid1(VALU_DEP_4)
	v_pk_add_f32 v[18:19], v[18:19], v[24:25]
	v_mov_b64_e32 v[24:25], 0x5b9f0600d6845497
	v_pk_fma_f32 v[16:17], v[14:15], v[16:17], v[20:21] op_sel_hi:[0,1,1]
	v_mov_b64_e32 v[20:21], 0x5e5c878ddd2cf20b
	s_delay_alu instid0(VALU_DEP_4) | instskip(SKIP_1) | instid1(VALU_DEP_4)
	v_pk_fma_f32 v[18:19], v[14:15], v[18:19], v[26:27] op_sel_hi:[0,1,1]
	v_mov_b64_e32 v[26:27], 0x5e93bcac59515a15
	v_pk_fma_f32 v[16:17], v[14:15], v[16:17], v[22:23] op_sel_hi:[0,1,1]
	v_div_scale_f32 v22, null, v12, v12, -1.0
	s_delay_alu instid0(VALU_DEP_4) | instskip(NEXT) | instid1(VALU_DEP_3)
	v_pk_fma_f32 v[18:19], v[14:15], v[18:19], v[24:25] op_sel_hi:[0,1,1]
	v_pk_fma_f32 v[16:17], v[14:15], v[16:17], v[20:21] op_sel_hi:[0,1,1]
	s_delay_alu instid0(VALU_DEP_2) | instskip(SKIP_1) | instid1(VALU_DEP_3)
	v_pk_fma_f32 v[18:19], v[14:15], v[18:19], v[26:27] op_sel_hi:[0,1,1]
	v_cndmask_b32_e64 v15, 0, 32, s1
	v_div_scale_f32 v5, null, v17, v17, v16
	v_div_scale_f32 v25, vcc_lo, v16, v17, v16
	s_delay_alu instid0(VALU_DEP_4) | instskip(NEXT) | instid1(VALU_DEP_3)
	v_div_scale_f32 v13, null, v19, v19, v18
	v_rcp_f32_e32 v20, v5
	v_ldexp_f32 v15, v12, v15
	v_div_scale_f32 v26, s2, v18, v19, v18
	s_delay_alu instid0(VALU_DEP_3) | instskip(NEXT) | instid1(VALU_DEP_2)
	v_rcp_f32_e32 v21, v13
	v_log_f32_e32 v28, v15
	s_delay_alu instid0(TRANS32_DEP_3) | instskip(NEXT) | instid1(TRANS32_DEP_2)
	v_fma_f32 v23, -v5, v20, 1.0
	v_fma_f32 v24, -v13, v21, 1.0
	s_delay_alu instid0(VALU_DEP_2)
	v_fmac_f32_e32 v20, v23, v20
	v_rcp_f32_e32 v23, v22
	s_delay_alu instid0(TRANS32_DEP_2) | instid1(VALU_DEP_2)
	v_dual_mul_f32 v32, 0x3f317217, v28 :: v_dual_fmac_f32 v21, v24, v21
	s_delay_alu instid0(VALU_DEP_2) | instskip(NEXT) | instid1(TRANS32_DEP_1)
	v_mul_f32_e32 v24, v25, v20
	v_fma_f32 v15, -v22, v23, 1.0
	s_delay_alu instid0(VALU_DEP_2) | instskip(NEXT) | instid1(VALU_DEP_1)
	v_dual_mul_f32 v27, v26, v21 :: v_dual_fma_f32 v29, -v5, v24, v25
	v_fma_f32 v30, -v13, v27, v26
	s_delay_alu instid0(VALU_DEP_2) | instskip(SKIP_1) | instid1(VALU_DEP_2)
	v_dual_fmac_f32 v24, v29, v20 :: v_dual_fmac_f32 v23, v15, v23
	v_fma_f32 v15, 0x3f317217, v28, -v32
	v_dual_fmac_f32 v27, v30, v21 :: v_dual_fma_f32 v5, -v5, v24, v25
	s_delay_alu instid0(VALU_DEP_3) | instskip(NEXT) | instid1(VALU_DEP_2)
	v_mul_f32_e32 v25, v31, v23
	v_fma_f32 v13, -v13, v27, v26
	s_delay_alu instid0(VALU_DEP_3) | instskip(SKIP_1) | instid1(VALU_DEP_3)
	v_div_fmas_f32 v5, v5, v20, v24
	s_mov_b32 vcc_lo, s2
	v_fma_f32 v24, -v22, v25, v31
	s_delay_alu instid0(VALU_DEP_3) | instskip(SKIP_2) | instid1(VALU_DEP_3)
	v_div_fmas_f32 v13, v13, v21, v27
	v_mov_b64_e32 v[20:21], 0xc16ae95ac244dfb3
	v_cmp_gt_f32_e64 vcc_lo, 0x7f800000, |v28|
	v_div_fixup_f32 v13, v13, v19, v18
	v_cndmask_b32_e64 v18, 0, 0x41b17218, s1
	s_delay_alu instid0(VALU_DEP_2) | instskip(SKIP_2) | instid1(VALU_DEP_1)
	v_mul_f32_e32 v13, v12, v13
	v_fmamk_f32 v26, v28, 0x3377d1cf, v15
	v_pk_add_f32 v[14:15], v[14:15], v[20:21] op_sel_hi:[0,1]
	v_dual_mul_f32 v13, v15, v13 :: v_dual_fmac_f32 v25, v24, v23
	s_delay_alu instid0(VALU_DEP_1) | instskip(NEXT) | instid1(VALU_DEP_1)
	v_dual_fmac_f32 v26, 0x3f317217, v28 :: v_dual_mul_f32 v13, v14, v13
	v_dual_fma_f32 v19, -v22, v25, v31 :: v_dual_cndmask_b32 v20, v28, v26, vcc_lo
	s_mov_b32 vcc_lo, s3
	s_delay_alu instid0(VALU_DEP_1) | instskip(NEXT) | instid1(VALU_DEP_2)
	v_div_fmas_f32 v15, v19, v23, v25
	v_sub_f32_e32 v18, v20, v18
	s_delay_alu instid0(VALU_DEP_2) | instskip(NEXT) | instid1(VALU_DEP_1)
	v_div_fixup_f32 v14, v15, v12, -1.0
	v_fmac_f32_e32 v14, v18, v13
	v_div_fixup_f32 v13, v5, v17, v16
	s_delay_alu instid0(VALU_DEP_2) | instskip(NEXT) | instid1(VALU_DEP_1)
	v_mul_f32_e32 v5, 0x3f22f983, v14
	v_fmac_f32_e32 v5, v12, v13
.LBB12_31:
	s_or_b32 exec_lo, exec_lo, s8
.LBB12_32:
	s_delay_alu instid0(SALU_CYCLE_1)
	s_or_b32 exec_lo, exec_lo, s7
                                        ; implicit-def: $vgpr12
.LBB12_33:
	s_and_not1_saveexec_b32 s6, s6
	s_cbranch_execz .LBB12_43
; %bb.34:
	v_add_f32_e32 v5, 0xc016cbe4, v12
                                        ; implicit-def: $vgpr15
                                        ; implicit-def: $vgpr14
	s_delay_alu instid0(VALU_DEP_1) | instskip(NEXT) | instid1(VALU_DEP_1)
	v_and_b32_e32 v13, 0x7fffffff, v5
	v_lshrrev_b32_e32 v16, 23, v13
	v_cmp_ngt_f32_e64 s3, 0x48000000, |v5|
	s_and_saveexec_b32 s1, s3
	s_delay_alu instid0(SALU_CYCLE_1)
	s_xor_b32 s7, exec_lo, s1
	s_cbranch_execz .LBB12_36
; %bb.35:
	s_mov_b32 s1, 0x7fffff
	v_mov_b32_e32 v15, 0
	v_and_or_b32 v14, v13, s1, 0x800000
	s_mov_b64 s[8:9], 0xfe5163ab
	v_add_nc_u32_e32 v17, 0xffffff88, v16
	s_delay_alu instid0(VALU_DEP_2) | instskip(NEXT) | instid1(VALU_DEP_2)
	v_mul_u64_e32 v[18:19], s[8:9], v[14:15]
	v_cmp_lt_u32_e32 vcc_lo, 63, v17
	s_delay_alu instid0(VALU_DEP_2) | instskip(SKIP_2) | instid1(VALU_DEP_3)
	v_dual_mov_b32 v20, v19 :: v_dual_mov_b32 v21, v15
	v_dual_mov_b32 v23, v15 :: v_dual_mov_b32 v25, v15
	;; [unrolled: 1-line block ×3, first 2 shown]
	v_mad_nc_u64_u32 v[20:21], 0x3c439041, v14, v[20:21]
	v_cndmask_b32_e64 v19, 0, 0xffffffc0, vcc_lo
	s_delay_alu instid0(VALU_DEP_2) | instskip(NEXT) | instid1(VALU_DEP_1)
	v_mov_b32_e32 v22, v21
	v_mad_nc_u64_u32 v[22:23], 0xdb629599, v14, v[22:23]
	s_delay_alu instid0(VALU_DEP_1) | instskip(NEXT) | instid1(VALU_DEP_1)
	v_dual_mov_b32 v24, v23 :: v_dual_cndmask_b32 v18, v22, v18, vcc_lo
	v_mad_nc_u64_u32 v[24:25], 0xf534ddc0, v14, v[24:25]
	s_delay_alu instid0(VALU_DEP_1) | instskip(NEXT) | instid1(VALU_DEP_1)
	v_mov_b32_e32 v26, v25
	v_mad_nc_u64_u32 v[26:27], 0xfc2757d1, v14, v[26:27]
	s_delay_alu instid0(VALU_DEP_1) | instskip(NEXT) | instid1(VALU_DEP_1)
	v_dual_mov_b32 v28, v27 :: v_dual_cndmask_b32 v23, v26, v22
	v_mad_nc_u64_u32 v[28:29], 0x4e441529, v14, v[28:29]
	v_add_nc_u32_e32 v17, v19, v17
	s_delay_alu instid0(VALU_DEP_2) | instskip(NEXT) | instid1(VALU_DEP_3)
	v_dual_mov_b32 v31, v15 :: v_dual_cndmask_b32 v21, v28, v24, vcc_lo
	v_mov_b32_e32 v30, v29
	s_delay_alu instid0(VALU_DEP_3) | instskip(NEXT) | instid1(VALU_DEP_2)
	v_cmp_lt_u32_e64 s1, 31, v17
	v_mad_nc_u64_u32 v[14:15], 0xa2f9836e, v14, v[30:31]
	s_delay_alu instid0(VALU_DEP_2) | instskip(NEXT) | instid1(VALU_DEP_1)
	v_cndmask_b32_e64 v19, 0, 0xffffffe0, s1
	v_dual_cndmask_b32 v14, v14, v26 :: v_dual_add_nc_u32 v17, v19, v17
	s_delay_alu instid0(VALU_DEP_1) | instskip(NEXT) | instid1(VALU_DEP_4)
	v_cmp_lt_u32_e64 s2, 31, v17
	v_cndmask_b32_e32 v15, v15, v28, vcc_lo
	s_delay_alu instid0(VALU_DEP_2) | instskip(NEXT) | instid1(VALU_DEP_1)
	v_cndmask_b32_e64 v19, 0, 0xffffffe0, s2
	v_dual_add_nc_u32 v17, v19, v17 :: v_dual_cndmask_b32 v19, v24, v20, vcc_lo
	s_delay_alu instid0(VALU_DEP_3) | instskip(NEXT) | instid1(VALU_DEP_2)
	v_dual_cndmask_b32 v20, v14, v21, s1 :: v_dual_cndmask_b32 v14, v15, v14, s1
	v_dual_cndmask_b32 v15, v21, v23, s1 :: v_dual_sub_nc_u32 v21, 32, v17
	s_delay_alu instid0(VALU_DEP_3) | instskip(SKIP_1) | instid1(VALU_DEP_3)
	v_cndmask_b32_e64 v23, v23, v19, s1
	v_cmp_eq_u32_e32 vcc_lo, 0, v17
	v_dual_cndmask_b32 v14, v14, v20, s2 :: v_dual_cndmask_b32 v20, v20, v15, s2
	s_delay_alu instid0(VALU_DEP_1) | instskip(NEXT) | instid1(VALU_DEP_1)
	v_alignbit_b32 v24, v14, v20, v21
	v_dual_cndmask_b32 v15, v15, v23, s2 :: v_dual_cndmask_b32 v14, v24, v14, vcc_lo
	s_delay_alu instid0(VALU_DEP_1) | instskip(SKIP_1) | instid1(VALU_DEP_3)
	v_alignbit_b32 v22, v20, v15, v21
	v_cndmask_b32_e64 v17, v19, v18, s1
	v_bfe_u32 v19, v14, 29, 1
	s_delay_alu instid0(VALU_DEP_2) | instskip(NEXT) | instid1(VALU_DEP_2)
	v_dual_cndmask_b32 v18, v22, v20, vcc_lo :: v_dual_cndmask_b32 v17, v23, v17, s2
	v_sub_nc_u32_e32 v22, 0, v19
	s_delay_alu instid0(VALU_DEP_2) | instskip(NEXT) | instid1(VALU_DEP_3)
	v_alignbit_b32 v20, v14, v18, 30
	v_alignbit_b32 v21, v15, v17, v21
	s_delay_alu instid0(VALU_DEP_1) | instskip(NEXT) | instid1(VALU_DEP_1)
	v_dual_cndmask_b32 v15, v21, v15, vcc_lo :: v_dual_bitop2_b32 v20, v20, v22 bitop3:0x14
	v_clz_i32_u32_e32 v21, v20
	s_delay_alu instid0(VALU_DEP_2) | instskip(SKIP_1) | instid1(VALU_DEP_3)
	v_alignbit_b32 v18, v18, v15, 30
	v_alignbit_b32 v15, v15, v17, 30
	v_min_u32_e32 v21, 32, v21
	s_delay_alu instid0(VALU_DEP_3) | instskip(NEXT) | instid1(VALU_DEP_3)
	v_xor_b32_e32 v17, v18, v22
	v_xor_b32_e32 v15, v15, v22
	s_delay_alu instid0(VALU_DEP_3) | instskip(SKIP_1) | instid1(VALU_DEP_1)
	v_dual_lshrrev_b32 v22, 29, v14 :: v_dual_lshlrev_b32 v23, 23, v21
	v_sub_nc_u32_e32 v18, 31, v21
	v_alignbit_b32 v20, v20, v17, v18
	s_delay_alu instid0(VALU_DEP_4) | instskip(NEXT) | instid1(VALU_DEP_4)
	v_alignbit_b32 v15, v17, v15, v18
	v_lshlrev_b32_e32 v17, 31, v22
	s_delay_alu instid0(VALU_DEP_2) | instskip(NEXT) | instid1(VALU_DEP_2)
	v_alignbit_b32 v18, v20, v15, 9
	v_dual_lshrrev_b32 v20, 9, v20 :: v_dual_bitop2_b32 v22, 0.5, v17 bitop3:0x54
	v_or_b32_e32 v17, 0x33000000, v17
	s_delay_alu instid0(VALU_DEP_3) | instskip(NEXT) | instid1(VALU_DEP_3)
	v_clz_i32_u32_e32 v24, v18
	v_sub_nc_u32_e32 v22, v22, v23
	s_delay_alu instid0(VALU_DEP_2) | instskip(NEXT) | instid1(VALU_DEP_1)
	v_min_u32_e32 v23, 32, v24
	v_add_lshl_u32 v21, v23, v21, 23
	s_delay_alu instid0(VALU_DEP_1) | instskip(SKIP_1) | instid1(VALU_DEP_1)
	v_dual_sub_nc_u32 v17, v17, v21 :: v_dual_bitop2_b32 v20, v20, v22 bitop3:0x54
	v_not_b32_e32 v22, v23
	v_alignbit_b32 v15, v18, v15, v22
	s_delay_alu instid0(VALU_DEP_1) | instskip(NEXT) | instid1(VALU_DEP_1)
	v_dual_mul_f32 v24, 0x3fc90fda, v20 :: v_dual_lshrrev_b32 v15, 9, v15
	v_or_b32_e32 v15, v17, v15
	s_delay_alu instid0(VALU_DEP_2) | instskip(NEXT) | instid1(VALU_DEP_1)
	v_fma_f32 v18, 0x3fc90fda, v20, -v24
	v_fmamk_f32 v18, v20, 0x33a22168, v18
	s_delay_alu instid0(VALU_DEP_1) | instskip(NEXT) | instid1(VALU_DEP_1)
	v_dual_fmac_f32 v18, 0x3fc90fda, v15 :: v_dual_lshrrev_b32 v15, 30, v14
	v_dual_add_f32 v14, v24, v18 :: v_dual_add_nc_u32 v15, v19, v15
	s_or_saveexec_b32 s1, s7
	v_mul_f32_e64 v19, 0x3f22f983, |v5|
	s_xor_b32 exec_lo, exec_lo, s1
	s_branch .LBB12_37
.LBB12_36:
	s_or_saveexec_b32 s1, s7
	v_mul_f32_e64 v19, 0x3f22f983, |v5|
	s_xor_b32 exec_lo, exec_lo, s1
.LBB12_37:
	s_delay_alu instid0(VALU_DEP_1) | instskip(NEXT) | instid1(VALU_DEP_1)
	v_rndne_f32_e32 v15, v19
	v_fma_f32 v14, 0xbfc90fda, v15, |v5|
	s_delay_alu instid0(VALU_DEP_1) | instskip(NEXT) | instid1(VALU_DEP_1)
	v_fmamk_f32 v14, v15, 0xb3a22168, v14
	v_fmamk_f32 v14, v15, 0xa7c234c4, v14
	v_cvt_i32_f32_e32 v15, v15
; %bb.38:
	s_or_b32 exec_lo, exec_lo, s1
                                        ; implicit-def: $vgpr18
                                        ; implicit-def: $vgpr17
	s_and_saveexec_b32 s1, s3
	s_delay_alu instid0(SALU_CYCLE_1)
	s_xor_b32 s3, exec_lo, s1
	s_cbranch_execz .LBB12_40
; %bb.39:
	s_mov_b32 s1, 0x7fffff
	v_mov_b32_e32 v19, 0
	v_and_or_b32 v18, v13, s1, 0x800000
	s_mov_b64 s[8:9], 0xfe5163ab
	s_delay_alu instid0(VALU_DEP_1) | instid1(SALU_CYCLE_1)
	v_mul_u64_e32 v[20:21], s[8:9], v[18:19]
	s_delay_alu instid0(VALU_DEP_1) | instskip(SKIP_2) | instid1(VALU_DEP_3)
	v_dual_mov_b32 v22, v21 :: v_dual_mov_b32 v23, v19
	v_dual_mov_b32 v25, v19 :: v_dual_mov_b32 v27, v19
	;; [unrolled: 1-line block ×3, first 2 shown]
	v_mad_nc_u64_u32 v[22:23], 0x3c439041, v18, v[22:23]
	v_add_nc_u32_e32 v21, 0xffffff88, v16
	s_delay_alu instid0(VALU_DEP_1) | instskip(NEXT) | instid1(VALU_DEP_3)
	v_cmp_lt_u32_e32 vcc_lo, 63, v21
	v_mov_b32_e32 v24, v23
	v_cndmask_b32_e64 v23, 0, 0xffffffc0, vcc_lo
	s_delay_alu instid0(VALU_DEP_2) | instskip(NEXT) | instid1(VALU_DEP_1)
	v_mad_nc_u64_u32 v[24:25], 0xdb629599, v18, v[24:25]
	v_dual_mov_b32 v26, v25 :: v_dual_cndmask_b32 v20, v24, v20, vcc_lo
	s_delay_alu instid0(VALU_DEP_1) | instskip(NEXT) | instid1(VALU_DEP_1)
	v_mad_nc_u64_u32 v[26:27], 0xf534ddc0, v18, v[26:27]
	v_mov_b32_e32 v28, v27
	s_delay_alu instid0(VALU_DEP_1) | instskip(NEXT) | instid1(VALU_DEP_1)
	v_mad_nc_u64_u32 v[28:29], 0xfc2757d1, v18, v[28:29]
	v_mov_b32_e32 v30, v29
	s_delay_alu instid0(VALU_DEP_1) | instskip(NEXT) | instid1(VALU_DEP_1)
	v_mad_nc_u64_u32 v[16:17], 0x4e441529, v18, v[30:31]
	v_dual_mov_b32 v30, v17 :: v_dual_add_nc_u32 v21, v23, v21
	s_delay_alu instid0(VALU_DEP_1) | instskip(NEXT) | instid1(VALU_DEP_3)
	v_cmp_lt_u32_e64 s1, 31, v21
	v_cndmask_b32_e32 v23, v16, v26, vcc_lo
	s_delay_alu instid0(VALU_DEP_3) | instskip(NEXT) | instid1(VALU_DEP_3)
	v_mad_nc_u64_u32 v[18:19], 0xa2f9836e, v18, v[30:31]
	v_cndmask_b32_e64 v17, 0, 0xffffffe0, s1
	s_delay_alu instid0(VALU_DEP_1) | instskip(NEXT) | instid1(VALU_DEP_1)
	v_add_nc_u32_e32 v17, v17, v21
	v_cmp_lt_u32_e64 s2, 31, v17
	s_delay_alu instid0(VALU_DEP_4) | instskip(NEXT) | instid1(VALU_DEP_2)
	v_cndmask_b32_e32 v16, v19, v16, vcc_lo
	v_cndmask_b32_e64 v21, 0, 0xffffffe0, s2
	s_delay_alu instid0(VALU_DEP_1) | instskip(SKIP_1) | instid1(VALU_DEP_2)
	v_dual_cndmask_b32 v18, v18, v28 :: v_dual_add_nc_u32 v17, v21, v17
	v_dual_cndmask_b32 v19, v28, v24, vcc_lo :: v_dual_cndmask_b32 v21, v26, v22, vcc_lo
	v_dual_cndmask_b32 v22, v18, v23, s1 :: v_dual_cndmask_b32 v16, v16, v18, s1
	s_delay_alu instid0(VALU_DEP_3) | instskip(NEXT) | instid1(VALU_DEP_3)
	v_cmp_eq_u32_e32 vcc_lo, 0, v17
	v_dual_cndmask_b32 v18, v23, v19, s1 :: v_dual_sub_nc_u32 v23, 32, v17
	s_delay_alu instid0(VALU_DEP_3) | instskip(NEXT) | instid1(VALU_DEP_2)
	v_dual_cndmask_b32 v19, v19, v21, s1 :: v_dual_cndmask_b32 v16, v16, v22, s2
	v_dual_cndmask_b32 v17, v21, v20, s1 :: v_dual_cndmask_b32 v22, v22, v18, s2
	s_delay_alu instid0(VALU_DEP_2) | instskip(NEXT) | instid1(VALU_DEP_2)
	v_cndmask_b32_e64 v18, v18, v19, s2
	v_alignbit_b32 v25, v16, v22, v23
	s_delay_alu instid0(VALU_DEP_2) | instskip(NEXT) | instid1(VALU_DEP_1)
	v_alignbit_b32 v24, v22, v18, v23
	v_dual_cndmask_b32 v16, v25, v16, vcc_lo :: v_dual_cndmask_b32 v20, v24, v22, vcc_lo
	s_delay_alu instid0(VALU_DEP_1) | instskip(NEXT) | instid1(VALU_DEP_1)
	v_bfe_u32 v21, v16, 29, 1
	v_sub_nc_u32_e32 v22, 0, v21
	v_cndmask_b32_e64 v17, v19, v17, s2
	s_delay_alu instid0(VALU_DEP_4) | instskip(NEXT) | instid1(VALU_DEP_1)
	v_alignbit_b32 v19, v16, v20, 30
	v_xor_b32_e32 v19, v19, v22
	s_delay_alu instid0(VALU_DEP_3) | instskip(NEXT) | instid1(VALU_DEP_1)
	v_alignbit_b32 v23, v18, v17, v23
	v_cndmask_b32_e32 v18, v23, v18, vcc_lo
	s_delay_alu instid0(VALU_DEP_3) | instskip(NEXT) | instid1(VALU_DEP_2)
	v_clz_i32_u32_e32 v23, v19
	v_alignbit_b32 v20, v20, v18, 30
	s_delay_alu instid0(VALU_DEP_2) | instskip(SKIP_1) | instid1(VALU_DEP_2)
	v_min_u32_e32 v23, 32, v23
	v_alignbit_b32 v17, v18, v17, 30
	v_dual_sub_nc_u32 v20, 31, v23 :: v_dual_bitop2_b32 v18, v20, v22 bitop3:0x14
	s_delay_alu instid0(VALU_DEP_2) | instskip(SKIP_1) | instid1(VALU_DEP_3)
	v_dual_lshrrev_b32 v22, 29, v16 :: v_dual_bitop2_b32 v17, v17, v22 bitop3:0x14
	v_dual_lshlrev_b32 v24, 23, v23 :: v_dual_lshrrev_b32 v16, 30, v16
	v_alignbit_b32 v19, v19, v18, v20
	s_delay_alu instid0(VALU_DEP_3) | instskip(NEXT) | instid1(VALU_DEP_4)
	v_alignbit_b32 v17, v18, v17, v20
	v_lshlrev_b32_e32 v18, 31, v22
	s_delay_alu instid0(VALU_DEP_2) | instskip(NEXT) | instid1(VALU_DEP_2)
	v_alignbit_b32 v20, v19, v17, 9
	v_dual_lshrrev_b32 v19, 9, v19 :: v_dual_bitop2_b32 v22, 0.5, v18 bitop3:0x54
	v_or_b32_e32 v18, 0x33000000, v18
	s_delay_alu instid0(VALU_DEP_3) | instskip(NEXT) | instid1(VALU_DEP_3)
	v_clz_i32_u32_e32 v25, v20
	v_sub_nc_u32_e32 v22, v22, v24
	s_delay_alu instid0(VALU_DEP_2) | instskip(NEXT) | instid1(VALU_DEP_1)
	v_min_u32_e32 v24, 32, v25
	v_add_lshl_u32 v23, v24, v23, 23
	s_delay_alu instid0(VALU_DEP_3) | instskip(SKIP_1) | instid1(VALU_DEP_3)
	v_or_b32_e32 v19, v19, v22
	v_not_b32_e32 v22, v24
	v_sub_nc_u32_e32 v18, v18, v23
	s_delay_alu instid0(VALU_DEP_3) | instskip(NEXT) | instid1(VALU_DEP_3)
	v_mul_f32_e32 v25, 0x3fc90fda, v19
	v_alignbit_b32 v17, v20, v17, v22
	s_delay_alu instid0(VALU_DEP_2) | instskip(NEXT) | instid1(VALU_DEP_2)
	v_fma_f32 v20, 0x3fc90fda, v19, -v25
	v_lshrrev_b32_e32 v17, 9, v17
	s_delay_alu instid0(VALU_DEP_2) | instskip(NEXT) | instid1(VALU_DEP_2)
	v_fmamk_f32 v19, v19, 0x33a22168, v20
	v_dual_add_nc_u32 v18, v21, v16 :: v_dual_bitop2_b32 v17, v18, v17 bitop3:0x54
	s_delay_alu instid0(VALU_DEP_1) | instskip(NEXT) | instid1(VALU_DEP_1)
	v_fmac_f32_e32 v19, 0x3fc90fda, v17
	v_add_f32_e32 v17, v25, v19
                                        ; implicit-def: $vgpr19
	s_and_not1_saveexec_b32 s1, s3
	s_cbranch_execnz .LBB12_41
	s_branch .LBB12_42
.LBB12_40:
	s_and_not1_saveexec_b32 s1, s3
.LBB12_41:
	v_rndne_f32_e32 v16, v19
	s_delay_alu instid0(VALU_DEP_1) | instskip(SKIP_1) | instid1(VALU_DEP_2)
	v_fma_f32 v17, 0xbfc90fda, v16, |v5|
	v_cvt_i32_f32_e32 v18, v16
	v_fmamk_f32 v17, v16, 0xb3a22168, v17
	s_delay_alu instid0(VALU_DEP_1)
	v_fmamk_f32 v17, v16, 0xa7c234c4, v17
.LBB12_42:
	s_or_b32 exec_lo, exec_lo, s1
	v_div_scale_f32 v16, null, v12, v12, 0x40a00000
	v_div_scale_f32 v21, vcc_lo, 0x40a00000, v12, 0x40a00000
	s_mov_b32 s1, 0xb94c1982
	v_rcp_f32_e32 v19, v16
	v_mul_f32_e32 v28, 0x4f800000, v12
	s_mov_b32 s2, 0x37d75334
	v_xor_b32_e32 v13, v13, v5
	v_and_b32_e32 v23, 1, v18
	s_delay_alu instid0(TRANS32_DEP_1) | instskip(NEXT) | instid1(VALU_DEP_1)
	v_fma_f32 v20, -v16, v19, 1.0
	v_fmac_f32_e32 v19, v20, v19
	s_delay_alu instid0(VALU_DEP_1) | instskip(NEXT) | instid1(VALU_DEP_1)
	v_mul_f32_e32 v20, v21, v19
	v_fma_f32 v22, -v16, v20, v21
	s_delay_alu instid0(VALU_DEP_1) | instskip(NEXT) | instid1(VALU_DEP_1)
	v_dual_fmac_f32 v20, v22, v19 :: v_dual_mul_f32 v22, v17, v17
	v_fma_f32 v16, -v16, v20, v21
	s_delay_alu instid0(VALU_DEP_2) | instskip(NEXT) | instid1(VALU_DEP_2)
	v_fmaak_f32 v31, s1, v22, 0x3c0881c4
	v_div_fmas_f32 v16, v16, v19, v20
	v_mul_f32_e32 v19, v14, v14
	s_delay_alu instid0(VALU_DEP_3) | instskip(SKIP_1) | instid1(VALU_DEP_4)
	v_fmaak_f32 v31, v22, v31, 0xbe2aaa9d
	v_dual_lshlrev_b32 v15, 30, v15 :: v_dual_bitop2_b32 v20, 1, v15 bitop3:0x40
	v_div_fixup_f32 v16, v16, v12, 0x40a00000
	s_delay_alu instid0(VALU_DEP_4) | instskip(SKIP_1) | instid1(VALU_DEP_4)
	v_fmaak_f32 v29, s1, v19, 0x3c0881c4
	v_cmp_gt_f32_e64 s1, 0xf800000, v12
	v_cmp_eq_u32_e64 s3, 0, v20
	v_and_b32_e32 v15, 0x80000000, v15
	v_mul_f32_e32 v21, v16, v16
	v_dual_fmaak_f32 v29, v19, v29, 0xbe2aaa9d :: v_dual_lshlrev_b32 v18, 30, v18
	v_dual_mul_f32 v31, v22, v31 :: v_dual_fmaak_f32 v32, s2, v22, 0xbab64f3b
	s_delay_alu instid0(VALU_DEP_3) | instskip(SKIP_2) | instid1(VALU_DEP_4)
	v_fmaak_f32 v24, 0, v21, 0x3d513fd3
	v_fmaak_f32 v27, 0, v21, 0x3a47c962
	;; [unrolled: 1-line block ×3, first 2 shown]
	v_dual_mul_f32 v29, v19, v29 :: v_dual_fmac_f32 v17, v17, v31
	s_delay_alu instid0(VALU_DEP_4) | instskip(NEXT) | instid1(VALU_DEP_4)
	v_fmaak_f32 v24, v21, v24, 0x409f6dae
	v_fmaak_f32 v27, v21, v27, 0x3d95ca45
	;; [unrolled: 1-line block ×3, first 2 shown]
	s_delay_alu instid0(VALU_DEP_4) | instskip(NEXT) | instid1(VALU_DEP_4)
	v_dual_fmac_f32 v14, v14, v29 :: v_dual_cndmask_b32 v12, v12, v28, s1
	v_fmaak_f32 v24, v21, v24, 0x4297a5cd
	s_delay_alu instid0(VALU_DEP_3) | instskip(NEXT) | instid1(VALU_DEP_3)
	v_fmaak_f32 v32, v22, v32, 0xbf000004
	v_sqrt_f32_e32 v35, v12
	v_fmaak_f32 v25, v21, v25, 0x3d8cfeeb
	v_fmaak_f32 v27, v21, v27, 0x3f9047f6
	;; [unrolled: 1-line block ×4, first 2 shown]
	v_fma_f32 v22, v22, v32, 1.0
	s_delay_alu instid0(VALU_DEP_4) | instskip(SKIP_1) | instid1(VALU_DEP_4)
	v_fmaak_f32 v27, v21, v27, 0x40a39628
	v_dual_fmaak_f32 v25, v21, v25, 0x3f8d754e :: v_dual_add_nc_u32 v48, 1, v35
	v_fmaak_f32 v24, v21, v24, 0x4431b6ce
	s_delay_alu instid0(VALU_DEP_3) | instskip(NEXT) | instid1(VALU_DEP_3)
	v_fmaak_f32 v27, v21, v27, 0x4106c8e4
	v_fmaak_f32 v25, v21, v25, 0x40a25d18
	s_delay_alu instid0(VALU_DEP_3) | instskip(NEXT) | instid1(VALU_DEP_3)
	v_fmaak_f32 v24, v21, v24, 0x44155f56
	;; [unrolled: 3-line block ×3, first 2 shown]
	v_fmaak_f32 v24, v21, v24, 0x4353b052
	s_delay_alu instid0(VALU_DEP_3) | instskip(NEXT) | instid1(VALU_DEP_3)
	v_fma_f32 v27, v21, v27, 1.0
	v_fmaak_f32 v25, v21, v25, 0x40a6b6ea
	s_delay_alu instid0(VALU_DEP_1) | instskip(NEXT) | instid1(VALU_DEP_1)
	v_fma_f32 v25, v21, v25, 1.0
	v_div_scale_f32 v38, vcc_lo, v27, v25, v27
	v_fmaak_f32 v26, v21, v26, 0x44840e5d
	s_delay_alu instid0(VALU_DEP_1) | instskip(NEXT) | instid1(VALU_DEP_1)
	v_fmaak_f32 v26, v21, v26, 0x459bd349
	v_fmaak_f32 v26, v21, v26, 0x46156947
	s_delay_alu instid0(VALU_DEP_1) | instskip(NEXT) | instid1(VALU_DEP_1)
	v_fmaak_f32 v26, v21, v26, 0x45f9e855
	v_fmaak_f32 v26, v21, v26, 0x4530a316
	s_delay_alu instid0(VALU_DEP_1) | instskip(SKIP_2) | instid1(VALU_DEP_2)
	v_fmaak_f32 v26, v21, v26, 0x43a80bfb
	v_fmaak_f32 v21, v21, v24, 0x41c9a7fa
	v_div_scale_f32 v24, null, v25, v25, v27
	v_div_scale_f32 v28, null, v26, v26, v21
	s_delay_alu instid0(VALU_DEP_2) | instskip(NEXT) | instid1(VALU_DEP_1)
	v_rcp_f32_e32 v33, v24
	v_rcp_f32_e32 v34, v28
	s_delay_alu instid0(TRANS32_DEP_2) | instskip(NEXT) | instid1(TRANS32_DEP_1)
	v_fma_f32 v36, -v24, v33, 1.0
	v_fma_f32 v37, -v28, v34, 1.0
	s_delay_alu instid0(VALU_DEP_1) | instskip(NEXT) | instid1(VALU_DEP_1)
	v_dual_fmac_f32 v33, v36, v33 :: v_dual_fmac_f32 v34, v37, v34
	v_dual_add_nc_u32 v37, -1, v35 :: v_dual_mul_f32 v39, v38, v33
	s_delay_alu instid0(VALU_DEP_1) | instskip(SKIP_2) | instid1(VALU_DEP_2)
	v_fma_f32 v29, -v24, v39, v38
	v_fmaak_f32 v30, s2, v19, 0xbab64f3b
	v_div_scale_f32 v36, s2, v21, v26, v21
	v_dual_fmac_f32 v39, v29, v33 :: v_dual_fmaak_f32 v30, v19, v30, 0x3d2aabf7
	s_delay_alu instid0(VALU_DEP_2) | instskip(NEXT) | instid1(VALU_DEP_2)
	v_mul_f32_e32 v49, v36, v34
	v_fmaak_f32 v30, v19, v30, 0xbf000004
	s_delay_alu instid0(VALU_DEP_1) | instskip(NEXT) | instid1(VALU_DEP_1)
	v_fma_f32 v19, v19, v30, 1.0
	v_cndmask_b32_e64 v14, v19, v14, s3
	v_cmp_eq_u32_e64 s3, 0, v23
	v_fma_f32 v30, -v28, v49, v36
	v_dual_fma_f32 v31, -v37, v35, v12 :: v_dual_fma_f32 v29, -v48, v35, v12
	s_delay_alu instid0(VALU_DEP_3) | instskip(NEXT) | instid1(VALU_DEP_3)
	v_dual_fma_f32 v19, -v24, v39, v38 :: v_dual_cndmask_b32 v17, -v17, v22, s3
	v_fmac_f32_e32 v49, v30, v34
	v_xor3_b32 v13, v13, v15, v14
	s_delay_alu instid0(VALU_DEP_3) | instskip(SKIP_3) | instid1(VALU_DEP_1)
	v_div_fmas_f32 v19, v19, v33, v39
	s_mov_b32 vcc_lo, s2
	v_cmp_lt_f32_e64 s2, 0, v29
	v_fma_f32 v20, -v28, v49, v36
	v_div_fmas_f32 v20, v20, v34, v49
	v_cmp_ge_f32_e32 vcc_lo, 0, v31
	s_delay_alu instid0(VALU_DEP_2) | instskip(SKIP_4) | instid1(VALU_DEP_4)
	v_div_fixup_f32 v14, v20, v26, v21
	v_cndmask_b32_e32 v22, v35, v37, vcc_lo
	v_cmp_class_f32_e64 vcc_lo, v5, 0x1f8
	v_bitop3_b32 v5, v18, v17, 0x80000000 bitop3:0x6c
	v_div_fixup_f32 v17, v19, v25, v27
	v_dual_mul_f32 v14, v16, v14 :: v_dual_cndmask_b32 v15, v22, v48, s2
	v_cndmask_b32_e32 v13, 0x7fc00000, v13, vcc_lo
	s_delay_alu instid0(VALU_DEP_4) | instskip(SKIP_1) | instid1(VALU_DEP_2)
	v_cndmask_b32_e32 v5, 0x7fc00000, v5, vcc_lo
	v_cmp_class_f32_e64 vcc_lo, v12, 0x260
	v_dual_mul_f32 v16, 0x37800000, v15 :: v_dual_mul_f32 v5, v14, v5
	s_delay_alu instid0(VALU_DEP_1) | instskip(NEXT) | instid1(VALU_DEP_1)
	v_dual_cndmask_b32 v14, v15, v16, s1 :: v_dual_fmac_f32 v5, v17, v13
	v_dual_cndmask_b32 v12, v14, v12 :: v_dual_mul_f32 v5, 0x3f4c422a, v5
	s_delay_alu instid0(VALU_DEP_1) | instskip(NEXT) | instid1(VALU_DEP_1)
	v_div_scale_f32 v13, null, v12, v12, v5
	v_rcp_f32_e32 v14, v13
	v_nop
	s_delay_alu instid0(TRANS32_DEP_1) | instskip(NEXT) | instid1(VALU_DEP_1)
	v_fma_f32 v15, -v13, v14, 1.0
	v_fmac_f32_e32 v14, v15, v14
	v_div_scale_f32 v15, vcc_lo, v5, v12, v5
	s_delay_alu instid0(VALU_DEP_1) | instskip(NEXT) | instid1(VALU_DEP_1)
	v_mul_f32_e32 v16, v15, v14
	v_fma_f32 v17, -v13, v16, v15
	s_delay_alu instid0(VALU_DEP_1) | instskip(NEXT) | instid1(VALU_DEP_1)
	v_fmac_f32_e32 v16, v17, v14
	v_fma_f32 v13, -v13, v16, v15
	s_delay_alu instid0(VALU_DEP_1) | instskip(NEXT) | instid1(VALU_DEP_1)
	v_div_fmas_f32 v13, v13, v14, v16
	v_div_fixup_f32 v5, v13, v12, v5
.LBB12_43:
	s_or_b32 exec_lo, exec_lo, s6
.LBB12_44:
	s_delay_alu instid0(SALU_CYCLE_1) | instskip(SKIP_3) | instid1(VALU_DEP_1)
	s_or_b32 exec_lo, exec_lo, s5
	s_wait_loadcnt_dscnt 0x0
	v_add_nc_u32_e32 v12, 0x200, v7
	s_mov_b32 s5, exec_lo
	v_cmpx_lt_i32_e64 v12, v4
	s_cbranch_execz .LBB12_62
; %bb.45:
	s_mov_b32 s1, exec_lo
	v_cmpx_ge_f32_e32 0x40a00000, v11
	s_xor_b32 s6, exec_lo, s1
                                        ; implicit-def: $vgpr6
	s_cbranch_execz .LBB12_51
; %bb.46:
	v_mov_b32_e32 v6, 0xff800000
	s_mov_b32 s7, exec_lo
	v_cmpx_neq_f32_e32 0, v11
	s_cbranch_execz .LBB12_50
; %bb.47:
	v_mov_b32_e32 v6, 0x7fc00000
	s_mov_b32 s8, exec_lo
	v_cmpx_nge_f32_e32 0, v11
	s_cbranch_execz .LBB12_49
; %bb.48:
	v_mul_f32_e32 v6, v11, v11
	v_mov_b64_e32 v[20:21], 0x548a37dcce5691e2
	v_mov_b64_e32 v[22:23], 0x5832585252d295d0
	v_cmp_gt_f32_e64 s1, 0x800000, v11
	v_div_scale_f32 v30, s3, -1.0, v11, -1.0
	v_fmaak_f32 v12, 0, v6, 0x4414934d
	v_dual_fmaak_f32 v13, 0, v6, 0x441b3589 :: v_dual_mul_f32 v14, 0, v6
	s_delay_alu instid0(VALU_DEP_2) | instskip(NEXT) | instid1(VALU_DEP_2)
	v_fmaak_f32 v15, v6, v12, 0x48660b06
	v_fmaak_f32 v16, v6, v13, 0x487af6d0
	v_mov_b64_e32 v[12:13], 0x4c8c277d4e9695f3
	s_delay_alu instid0(VALU_DEP_2) | instskip(SKIP_1) | instid1(VALU_DEP_2)
	v_dual_mul_f32 v15, v6, v15 :: v_dual_fmaak_f32 v18, v6, v16, 0x4c9f4aa7
	v_mov_b64_e32 v[16:17], 0x508bc61dd316b96b
	v_pk_add_f32 v[12:13], v[14:15], v[12:13]
	s_delay_alu instid0(VALU_DEP_3) | instskip(SKIP_1) | instid1(VALU_DEP_3)
	v_fmaak_f32 v15, v6, v18, 0x50a509fc
	v_mov_b64_e32 v[18:19], 0x5461faf856d04aa6
	v_pk_fma_f32 v[12:13], v[6:7], v[12:13], v[16:17] op_sel_hi:[0,1,1]
	s_delay_alu instid0(VALU_DEP_3) | instskip(SKIP_1) | instid1(VALU_DEP_3)
	v_mul_f32_e32 v15, v6, v15
	v_mov_b64_e32 v[16:17], 0x580d1937d9e700d2
	v_pk_fma_f32 v[12:13], v[6:7], v[12:13], v[18:19] op_sel_hi:[0,1,1]
	s_delay_alu instid0(VALU_DEP_3) | instskip(SKIP_2) | instid1(VALU_DEP_4)
	v_pk_add_f32 v[14:15], v[14:15], v[20:21]
	v_mov_b64_e32 v[20:21], 0x5b9f0600d6845497
	v_mov_b64_e32 v[18:19], 0x5b741f1e5c33cd68
	v_pk_fma_f32 v[12:13], v[6:7], v[12:13], v[16:17] op_sel_hi:[0,1,1]
	s_delay_alu instid0(VALU_DEP_4) | instskip(SKIP_2) | instid1(VALU_DEP_4)
	v_pk_fma_f32 v[14:15], v[6:7], v[14:15], v[22:23] op_sel_hi:[0,1,1]
	v_mov_b64_e32 v[22:23], 0x5e93bcac59515a15
	v_mov_b64_e32 v[16:17], 0x5e5c878ddd2cf20b
	v_pk_fma_f32 v[12:13], v[6:7], v[12:13], v[18:19] op_sel_hi:[0,1,1]
	s_delay_alu instid0(VALU_DEP_4) | instskip(SKIP_2) | instid1(VALU_DEP_4)
	v_pk_fma_f32 v[14:15], v[6:7], v[14:15], v[20:21] op_sel_hi:[0,1,1]
	v_div_scale_f32 v21, null, v11, v11, -1.0
	v_cndmask_b32_e64 v18, 0, 32, s1
	v_pk_fma_f32 v[12:13], v[6:7], v[12:13], v[16:17] op_sel_hi:[0,1,1]
	s_delay_alu instid0(VALU_DEP_4) | instskip(NEXT) | instid1(VALU_DEP_3)
	v_pk_fma_f32 v[14:15], v[6:7], v[14:15], v[22:23] op_sel_hi:[0,1,1]
	v_ldexp_f32 v18, v11, v18
	s_delay_alu instid0(VALU_DEP_3) | instskip(NEXT) | instid1(VALU_DEP_3)
	v_div_scale_f32 v16, null, v13, v13, v12
	v_div_scale_f32 v17, null, v15, v15, v14
	v_div_scale_f32 v25, s2, v14, v15, v14
	s_delay_alu instid0(VALU_DEP_3) | instskip(NEXT) | instid1(VALU_DEP_2)
	v_rcp_f32_e32 v19, v16
	v_rcp_f32_e32 v20, v17
	v_div_scale_f32 v24, vcc_lo, v12, v13, v12
	v_log_f32_e32 v18, v18
	s_delay_alu instid0(TRANS32_DEP_3) | instskip(NEXT) | instid1(TRANS32_DEP_2)
	v_fma_f32 v22, -v16, v19, 1.0
	v_fma_f32 v23, -v17, v20, 1.0
	s_delay_alu instid0(VALU_DEP_1) | instskip(NEXT) | instid1(VALU_DEP_1)
	v_fmac_f32_e32 v20, v23, v20
	v_dual_mul_f32 v26, v25, v20 :: v_dual_fmac_f32 v19, v22, v19
	v_rcp_f32_e32 v22, v21
	s_delay_alu instid0(VALU_DEP_1) | instskip(NEXT) | instid1(TRANS32_DEP_1)
	v_dual_fma_f32 v29, -v17, v26, v25 :: v_dual_mul_f32 v23, v24, v19
	v_fma_f32 v27, -v21, v22, 1.0
	s_delay_alu instid0(VALU_DEP_2) | instskip(NEXT) | instid1(VALU_DEP_2)
	v_dual_fmac_f32 v26, v29, v20 :: v_dual_fma_f32 v28, -v16, v23, v24
	v_fmac_f32_e32 v22, v27, v22
	s_delay_alu instid0(VALU_DEP_2) | instskip(NEXT) | instid1(VALU_DEP_1)
	v_dual_fma_f32 v17, -v17, v26, v25 :: v_dual_fmac_f32 v23, v28, v19
	v_dual_fma_f32 v16, -v16, v23, v24 :: v_dual_mul_f32 v24, v30, v22
	s_delay_alu instid0(VALU_DEP_1) | instskip(SKIP_1) | instid1(VALU_DEP_2)
	v_div_fmas_f32 v19, v16, v19, v23
	s_mov_b32 vcc_lo, s2
	v_fma_f32 v23, -v21, v24, v30
	v_div_fmas_f32 v20, v17, v20, v26
	v_mov_b64_e32 v[16:17], 0xc16ae95ac244dfb3
	v_cmp_gt_f32_e64 vcc_lo, 0x7f800000, |v18|
	v_div_fixup_f32 v12, v19, v13, v12
	v_fmac_f32_e32 v24, v23, v22
	v_div_fixup_f32 v20, v20, v15, v14
	v_mul_f32_e32 v31, 0x3f317217, v18
	v_pk_add_f32 v[14:15], v[6:7], v[16:17] op_sel_hi:[0,1]
	v_cndmask_b32_e64 v16, 0, 0x41b17218, s1
	s_delay_alu instid0(VALU_DEP_4) | instskip(NEXT) | instid1(VALU_DEP_4)
	v_mul_f32_e32 v6, v11, v20
	v_fma_f32 v27, 0x3f317217, v18, -v31
	s_delay_alu instid0(VALU_DEP_2) | instskip(NEXT) | instid1(VALU_DEP_2)
	v_dual_fma_f32 v17, -v21, v24, v30 :: v_dual_mul_f32 v6, v15, v6
	v_fmamk_f32 v25, v18, 0x3377d1cf, v27
	s_delay_alu instid0(VALU_DEP_2) | instskip(NEXT) | instid1(VALU_DEP_2)
	v_mul_f32_e32 v6, v14, v6
	v_fmac_f32_e32 v25, 0x3f317217, v18
	s_delay_alu instid0(VALU_DEP_1) | instskip(SKIP_2) | instid1(VALU_DEP_2)
	v_cndmask_b32_e32 v18, v18, v25, vcc_lo
	s_mov_b32 vcc_lo, s3
	v_div_fmas_f32 v15, v17, v22, v24
	v_sub_f32_e32 v16, v18, v16
	s_delay_alu instid0(VALU_DEP_2) | instskip(NEXT) | instid1(VALU_DEP_1)
	v_div_fixup_f32 v14, v15, v11, -1.0
	v_fmac_f32_e32 v14, v16, v6
	s_delay_alu instid0(VALU_DEP_1) | instskip(NEXT) | instid1(VALU_DEP_1)
	v_mul_f32_e32 v6, 0x3f22f983, v14
	v_fmac_f32_e32 v6, v11, v12
.LBB12_49:
	s_or_b32 exec_lo, exec_lo, s8
.LBB12_50:
	s_delay_alu instid0(SALU_CYCLE_1)
	s_or_b32 exec_lo, exec_lo, s7
                                        ; implicit-def: $vgpr11
.LBB12_51:
	s_and_not1_saveexec_b32 s6, s6
	s_cbranch_execz .LBB12_61
; %bb.52:
	v_add_f32_e32 v6, 0xc016cbe4, v11
                                        ; implicit-def: $vgpr14
                                        ; implicit-def: $vgpr13
	s_delay_alu instid0(VALU_DEP_1) | instskip(NEXT) | instid1(VALU_DEP_1)
	v_and_b32_e32 v12, 0x7fffffff, v6
	v_lshrrev_b32_e32 v15, 23, v12
	v_cmp_ngt_f32_e64 s3, 0x48000000, |v6|
	s_and_saveexec_b32 s1, s3
	s_delay_alu instid0(SALU_CYCLE_1)
	s_xor_b32 s7, exec_lo, s1
	s_cbranch_execz .LBB12_54
; %bb.53:
	s_mov_b32 s1, 0x7fffff
	v_mov_b32_e32 v17, 0
	v_and_or_b32 v16, v12, s1, 0x800000
	s_mov_b64 s[8:9], 0xfe5163ab
	v_add_nc_u32_e32 v13, 0xffffff88, v15
	s_delay_alu instid0(VALU_DEP_2) | instskip(NEXT) | instid1(VALU_DEP_2)
	v_mul_u64_e32 v[18:19], s[8:9], v[16:17]
	v_cmp_lt_u32_e32 vcc_lo, 63, v13
	v_cndmask_b32_e64 v14, 0, 0xffffffc0, vcc_lo
	s_delay_alu instid0(VALU_DEP_3) | instskip(SKIP_2) | instid1(VALU_DEP_3)
	v_dual_mov_b32 v20, v19 :: v_dual_mov_b32 v21, v17
	v_dual_mov_b32 v23, v17 :: v_dual_mov_b32 v25, v17
	;; [unrolled: 1-line block ×3, first 2 shown]
	v_mad_nc_u64_u32 v[20:21], 0x3c439041, v16, v[20:21]
	v_dual_add_nc_u32 v13, v14, v13 :: v_dual_mov_b32 v31, v17
	s_delay_alu instid0(VALU_DEP_1) | instskip(NEXT) | instid1(VALU_DEP_3)
	v_cmp_lt_u32_e64 s1, 31, v13
	v_mov_b32_e32 v22, v21
	s_delay_alu instid0(VALU_DEP_2) | instskip(NEXT) | instid1(VALU_DEP_2)
	v_cndmask_b32_e64 v14, 0, 0xffffffe0, s1
	v_mad_nc_u64_u32 v[22:23], 0xdb629599, v16, v[22:23]
	s_delay_alu instid0(VALU_DEP_2) | instskip(NEXT) | instid1(VALU_DEP_1)
	v_add_nc_u32_e32 v13, v14, v13
	v_cmp_lt_u32_e64 s2, 31, v13
	s_delay_alu instid0(VALU_DEP_3) | instskip(NEXT) | instid1(VALU_DEP_2)
	v_mov_b32_e32 v24, v23
	v_cndmask_b32_e64 v14, 0, 0xffffffe0, s2
	v_cndmask_b32_e32 v18, v22, v18, vcc_lo
	s_delay_alu instid0(VALU_DEP_3) | instskip(NEXT) | instid1(VALU_DEP_1)
	v_mad_nc_u64_u32 v[24:25], 0xf534ddc0, v16, v[24:25]
	v_dual_cndmask_b32 v14, v24, v20 :: v_dual_add_nc_u32 v13, v14, v13
	s_delay_alu instid0(VALU_DEP_2) | instskip(NEXT) | instid1(VALU_DEP_1)
	v_mov_b32_e32 v26, v25
	v_mad_nc_u64_u32 v[26:27], 0xfc2757d1, v16, v[26:27]
	s_delay_alu instid0(VALU_DEP_1) | instskip(NEXT) | instid1(VALU_DEP_1)
	v_dual_mov_b32 v28, v27 :: v_dual_cndmask_b32 v21, v26, v22
	v_mad_nc_u64_u32 v[28:29], 0x4e441529, v16, v[28:29]
	s_delay_alu instid0(VALU_DEP_1) | instskip(NEXT) | instid1(VALU_DEP_1)
	v_dual_mov_b32 v30, v29 :: v_dual_cndmask_b32 v19, v28, v24
	v_mad_nc_u64_u32 v[16:17], 0xa2f9836e, v16, v[30:31]
	s_delay_alu instid0(VALU_DEP_1) | instskip(SKIP_1) | instid1(VALU_DEP_2)
	v_dual_cndmask_b32 v16, v16, v26 :: v_dual_cndmask_b32 v17, v17, v28
	v_cmp_eq_u32_e32 vcc_lo, 0, v13
	v_dual_cndmask_b32 v20, v16, v19, s1 :: v_dual_cndmask_b32 v16, v17, v16, s1
	v_dual_cndmask_b32 v17, v19, v21, s1 :: v_dual_cndmask_b32 v21, v21, v14, s1
	v_dual_sub_nc_u32 v19, 32, v13 :: v_dual_cndmask_b32 v14, v14, v18, s1
	s_delay_alu instid0(VALU_DEP_3) | instskip(NEXT) | instid1(VALU_DEP_2)
	v_cndmask_b32_e64 v16, v16, v20, s2
	v_dual_cndmask_b32 v20, v20, v17, s2 :: v_dual_cndmask_b32 v14, v21, v14, s2
	s_delay_alu instid0(VALU_DEP_1) | instskip(NEXT) | instid1(VALU_DEP_1)
	v_alignbit_b32 v23, v16, v20, v19
	v_dual_cndmask_b32 v17, v17, v21, s2 :: v_dual_cndmask_b32 v13, v23, v16, vcc_lo
	s_delay_alu instid0(VALU_DEP_1) | instskip(NEXT) | instid1(VALU_DEP_4)
	v_alignbit_b32 v22, v20, v17, v19
	v_alignbit_b32 v19, v17, v14, v19
	s_delay_alu instid0(VALU_DEP_3) | instskip(NEXT) | instid1(VALU_DEP_2)
	v_bfe_u32 v18, v13, 29, 1
	v_dual_cndmask_b32 v16, v22, v20 :: v_dual_cndmask_b32 v17, v19, v17
	s_delay_alu instid0(VALU_DEP_2) | instskip(NEXT) | instid1(VALU_DEP_2)
	v_sub_nc_u32_e32 v21, 0, v18
	v_alignbit_b32 v20, v13, v16, 30
	s_delay_alu instid0(VALU_DEP_3) | instskip(SKIP_1) | instid1(VALU_DEP_3)
	v_alignbit_b32 v16, v16, v17, 30
	v_alignbit_b32 v14, v17, v14, 30
	v_xor_b32_e32 v20, v20, v21
	s_delay_alu instid0(VALU_DEP_2) | instskip(NEXT) | instid1(VALU_DEP_2)
	v_xor_b32_e32 v14, v14, v21
	v_clz_i32_u32_e32 v19, v20
	s_delay_alu instid0(VALU_DEP_1) | instskip(NEXT) | instid1(VALU_DEP_1)
	v_min_u32_e32 v19, 32, v19
	v_dual_lshlrev_b32 v22, 23, v19 :: v_dual_bitop2_b32 v16, v16, v21 bitop3:0x14
	v_sub_nc_u32_e32 v17, 31, v19
	s_delay_alu instid0(VALU_DEP_1) | instskip(SKIP_2) | instid1(VALU_DEP_1)
	v_alignbit_b32 v20, v20, v16, v17
	v_lshrrev_b32_e32 v21, 29, v13
	v_alignbit_b32 v14, v16, v14, v17
	v_alignbit_b32 v17, v20, v14, 9
	s_delay_alu instid0(VALU_DEP_3) | instskip(NEXT) | instid1(VALU_DEP_2)
	v_dual_lshrrev_b32 v20, 9, v20 :: v_dual_lshlrev_b32 v16, 31, v21
	v_clz_i32_u32_e32 v23, v17
	s_delay_alu instid0(VALU_DEP_2) | instskip(SKIP_1) | instid1(VALU_DEP_2)
	v_or_b32_e32 v21, 0.5, v16
	v_or_b32_e32 v16, 0x33000000, v16
	v_sub_nc_u32_e32 v21, v21, v22
	s_delay_alu instid0(VALU_DEP_4) | instskip(NEXT) | instid1(VALU_DEP_1)
	v_min_u32_e32 v22, 32, v23
	v_add_lshl_u32 v19, v22, v19, 23
	s_delay_alu instid0(VALU_DEP_1) | instskip(NEXT) | instid1(VALU_DEP_4)
	v_sub_nc_u32_e32 v16, v16, v19
	v_or_b32_e32 v20, v20, v21
	v_not_b32_e32 v21, v22
	s_delay_alu instid0(VALU_DEP_1) | instskip(NEXT) | instid1(VALU_DEP_1)
	v_alignbit_b32 v14, v17, v14, v21
	v_dual_mul_f32 v23, 0x3fc90fda, v20 :: v_dual_lshrrev_b32 v14, 9, v14
	s_delay_alu instid0(VALU_DEP_1) | instskip(NEXT) | instid1(VALU_DEP_2)
	v_or_b32_e32 v14, v16, v14
	v_fma_f32 v17, 0x3fc90fda, v20, -v23
	s_delay_alu instid0(VALU_DEP_1) | instskip(NEXT) | instid1(VALU_DEP_1)
	v_fmamk_f32 v17, v20, 0x33a22168, v17
	v_dual_fmac_f32 v17, 0x3fc90fda, v14 :: v_dual_lshrrev_b32 v14, 30, v13
	s_delay_alu instid0(VALU_DEP_1)
	v_dual_add_f32 v13, v23, v17 :: v_dual_add_nc_u32 v14, v18, v14
	s_or_saveexec_b32 s1, s7
	v_mul_f32_e64 v18, 0x3f22f983, |v6|
	s_xor_b32 exec_lo, exec_lo, s1
	s_branch .LBB12_55
.LBB12_54:
	s_or_saveexec_b32 s1, s7
	v_mul_f32_e64 v18, 0x3f22f983, |v6|
	s_xor_b32 exec_lo, exec_lo, s1
.LBB12_55:
	s_delay_alu instid0(VALU_DEP_1) | instskip(NEXT) | instid1(VALU_DEP_1)
	v_rndne_f32_e32 v14, v18
	v_fma_f32 v13, 0xbfc90fda, v14, |v6|
	s_delay_alu instid0(VALU_DEP_1) | instskip(NEXT) | instid1(VALU_DEP_1)
	v_fmamk_f32 v13, v14, 0xb3a22168, v13
	v_fmamk_f32 v13, v14, 0xa7c234c4, v13
	v_cvt_i32_f32_e32 v14, v14
; %bb.56:
	s_or_b32 exec_lo, exec_lo, s1
                                        ; implicit-def: $vgpr17
                                        ; implicit-def: $vgpr16
	s_and_saveexec_b32 s1, s3
	s_delay_alu instid0(SALU_CYCLE_1)
	s_xor_b32 s3, exec_lo, s1
	s_cbranch_execz .LBB12_58
; %bb.57:
	s_mov_b32 s1, 0x7fffff
	v_mov_b32_e32 v17, 0
	v_and_or_b32 v16, v12, s1, 0x800000
	s_mov_b64 s[8:9], 0xfe5163ab
	v_add_nc_u32_e32 v15, 0xffffff88, v15
	s_delay_alu instid0(VALU_DEP_2) | instskip(NEXT) | instid1(VALU_DEP_2)
	v_mul_u64_e32 v[18:19], s[8:9], v[16:17]
	v_cmp_lt_u32_e32 vcc_lo, 63, v15
	s_delay_alu instid0(VALU_DEP_2) | instskip(SKIP_2) | instid1(VALU_DEP_3)
	v_dual_mov_b32 v20, v19 :: v_dual_mov_b32 v21, v17
	v_dual_mov_b32 v23, v17 :: v_dual_mov_b32 v25, v17
	;; [unrolled: 1-line block ×3, first 2 shown]
	v_mad_nc_u64_u32 v[20:21], 0x3c439041, v16, v[20:21]
	v_cndmask_b32_e64 v19, 0, 0xffffffc0, vcc_lo
	s_delay_alu instid0(VALU_DEP_1) | instskip(NEXT) | instid1(VALU_DEP_3)
	v_dual_mov_b32 v31, v17 :: v_dual_add_nc_u32 v15, v19, v15
	v_mov_b32_e32 v22, v21
	s_delay_alu instid0(VALU_DEP_2) | instskip(NEXT) | instid1(VALU_DEP_2)
	v_cmp_lt_u32_e64 s1, 31, v15
	v_mad_nc_u64_u32 v[22:23], 0xdb629599, v16, v[22:23]
	s_delay_alu instid0(VALU_DEP_2) | instskip(NEXT) | instid1(VALU_DEP_1)
	v_cndmask_b32_e64 v19, 0, 0xffffffe0, s1
	v_add_nc_u32_e32 v15, v19, v15
	s_delay_alu instid0(VALU_DEP_3) | instskip(NEXT) | instid1(VALU_DEP_2)
	v_mov_b32_e32 v24, v23
	v_cmp_lt_u32_e64 s2, 31, v15
	v_cndmask_b32_e32 v18, v22, v18, vcc_lo
	s_delay_alu instid0(VALU_DEP_3) | instskip(NEXT) | instid1(VALU_DEP_3)
	v_mad_nc_u64_u32 v[24:25], 0xf534ddc0, v16, v[24:25]
	v_cndmask_b32_e64 v19, 0, 0xffffffe0, s2
	s_delay_alu instid0(VALU_DEP_1) | instskip(NEXT) | instid1(VALU_DEP_3)
	v_dual_add_nc_u32 v15, v19, v15 :: v_dual_cndmask_b32 v19, v24, v20, vcc_lo
	v_mov_b32_e32 v26, v25
	s_delay_alu instid0(VALU_DEP_1) | instskip(NEXT) | instid1(VALU_DEP_1)
	v_mad_nc_u64_u32 v[26:27], 0xfc2757d1, v16, v[26:27]
	v_dual_mov_b32 v28, v27 :: v_dual_cndmask_b32 v23, v26, v22
	s_delay_alu instid0(VALU_DEP_1) | instskip(NEXT) | instid1(VALU_DEP_1)
	v_mad_nc_u64_u32 v[28:29], 0x4e441529, v16, v[28:29]
	v_dual_mov_b32 v30, v29 :: v_dual_cndmask_b32 v21, v28, v24
	s_delay_alu instid0(VALU_DEP_1) | instskip(NEXT) | instid1(VALU_DEP_1)
	v_mad_nc_u64_u32 v[16:17], 0xa2f9836e, v16, v[30:31]
	v_dual_cndmask_b32 v16, v16, v26 :: v_dual_cndmask_b32 v17, v17, v28
	v_cmp_eq_u32_e32 vcc_lo, 0, v15
	s_delay_alu instid0(VALU_DEP_2) | instskip(SKIP_2) | instid1(VALU_DEP_3)
	v_dual_cndmask_b32 v20, v16, v21, s1 :: v_dual_cndmask_b32 v16, v17, v16, s1
	v_cndmask_b32_e64 v17, v21, v23, s1
	v_sub_nc_u32_e32 v21, 32, v15
	v_dual_cndmask_b32 v23, v23, v19, s1 :: v_dual_cndmask_b32 v16, v16, v20, s2
	s_delay_alu instid0(VALU_DEP_3) | instskip(NEXT) | instid1(VALU_DEP_1)
	v_cndmask_b32_e64 v20, v20, v17, s2
	v_alignbit_b32 v24, v16, v20, v21
	s_delay_alu instid0(VALU_DEP_1) | instskip(NEXT) | instid1(VALU_DEP_1)
	v_dual_cndmask_b32 v17, v17, v23, s2 :: v_dual_cndmask_b32 v15, v24, v16, vcc_lo
	v_alignbit_b32 v22, v20, v17, v21
	v_cndmask_b32_e64 v16, v19, v18, s1
	s_delay_alu instid0(VALU_DEP_3) | instskip(NEXT) | instid1(VALU_DEP_3)
	v_bfe_u32 v19, v15, 29, 1
	v_cndmask_b32_e32 v18, v22, v20, vcc_lo
	s_delay_alu instid0(VALU_DEP_2) | instskip(NEXT) | instid1(VALU_DEP_2)
	v_dual_cndmask_b32 v16, v23, v16, s2 :: v_dual_sub_nc_u32 v22, 0, v19
	v_alignbit_b32 v20, v15, v18, 30
	s_delay_alu instid0(VALU_DEP_2) | instskip(NEXT) | instid1(VALU_DEP_1)
	v_alignbit_b32 v21, v17, v16, v21
	v_dual_cndmask_b32 v17, v21, v17, vcc_lo :: v_dual_bitop2_b32 v20, v20, v22 bitop3:0x14
	s_delay_alu instid0(VALU_DEP_1) | instskip(NEXT) | instid1(VALU_DEP_2)
	v_clz_i32_u32_e32 v21, v20
	v_alignbit_b32 v18, v18, v17, 30
	v_alignbit_b32 v16, v17, v16, 30
	s_delay_alu instid0(VALU_DEP_3) | instskip(NEXT) | instid1(VALU_DEP_3)
	v_min_u32_e32 v21, 32, v21
	v_xor_b32_e32 v17, v18, v22
	s_delay_alu instid0(VALU_DEP_3) | instskip(NEXT) | instid1(VALU_DEP_3)
	v_dual_lshrrev_b32 v22, 29, v15 :: v_dual_bitop2_b32 v16, v16, v22 bitop3:0x14
	v_dual_lshrrev_b32 v15, 30, v15 :: v_dual_sub_nc_u32 v18, 31, v21
	v_lshlrev_b32_e32 v23, 23, v21
	s_delay_alu instid0(VALU_DEP_2) | instskip(NEXT) | instid1(VALU_DEP_4)
	v_alignbit_b32 v20, v20, v17, v18
	v_alignbit_b32 v16, v17, v16, v18
	v_lshlrev_b32_e32 v17, 31, v22
	s_delay_alu instid0(VALU_DEP_2) | instskip(NEXT) | instid1(VALU_DEP_2)
	v_alignbit_b32 v18, v20, v16, 9
	v_dual_lshrrev_b32 v20, 9, v20 :: v_dual_bitop2_b32 v22, 0.5, v17 bitop3:0x54
	v_or_b32_e32 v17, 0x33000000, v17
	s_delay_alu instid0(VALU_DEP_3) | instskip(NEXT) | instid1(VALU_DEP_3)
	v_clz_i32_u32_e32 v24, v18
	v_sub_nc_u32_e32 v22, v22, v23
	s_delay_alu instid0(VALU_DEP_2) | instskip(NEXT) | instid1(VALU_DEP_1)
	v_min_u32_e32 v23, 32, v24
	v_add_lshl_u32 v21, v23, v21, 23
	s_delay_alu instid0(VALU_DEP_1) | instskip(SKIP_1) | instid1(VALU_DEP_1)
	v_dual_sub_nc_u32 v17, v17, v21 :: v_dual_bitop2_b32 v20, v20, v22 bitop3:0x54
	v_not_b32_e32 v22, v23
	v_alignbit_b32 v16, v18, v16, v22
	s_delay_alu instid0(VALU_DEP_1) | instskip(NEXT) | instid1(VALU_DEP_4)
	v_lshrrev_b32_e32 v16, 9, v16
	v_mul_f32_e32 v24, 0x3fc90fda, v20
	s_delay_alu instid0(VALU_DEP_2) | instskip(NEXT) | instid1(VALU_DEP_2)
	v_or_b32_e32 v16, v17, v16
	v_fma_f32 v18, 0x3fc90fda, v20, -v24
	s_delay_alu instid0(VALU_DEP_1) | instskip(NEXT) | instid1(VALU_DEP_1)
	v_dual_fmamk_f32 v18, v20, 0x33a22168, v18 :: v_dual_add_nc_u32 v17, v19, v15
	v_fmac_f32_e32 v18, 0x3fc90fda, v16
	s_delay_alu instid0(VALU_DEP_1)
	v_add_f32_e32 v16, v24, v18
                                        ; implicit-def: $vgpr18
	s_and_not1_saveexec_b32 s1, s3
	s_cbranch_execnz .LBB12_59
	s_branch .LBB12_60
.LBB12_58:
	s_and_not1_saveexec_b32 s1, s3
.LBB12_59:
	v_rndne_f32_e32 v15, v18
	s_delay_alu instid0(VALU_DEP_1) | instskip(SKIP_1) | instid1(VALU_DEP_2)
	v_fma_f32 v16, 0xbfc90fda, v15, |v6|
	v_cvt_i32_f32_e32 v17, v15
	v_fmamk_f32 v16, v15, 0xb3a22168, v16
	s_delay_alu instid0(VALU_DEP_1)
	v_fmamk_f32 v16, v15, 0xa7c234c4, v16
.LBB12_60:
	s_or_b32 exec_lo, exec_lo, s1
	v_div_scale_f32 v15, null, v11, v11, 0x40a00000
	v_div_scale_f32 v20, vcc_lo, 0x40a00000, v11, 0x40a00000
	s_mov_b32 s1, 0xb94c1982
	v_rcp_f32_e32 v18, v15
	v_mul_f32_e32 v27, 0x4f800000, v11
	s_mov_b32 s2, 0x37d75334
	v_xor_b32_e32 v12, v12, v6
	s_delay_alu instid0(TRANS32_DEP_1) | instskip(NEXT) | instid1(VALU_DEP_1)
	v_fma_f32 v19, -v15, v18, 1.0
	v_fmac_f32_e32 v18, v19, v18
	s_delay_alu instid0(VALU_DEP_1) | instskip(NEXT) | instid1(VALU_DEP_1)
	v_mul_f32_e32 v19, v20, v18
	v_fma_f32 v21, -v15, v19, v20
	s_delay_alu instid0(VALU_DEP_1) | instskip(NEXT) | instid1(VALU_DEP_1)
	v_dual_fmac_f32 v19, v21, v18 :: v_dual_mul_f32 v21, v16, v16
	v_fma_f32 v15, -v15, v19, v20
	s_delay_alu instid0(VALU_DEP_2) | instskip(NEXT) | instid1(VALU_DEP_2)
	v_fmaak_f32 v30, s1, v21, 0x3c0881c4
	v_div_fmas_f32 v15, v15, v18, v19
	v_mul_f32_e32 v18, v13, v13
	s_delay_alu instid0(VALU_DEP_3) | instskip(SKIP_1) | instid1(VALU_DEP_4)
	v_fmaak_f32 v30, v21, v30, 0xbe2aaa9d
	v_dual_lshlrev_b32 v14, 30, v14 :: v_dual_bitop2_b32 v19, 1, v14 bitop3:0x40
	v_div_fixup_f32 v15, v15, v11, 0x40a00000
	s_delay_alu instid0(VALU_DEP_4)
	v_fmaak_f32 v28, s1, v18, 0x3c0881c4
	v_cmp_gt_f32_e64 s1, 0xf800000, v11
	v_and_b32_e32 v22, 1, v17
	v_cmp_eq_u32_e64 s3, 0, v19
	v_mul_f32_e32 v20, v15, v15
	v_fmaak_f32 v28, v18, v28, 0xbe2aaa9d
	v_dual_cndmask_b32 v11, v11, v27, s1 :: v_dual_lshlrev_b32 v17, 30, v17
	v_and_b32_e32 v14, 0x80000000, v14
	s_delay_alu instid0(VALU_DEP_4) | instskip(NEXT) | instid1(VALU_DEP_3)
	v_dual_fmaak_f32 v23, 0, v20, 0x3d513fd3 :: v_dual_mul_f32 v30, v21, v30
	v_sqrt_f32_e32 v34, v11
	v_fmaak_f32 v24, 0, v20, 0x3a15c4d9
	v_fmaak_f32 v26, 0, v20, 0x3a47c962
	s_delay_alu instid0(VALU_DEP_3)
	v_dual_fmaak_f32 v23, v20, v23, 0x409f6dae :: v_dual_mul_f32 v28, v18, v28
	v_fmaak_f32 v25, 0, v20, 0x42947983
	s_delay_alu instid0(TRANS32_DEP_1) | instid1(VALU_DEP_4)
	v_dual_fmaak_f32 v24, v20, v24, 0x3d8cfeeb :: v_dual_add_nc_u32 v39, 1, v34
	s_delay_alu instid0(VALU_DEP_3) | instskip(NEXT) | instid1(VALU_DEP_4)
	v_dual_fmaak_f32 v26, v20, v26, 0x3d95ca45 :: v_dual_fmac_f32 v13, v13, v28
	v_fmaak_f32 v23, v20, v23, 0x4297a5cd
	s_delay_alu instid0(VALU_DEP_3) | instskip(SKIP_1) | instid1(VALU_DEP_4)
	v_fmaak_f32 v24, v20, v24, 0x3f8d754e
	v_dual_fmaak_f32 v31, s2, v21, 0xbab64f3b :: v_dual_fmac_f32 v16, v16, v30
	v_fmaak_f32 v26, v20, v26, 0x3f9047f6
	s_delay_alu instid0(VALU_DEP_4) | instskip(NEXT) | instid1(VALU_DEP_4)
	v_fmaak_f32 v23, v20, v23, 0x43b763ca
	v_fmaak_f32 v24, v20, v24, 0x40a25d18
	s_delay_alu instid0(VALU_DEP_4) | instskip(NEXT) | instid1(VALU_DEP_4)
	v_fmaak_f32 v31, v21, v31, 0x3d2aabf7
	;; [unrolled: 3-line block ×5, first 2 shown]
	v_fmaak_f32 v24, v20, v24, 0x40a6b6ea
	s_delay_alu instid0(VALU_DEP_4) | instskip(NEXT) | instid1(VALU_DEP_4)
	v_fma_f32 v21, v21, v31, 1.0
	v_fmaak_f32 v26, v20, v26, 0x40a6dd51
	s_delay_alu instid0(VALU_DEP_4) | instskip(NEXT) | instid1(VALU_DEP_4)
	v_fmaak_f32 v23, v20, v23, 0x4353b052
	v_fma_f32 v24, v20, v24, 1.0
	s_delay_alu instid0(VALU_DEP_3) | instskip(NEXT) | instid1(VALU_DEP_1)
	v_fma_f32 v26, v20, v26, 1.0
	v_div_scale_f32 v37, vcc_lo, v26, v24, v26
	v_fmaak_f32 v25, v20, v25, 0x44840e5d
	s_delay_alu instid0(VALU_DEP_1) | instskip(NEXT) | instid1(VALU_DEP_1)
	v_fmaak_f32 v25, v20, v25, 0x459bd349
	v_fmaak_f32 v25, v20, v25, 0x46156947
	s_delay_alu instid0(VALU_DEP_1) | instskip(NEXT) | instid1(VALU_DEP_1)
	v_fmaak_f32 v25, v20, v25, 0x45f9e855
	v_fmaak_f32 v25, v20, v25, 0x4530a316
	s_delay_alu instid0(VALU_DEP_1) | instskip(SKIP_2) | instid1(VALU_DEP_2)
	v_fmaak_f32 v25, v20, v25, 0x43a80bfb
	v_fmaak_f32 v20, v20, v23, 0x41c9a7fa
	v_div_scale_f32 v23, null, v24, v24, v26
	v_div_scale_f32 v27, null, v25, v25, v20
	s_delay_alu instid0(VALU_DEP_2) | instskip(NEXT) | instid1(VALU_DEP_1)
	v_rcp_f32_e32 v32, v23
	v_rcp_f32_e32 v33, v27
	s_delay_alu instid0(TRANS32_DEP_2) | instskip(NEXT) | instid1(TRANS32_DEP_1)
	v_fma_f32 v35, -v23, v32, 1.0
	v_fma_f32 v36, -v27, v33, 1.0
	s_delay_alu instid0(VALU_DEP_1) | instskip(NEXT) | instid1(VALU_DEP_1)
	v_dual_fmac_f32 v32, v35, v32 :: v_dual_fmac_f32 v33, v36, v33
	v_dual_add_nc_u32 v36, -1, v34 :: v_dual_mul_f32 v38, v37, v32
	s_delay_alu instid0(VALU_DEP_1) | instskip(NEXT) | instid1(VALU_DEP_2)
	v_fma_f32 v30, -v36, v34, v11
	v_fma_f32 v28, -v23, v38, v37
	v_fmaak_f32 v29, s2, v18, 0xbab64f3b
	v_div_scale_f32 v35, s2, v20, v25, v20
	s_delay_alu instid0(VALU_DEP_2) | instskip(NEXT) | instid1(VALU_DEP_2)
	v_dual_fmac_f32 v38, v28, v32 :: v_dual_fmaak_f32 v29, v18, v29, 0x3d2aabf7
	v_mul_f32_e32 v48, v35, v33
	v_fma_f32 v28, -v39, v34, v11
	s_delay_alu instid0(VALU_DEP_3) | instskip(NEXT) | instid1(VALU_DEP_1)
	v_fmaak_f32 v29, v18, v29, 0xbf000004
	v_fma_f32 v18, v18, v29, 1.0
	s_delay_alu instid0(VALU_DEP_1) | instskip(SKIP_3) | instid1(VALU_DEP_4)
	v_cndmask_b32_e64 v13, v18, v13, s3
	v_cmp_eq_u32_e64 s3, 0, v22
	v_fma_f32 v29, -v27, v48, v35
	v_fma_f32 v18, -v23, v38, v37
	v_xor3_b32 v12, v12, v14, v13
	s_delay_alu instid0(VALU_DEP_4) | instskip(NEXT) | instid1(VALU_DEP_4)
	v_cndmask_b32_e64 v16, -v16, v21, s3
	v_fmac_f32_e32 v48, v29, v33
	s_delay_alu instid0(VALU_DEP_4) | instskip(SKIP_2) | instid1(VALU_DEP_3)
	v_div_fmas_f32 v18, v18, v32, v38
	s_mov_b32 vcc_lo, s2
	v_cmp_lt_f32_e64 s2, 0, v28
	v_fma_f32 v19, -v27, v48, v35
	s_delay_alu instid0(VALU_DEP_1) | instskip(SKIP_1) | instid1(VALU_DEP_2)
	v_div_fmas_f32 v19, v19, v33, v48
	v_cmp_ge_f32_e32 vcc_lo, 0, v30
	v_div_fixup_f32 v13, v19, v25, v20
	v_cndmask_b32_e32 v21, v34, v36, vcc_lo
	v_cmp_class_f32_e64 vcc_lo, v6, 0x1f8
	v_bitop3_b32 v6, v17, v16, 0x80000000 bitop3:0x6c
	v_div_fixup_f32 v16, v18, v24, v26
	s_delay_alu instid0(VALU_DEP_4) | instskip(SKIP_1) | instid1(VALU_DEP_4)
	v_dual_mul_f32 v13, v15, v13 :: v_dual_cndmask_b32 v14, v21, v39, s2
	v_cndmask_b32_e32 v12, 0x7fc00000, v12, vcc_lo
	v_cndmask_b32_e32 v6, 0x7fc00000, v6, vcc_lo
	v_cmp_class_f32_e64 vcc_lo, v11, 0x260
	s_delay_alu instid0(VALU_DEP_4) | instskip(NEXT) | instid1(VALU_DEP_1)
	v_mul_f32_e32 v15, 0x37800000, v14
	v_dual_mul_f32 v6, v13, v6 :: v_dual_cndmask_b32 v13, v14, v15, s1
	s_delay_alu instid0(VALU_DEP_1) | instskip(NEXT) | instid1(VALU_DEP_1)
	v_dual_fmac_f32 v6, v16, v12 :: v_dual_cndmask_b32 v11, v13, v11
	v_mul_f32_e32 v6, 0x3f4c422a, v6
	s_delay_alu instid0(VALU_DEP_1) | instskip(NEXT) | instid1(VALU_DEP_1)
	v_div_scale_f32 v12, null, v11, v11, v6
	v_rcp_f32_e32 v13, v12
	v_nop
	s_delay_alu instid0(TRANS32_DEP_1) | instskip(NEXT) | instid1(VALU_DEP_1)
	v_fma_f32 v14, -v12, v13, 1.0
	v_fmac_f32_e32 v13, v14, v13
	v_div_scale_f32 v14, vcc_lo, v6, v11, v6
	s_delay_alu instid0(VALU_DEP_1) | instskip(NEXT) | instid1(VALU_DEP_1)
	v_mul_f32_e32 v15, v14, v13
	v_fma_f32 v16, -v12, v15, v14
	s_delay_alu instid0(VALU_DEP_1) | instskip(NEXT) | instid1(VALU_DEP_1)
	v_fmac_f32_e32 v15, v16, v13
	v_fma_f32 v12, -v12, v15, v14
	s_delay_alu instid0(VALU_DEP_1) | instskip(NEXT) | instid1(VALU_DEP_1)
	v_div_fmas_f32 v12, v12, v13, v15
	v_div_fixup_f32 v6, v12, v11, v6
.LBB12_61:
	s_or_b32 exec_lo, exec_lo, s6
.LBB12_62:
	s_delay_alu instid0(SALU_CYCLE_1) | instskip(SKIP_2) | instid1(VALU_DEP_1)
	s_or_b32 exec_lo, exec_lo, s5
	v_add_nc_u32_e32 v11, 0x300, v7
	s_mov_b32 s5, exec_lo
	v_cmpx_lt_i32_e64 v11, v4
	s_cbranch_execz .LBB12_72
; %bb.63:
	s_mov_b32 s1, exec_lo
	v_cmpx_ge_f32_e32 0x40a00000, v9
	s_xor_b32 s6, exec_lo, s1
                                        ; implicit-def: $vgpr3
	s_cbranch_execz .LBB12_69
; %bb.64:
	v_mov_b32_e32 v3, 0xff800000
	s_mov_b32 s7, exec_lo
	v_cmpx_neq_f32_e32 0, v9
	s_cbranch_execz .LBB12_68
; %bb.65:
	v_mov_b32_e32 v3, 0x7fc00000
	s_mov_b32 s8, exec_lo
	v_cmpx_nge_f32_e32 0, v9
	s_cbranch_execz .LBB12_67
; %bb.66:
	v_mul_f32_e32 v12, v9, v9
	v_mov_b64_e32 v[14:15], 0x4c8c277d4e9695f3
	v_mov_b64_e32 v[18:19], 0x508bc61dd316b96b
	;; [unrolled: 1-line block ×4, first 2 shown]
	v_dual_fmaak_f32 v3, 0, v12, 0x4414934d :: v_dual_mul_f32 v16, 0, v12
	v_fmaak_f32 v11, 0, v12, 0x441b3589
	v_mov_b64_e32 v[24:25], 0x5832585252d295d0
	v_cmp_gt_f32_e64 s1, 0x800000, v9
	s_delay_alu instid0(VALU_DEP_4) | instskip(SKIP_2) | instid1(VALU_DEP_3)
	v_fmaak_f32 v3, v12, v3, 0x48660b06
	v_div_scale_f32 v29, s3, -1.0, v9, -1.0
	v_fmaak_f32 v11, v12, v11, 0x487af6d0
	v_mul_f32_e32 v17, v12, v3
	s_delay_alu instid0(VALU_DEP_2) | instskip(NEXT) | instid1(VALU_DEP_2)
	v_fmaak_f32 v3, v12, v11, 0x4c9f4aa7
	v_pk_add_f32 v[14:15], v[16:17], v[14:15]
	s_delay_alu instid0(VALU_DEP_2) | instskip(NEXT) | instid1(VALU_DEP_2)
	v_fmaak_f32 v3, v12, v3, 0x50a509fc
	v_pk_fma_f32 v[14:15], v[12:13], v[14:15], v[18:19] op_sel_hi:[0,1,1]
	v_mov_b64_e32 v[18:19], 0x580d1937d9e700d2
	s_delay_alu instid0(VALU_DEP_3) | instskip(NEXT) | instid1(VALU_DEP_3)
	v_mul_f32_e32 v17, v12, v3
	v_pk_fma_f32 v[14:15], v[12:13], v[14:15], v[20:21] op_sel_hi:[0,1,1]
	v_mov_b64_e32 v[20:21], 0x5b741f1e5c33cd68
	s_delay_alu instid0(VALU_DEP_3) | instskip(SKIP_1) | instid1(VALU_DEP_4)
	v_pk_add_f32 v[16:17], v[16:17], v[22:23]
	v_mov_b64_e32 v[22:23], 0x5b9f0600d6845497
	v_pk_fma_f32 v[14:15], v[12:13], v[14:15], v[18:19] op_sel_hi:[0,1,1]
	v_mov_b64_e32 v[18:19], 0x5e5c878ddd2cf20b
	s_delay_alu instid0(VALU_DEP_4) | instskip(SKIP_1) | instid1(VALU_DEP_4)
	v_pk_fma_f32 v[16:17], v[12:13], v[16:17], v[24:25] op_sel_hi:[0,1,1]
	v_mov_b64_e32 v[24:25], 0x5e93bcac59515a15
	v_pk_fma_f32 v[14:15], v[12:13], v[14:15], v[20:21] op_sel_hi:[0,1,1]
	v_div_scale_f32 v20, null, v9, v9, -1.0
	s_delay_alu instid0(VALU_DEP_4) | instskip(NEXT) | instid1(VALU_DEP_3)
	v_pk_fma_f32 v[16:17], v[12:13], v[16:17], v[22:23] op_sel_hi:[0,1,1]
	v_pk_fma_f32 v[14:15], v[12:13], v[14:15], v[18:19] op_sel_hi:[0,1,1]
	s_delay_alu instid0(VALU_DEP_2) | instskip(SKIP_1) | instid1(VALU_DEP_3)
	v_pk_fma_f32 v[16:17], v[12:13], v[16:17], v[24:25] op_sel_hi:[0,1,1]
	v_cndmask_b32_e64 v13, 0, 32, s1
	v_div_scale_f32 v3, null, v15, v15, v14
	v_div_scale_f32 v23, vcc_lo, v14, v15, v14
	s_delay_alu instid0(VALU_DEP_4) | instskip(NEXT) | instid1(VALU_DEP_3)
	v_div_scale_f32 v11, null, v17, v17, v16
	v_rcp_f32_e32 v18, v3
	v_ldexp_f32 v13, v9, v13
	v_div_scale_f32 v24, s2, v16, v17, v16
	s_delay_alu instid0(VALU_DEP_3) | instskip(NEXT) | instid1(VALU_DEP_2)
	v_rcp_f32_e32 v19, v11
	v_log_f32_e32 v26, v13
	s_delay_alu instid0(TRANS32_DEP_3) | instskip(NEXT) | instid1(TRANS32_DEP_2)
	v_fma_f32 v21, -v3, v18, 1.0
	v_fma_f32 v22, -v11, v19, 1.0
	s_delay_alu instid0(VALU_DEP_2)
	v_fmac_f32_e32 v18, v21, v18
	v_rcp_f32_e32 v21, v20
	s_delay_alu instid0(TRANS32_DEP_2) | instid1(VALU_DEP_2)
	v_dual_mul_f32 v30, 0x3f317217, v26 :: v_dual_fmac_f32 v19, v22, v19
	s_delay_alu instid0(VALU_DEP_2) | instskip(NEXT) | instid1(TRANS32_DEP_1)
	v_mul_f32_e32 v22, v23, v18
	v_fma_f32 v13, -v20, v21, 1.0
	s_delay_alu instid0(VALU_DEP_2) | instskip(NEXT) | instid1(VALU_DEP_1)
	v_dual_mul_f32 v25, v24, v19 :: v_dual_fma_f32 v27, -v3, v22, v23
	v_fma_f32 v28, -v11, v25, v24
	s_delay_alu instid0(VALU_DEP_2) | instskip(SKIP_1) | instid1(VALU_DEP_2)
	v_dual_fmac_f32 v22, v27, v18 :: v_dual_fmac_f32 v21, v13, v21
	v_fma_f32 v13, 0x3f317217, v26, -v30
	v_dual_fmac_f32 v25, v28, v19 :: v_dual_fma_f32 v3, -v3, v22, v23
	s_delay_alu instid0(VALU_DEP_3) | instskip(NEXT) | instid1(VALU_DEP_2)
	v_mul_f32_e32 v23, v29, v21
	v_fma_f32 v11, -v11, v25, v24
	s_delay_alu instid0(VALU_DEP_3) | instskip(SKIP_1) | instid1(VALU_DEP_3)
	v_div_fmas_f32 v3, v3, v18, v22
	s_mov_b32 vcc_lo, s2
	v_fma_f32 v22, -v20, v23, v29
	s_delay_alu instid0(VALU_DEP_3) | instskip(SKIP_2) | instid1(VALU_DEP_3)
	v_div_fmas_f32 v11, v11, v19, v25
	v_mov_b64_e32 v[18:19], 0xc16ae95ac244dfb3
	v_cmp_gt_f32_e64 vcc_lo, 0x7f800000, |v26|
	v_div_fixup_f32 v11, v11, v17, v16
	v_fmamk_f32 v24, v26, 0x3377d1cf, v13
	v_cndmask_b32_e64 v16, 0, 0x41b17218, s1
	v_pk_add_f32 v[12:13], v[12:13], v[18:19] op_sel_hi:[0,1]
	s_delay_alu instid0(VALU_DEP_4) | instskip(NEXT) | instid1(VALU_DEP_1)
	v_dual_mul_f32 v11, v9, v11 :: v_dual_fmac_f32 v23, v22, v21
	v_dual_fmac_f32 v24, 0x3f317217, v26 :: v_dual_mul_f32 v11, v13, v11
	s_delay_alu instid0(VALU_DEP_1) | instskip(SKIP_1) | instid1(VALU_DEP_2)
	v_dual_fma_f32 v17, -v20, v23, v29 :: v_dual_cndmask_b32 v18, v26, v24, vcc_lo
	s_mov_b32 vcc_lo, s3
	v_mul_f32_e32 v11, v12, v11
	s_delay_alu instid0(VALU_DEP_2) | instskip(NEXT) | instid1(VALU_DEP_3)
	v_div_fmas_f32 v13, v17, v21, v23
	v_sub_f32_e32 v16, v18, v16
	s_delay_alu instid0(VALU_DEP_2) | instskip(NEXT) | instid1(VALU_DEP_1)
	v_div_fixup_f32 v12, v13, v9, -1.0
	v_fmac_f32_e32 v12, v16, v11
	v_div_fixup_f32 v11, v3, v15, v14
	s_delay_alu instid0(VALU_DEP_2) | instskip(NEXT) | instid1(VALU_DEP_1)
	v_mul_f32_e32 v3, 0x3f22f983, v12
	v_fmac_f32_e32 v3, v9, v11
.LBB12_67:
	s_or_b32 exec_lo, exec_lo, s8
.LBB12_68:
	s_delay_alu instid0(SALU_CYCLE_1)
	s_or_b32 exec_lo, exec_lo, s7
                                        ; implicit-def: $vgpr9
.LBB12_69:
	s_and_not1_saveexec_b32 s6, s6
	s_cbranch_execz .LBB12_84
; %bb.70:
	v_add_f32_e32 v3, 0xc016cbe4, v9
                                        ; implicit-def: $vgpr13
                                        ; implicit-def: $vgpr12
	s_delay_alu instid0(VALU_DEP_1) | instskip(NEXT) | instid1(VALU_DEP_1)
	v_and_b32_e32 v11, 0x7fffffff, v3
	v_lshrrev_b32_e32 v14, 23, v11
	v_cmp_ngt_f32_e64 s3, 0x48000000, |v3|
	s_and_saveexec_b32 s1, s3
	s_delay_alu instid0(SALU_CYCLE_1)
	s_xor_b32 s7, exec_lo, s1
	s_cbranch_execz .LBB12_77
; %bb.71:
	s_mov_b32 s1, 0x7fffff
	v_mov_b32_e32 v13, 0
	v_and_or_b32 v12, v11, s1, 0x800000
	s_mov_b64 s[8:9], 0xfe5163ab
	v_add_nc_u32_e32 v15, 0xffffff88, v14
	s_delay_alu instid0(VALU_DEP_2) | instskip(NEXT) | instid1(VALU_DEP_2)
	v_mul_u64_e32 v[16:17], s[8:9], v[12:13]
	v_cmp_lt_u32_e32 vcc_lo, 63, v15
	s_delay_alu instid0(VALU_DEP_2) | instskip(SKIP_2) | instid1(VALU_DEP_3)
	v_dual_mov_b32 v18, v17 :: v_dual_mov_b32 v19, v13
	v_dual_mov_b32 v21, v13 :: v_dual_mov_b32 v23, v13
	v_dual_mov_b32 v25, v13 :: v_dual_mov_b32 v27, v13
	v_mad_nc_u64_u32 v[18:19], 0x3c439041, v12, v[18:19]
	v_cndmask_b32_e64 v17, 0, 0xffffffc0, vcc_lo
	s_delay_alu instid0(VALU_DEP_2) | instskip(NEXT) | instid1(VALU_DEP_1)
	v_mov_b32_e32 v20, v19
	v_mad_nc_u64_u32 v[20:21], 0xdb629599, v12, v[20:21]
	s_delay_alu instid0(VALU_DEP_1) | instskip(NEXT) | instid1(VALU_DEP_1)
	v_dual_mov_b32 v22, v21 :: v_dual_cndmask_b32 v16, v20, v16, vcc_lo
	v_mad_nc_u64_u32 v[22:23], 0xf534ddc0, v12, v[22:23]
	s_delay_alu instid0(VALU_DEP_1) | instskip(NEXT) | instid1(VALU_DEP_1)
	v_mov_b32_e32 v24, v23
	v_mad_nc_u64_u32 v[24:25], 0xfc2757d1, v12, v[24:25]
	s_delay_alu instid0(VALU_DEP_1) | instskip(NEXT) | instid1(VALU_DEP_1)
	v_dual_mov_b32 v26, v25 :: v_dual_cndmask_b32 v21, v24, v20
	v_mad_nc_u64_u32 v[26:27], 0x4e441529, v12, v[26:27]
	v_add_nc_u32_e32 v15, v17, v15
	s_delay_alu instid0(VALU_DEP_2) | instskip(NEXT) | instid1(VALU_DEP_3)
	v_dual_mov_b32 v29, v13 :: v_dual_cndmask_b32 v19, v26, v22, vcc_lo
	v_mov_b32_e32 v28, v27
	s_delay_alu instid0(VALU_DEP_3) | instskip(NEXT) | instid1(VALU_DEP_2)
	v_cmp_lt_u32_e64 s1, 31, v15
	v_mad_nc_u64_u32 v[12:13], 0xa2f9836e, v12, v[28:29]
	s_delay_alu instid0(VALU_DEP_2) | instskip(NEXT) | instid1(VALU_DEP_1)
	v_cndmask_b32_e64 v17, 0, 0xffffffe0, s1
	v_dual_cndmask_b32 v12, v12, v24 :: v_dual_add_nc_u32 v15, v17, v15
	s_delay_alu instid0(VALU_DEP_1) | instskip(NEXT) | instid1(VALU_DEP_4)
	v_cmp_lt_u32_e64 s2, 31, v15
	v_cndmask_b32_e32 v13, v13, v26, vcc_lo
	s_delay_alu instid0(VALU_DEP_2) | instskip(NEXT) | instid1(VALU_DEP_1)
	v_cndmask_b32_e64 v17, 0, 0xffffffe0, s2
	v_dual_add_nc_u32 v15, v17, v15 :: v_dual_cndmask_b32 v17, v22, v18, vcc_lo
	s_delay_alu instid0(VALU_DEP_3) | instskip(NEXT) | instid1(VALU_DEP_2)
	v_dual_cndmask_b32 v18, v12, v19, s1 :: v_dual_cndmask_b32 v12, v13, v12, s1
	v_dual_cndmask_b32 v13, v19, v21, s1 :: v_dual_sub_nc_u32 v19, 32, v15
	s_delay_alu instid0(VALU_DEP_3) | instskip(SKIP_1) | instid1(VALU_DEP_3)
	v_cndmask_b32_e64 v21, v21, v17, s1
	v_cmp_eq_u32_e32 vcc_lo, 0, v15
	v_dual_cndmask_b32 v12, v12, v18, s2 :: v_dual_cndmask_b32 v18, v18, v13, s2
	s_delay_alu instid0(VALU_DEP_1) | instskip(NEXT) | instid1(VALU_DEP_1)
	v_alignbit_b32 v22, v12, v18, v19
	v_dual_cndmask_b32 v13, v13, v21, s2 :: v_dual_cndmask_b32 v12, v22, v12, vcc_lo
	s_delay_alu instid0(VALU_DEP_1) | instskip(SKIP_1) | instid1(VALU_DEP_3)
	v_alignbit_b32 v20, v18, v13, v19
	v_cndmask_b32_e64 v15, v17, v16, s1
	v_bfe_u32 v17, v12, 29, 1
	s_delay_alu instid0(VALU_DEP_2) | instskip(NEXT) | instid1(VALU_DEP_2)
	v_dual_cndmask_b32 v16, v20, v18, vcc_lo :: v_dual_cndmask_b32 v15, v21, v15, s2
	v_sub_nc_u32_e32 v20, 0, v17
	s_delay_alu instid0(VALU_DEP_2) | instskip(NEXT) | instid1(VALU_DEP_3)
	v_alignbit_b32 v18, v12, v16, 30
	v_alignbit_b32 v19, v13, v15, v19
	s_delay_alu instid0(VALU_DEP_1) | instskip(NEXT) | instid1(VALU_DEP_1)
	v_dual_cndmask_b32 v13, v19, v13, vcc_lo :: v_dual_bitop2_b32 v18, v18, v20 bitop3:0x14
	v_clz_i32_u32_e32 v19, v18
	s_delay_alu instid0(VALU_DEP_2) | instskip(SKIP_1) | instid1(VALU_DEP_3)
	v_alignbit_b32 v16, v16, v13, 30
	v_alignbit_b32 v13, v13, v15, 30
	v_min_u32_e32 v19, 32, v19
	s_delay_alu instid0(VALU_DEP_3) | instskip(NEXT) | instid1(VALU_DEP_3)
	v_xor_b32_e32 v15, v16, v20
	v_xor_b32_e32 v13, v13, v20
	s_delay_alu instid0(VALU_DEP_3) | instskip(SKIP_1) | instid1(VALU_DEP_1)
	v_dual_lshrrev_b32 v20, 29, v12 :: v_dual_lshlrev_b32 v21, 23, v19
	v_sub_nc_u32_e32 v16, 31, v19
	v_alignbit_b32 v18, v18, v15, v16
	s_delay_alu instid0(VALU_DEP_4) | instskip(NEXT) | instid1(VALU_DEP_4)
	v_alignbit_b32 v13, v15, v13, v16
	v_lshlrev_b32_e32 v15, 31, v20
	s_delay_alu instid0(VALU_DEP_2) | instskip(NEXT) | instid1(VALU_DEP_2)
	v_alignbit_b32 v16, v18, v13, 9
	v_dual_lshrrev_b32 v18, 9, v18 :: v_dual_bitop2_b32 v20, 0.5, v15 bitop3:0x54
	v_or_b32_e32 v15, 0x33000000, v15
	s_delay_alu instid0(VALU_DEP_3) | instskip(NEXT) | instid1(VALU_DEP_3)
	v_clz_i32_u32_e32 v22, v16
	v_sub_nc_u32_e32 v20, v20, v21
	s_delay_alu instid0(VALU_DEP_2) | instskip(NEXT) | instid1(VALU_DEP_1)
	v_min_u32_e32 v21, 32, v22
	v_add_lshl_u32 v19, v21, v19, 23
	s_delay_alu instid0(VALU_DEP_1) | instskip(SKIP_1) | instid1(VALU_DEP_1)
	v_dual_sub_nc_u32 v15, v15, v19 :: v_dual_bitop2_b32 v18, v18, v20 bitop3:0x54
	v_not_b32_e32 v20, v21
	v_alignbit_b32 v13, v16, v13, v20
	s_delay_alu instid0(VALU_DEP_1) | instskip(NEXT) | instid1(VALU_DEP_1)
	v_dual_mul_f32 v22, 0x3fc90fda, v18 :: v_dual_lshrrev_b32 v13, 9, v13
	v_or_b32_e32 v13, v15, v13
	s_delay_alu instid0(VALU_DEP_2) | instskip(NEXT) | instid1(VALU_DEP_1)
	v_fma_f32 v16, 0x3fc90fda, v18, -v22
	v_fmamk_f32 v16, v18, 0x33a22168, v16
	s_delay_alu instid0(VALU_DEP_1) | instskip(NEXT) | instid1(VALU_DEP_1)
	v_dual_fmac_f32 v16, 0x3fc90fda, v13 :: v_dual_lshrrev_b32 v13, 30, v12
	v_dual_add_f32 v12, v22, v16 :: v_dual_add_nc_u32 v13, v17, v13
	s_or_saveexec_b32 s1, s7
	v_mul_f32_e64 v17, 0x3f22f983, |v3|
	s_xor_b32 exec_lo, exec_lo, s1
	s_branch .LBB12_78
.LBB12_72:
	s_or_b32 exec_lo, exec_lo, s5
	s_and_saveexec_b32 s1, s0
	s_delay_alu instid0(SALU_CYCLE_1)
	s_xor_b32 s0, exec_lo, s1
	s_cbranch_execz .LBB12_85
.LBB12_73:
	v_dual_mov_b32 v9, 0 :: v_dual_mov_b32 v7, v10
	s_delay_alu instid0(VALU_DEP_1) | instskip(SKIP_3) | instid1(SALU_CYCLE_1)
	v_lshl_add_u64 v[8:9], v[8:9], 2, v[0:1]
	flat_store_b32 v[8:9], v2
	s_wait_xcnt 0x0
	s_or_b32 exec_lo, exec_lo, s0
	s_mov_b32 s0, exec_lo
	v_cmpx_lt_i32_e64 v7, v4
	s_cbranch_execnz .LBB12_86
.LBB12_74:
	s_or_b32 exec_lo, exec_lo, s0
	s_delay_alu instid0(SALU_CYCLE_1)
	s_mov_b32 s0, exec_lo
	v_cmpx_lt_i32_e64 v7, v4
	s_cbranch_execz .LBB12_87
.LBB12_75:
	v_dual_mov_b32 v9, 0 :: v_dual_add_nc_u32 v8, s4, v7
	v_add_nc_u32_e32 v7, 0x100, v7
	s_delay_alu instid0(VALU_DEP_2) | instskip(SKIP_3) | instid1(SALU_CYCLE_1)
	v_lshl_add_u64 v[8:9], v[8:9], 2, v[0:1]
	flat_store_b32 v[8:9], v6
	s_wait_xcnt 0x0
	s_or_b32 exec_lo, exec_lo, s0
	s_mov_b32 s0, exec_lo
	v_cmpx_lt_i32_e64 v7, v4
	s_cbranch_execnz .LBB12_88
.LBB12_76:
	s_or_b32 exec_lo, exec_lo, s0
	s_wait_dscnt 0x0
	s_set_pc_i64 s[30:31]
.LBB12_77:
	s_or_saveexec_b32 s1, s7
	v_mul_f32_e64 v17, 0x3f22f983, |v3|
	s_xor_b32 exec_lo, exec_lo, s1
.LBB12_78:
	s_delay_alu instid0(VALU_DEP_1) | instskip(NEXT) | instid1(VALU_DEP_1)
	v_rndne_f32_e32 v13, v17
	v_fma_f32 v12, 0xbfc90fda, v13, |v3|
	s_delay_alu instid0(VALU_DEP_1) | instskip(NEXT) | instid1(VALU_DEP_1)
	v_fmamk_f32 v12, v13, 0xb3a22168, v12
	v_fmamk_f32 v12, v13, 0xa7c234c4, v12
	v_cvt_i32_f32_e32 v13, v13
; %bb.79:
	s_or_b32 exec_lo, exec_lo, s1
                                        ; implicit-def: $vgpr16
                                        ; implicit-def: $vgpr15
	s_and_saveexec_b32 s1, s3
	s_delay_alu instid0(SALU_CYCLE_1)
	s_xor_b32 s3, exec_lo, s1
	s_cbranch_execz .LBB12_81
; %bb.80:
	s_mov_b32 s1, 0x7fffff
	v_mov_b32_e32 v17, 0
	v_and_or_b32 v16, v11, s1, 0x800000
	s_mov_b64 s[8:9], 0xfe5163ab
	s_delay_alu instid0(VALU_DEP_1) | instid1(SALU_CYCLE_1)
	v_mul_u64_e32 v[18:19], s[8:9], v[16:17]
	s_delay_alu instid0(VALU_DEP_1) | instskip(SKIP_2) | instid1(VALU_DEP_3)
	v_dual_mov_b32 v20, v19 :: v_dual_mov_b32 v21, v17
	v_dual_mov_b32 v23, v17 :: v_dual_mov_b32 v25, v17
	v_dual_mov_b32 v27, v17 :: v_dual_mov_b32 v29, v17
	v_mad_nc_u64_u32 v[20:21], 0x3c439041, v16, v[20:21]
	v_add_nc_u32_e32 v19, 0xffffff88, v14
	s_delay_alu instid0(VALU_DEP_1) | instskip(NEXT) | instid1(VALU_DEP_3)
	v_cmp_lt_u32_e32 vcc_lo, 63, v19
	v_mov_b32_e32 v22, v21
	v_cndmask_b32_e64 v21, 0, 0xffffffc0, vcc_lo
	s_delay_alu instid0(VALU_DEP_2) | instskip(NEXT) | instid1(VALU_DEP_1)
	v_mad_nc_u64_u32 v[22:23], 0xdb629599, v16, v[22:23]
	v_dual_mov_b32 v24, v23 :: v_dual_cndmask_b32 v18, v22, v18, vcc_lo
	s_delay_alu instid0(VALU_DEP_1) | instskip(NEXT) | instid1(VALU_DEP_1)
	v_mad_nc_u64_u32 v[24:25], 0xf534ddc0, v16, v[24:25]
	v_mov_b32_e32 v26, v25
	s_delay_alu instid0(VALU_DEP_1) | instskip(NEXT) | instid1(VALU_DEP_1)
	v_mad_nc_u64_u32 v[26:27], 0xfc2757d1, v16, v[26:27]
	v_mov_b32_e32 v28, v27
	s_delay_alu instid0(VALU_DEP_1) | instskip(NEXT) | instid1(VALU_DEP_1)
	v_mad_nc_u64_u32 v[14:15], 0x4e441529, v16, v[28:29]
	v_dual_mov_b32 v28, v15 :: v_dual_add_nc_u32 v19, v21, v19
	s_delay_alu instid0(VALU_DEP_1) | instskip(NEXT) | instid1(VALU_DEP_3)
	v_cmp_lt_u32_e64 s1, 31, v19
	v_cndmask_b32_e32 v21, v14, v24, vcc_lo
	s_delay_alu instid0(VALU_DEP_3) | instskip(NEXT) | instid1(VALU_DEP_3)
	v_mad_nc_u64_u32 v[16:17], 0xa2f9836e, v16, v[28:29]
	v_cndmask_b32_e64 v15, 0, 0xffffffe0, s1
	s_delay_alu instid0(VALU_DEP_1) | instskip(NEXT) | instid1(VALU_DEP_1)
	v_add_nc_u32_e32 v15, v15, v19
	v_cmp_lt_u32_e64 s2, 31, v15
	s_delay_alu instid0(VALU_DEP_4) | instskip(NEXT) | instid1(VALU_DEP_2)
	v_cndmask_b32_e32 v14, v17, v14, vcc_lo
	v_cndmask_b32_e64 v19, 0, 0xffffffe0, s2
	s_delay_alu instid0(VALU_DEP_1) | instskip(SKIP_1) | instid1(VALU_DEP_2)
	v_dual_cndmask_b32 v16, v16, v26 :: v_dual_add_nc_u32 v15, v19, v15
	v_dual_cndmask_b32 v17, v26, v22, vcc_lo :: v_dual_cndmask_b32 v19, v24, v20, vcc_lo
	v_dual_cndmask_b32 v20, v16, v21, s1 :: v_dual_cndmask_b32 v14, v14, v16, s1
	s_delay_alu instid0(VALU_DEP_3) | instskip(NEXT) | instid1(VALU_DEP_3)
	v_cmp_eq_u32_e32 vcc_lo, 0, v15
	v_dual_cndmask_b32 v16, v21, v17, s1 :: v_dual_sub_nc_u32 v21, 32, v15
	s_delay_alu instid0(VALU_DEP_3) | instskip(NEXT) | instid1(VALU_DEP_2)
	v_dual_cndmask_b32 v17, v17, v19, s1 :: v_dual_cndmask_b32 v14, v14, v20, s2
	v_dual_cndmask_b32 v15, v19, v18, s1 :: v_dual_cndmask_b32 v20, v20, v16, s2
	s_delay_alu instid0(VALU_DEP_2) | instskip(NEXT) | instid1(VALU_DEP_2)
	v_cndmask_b32_e64 v16, v16, v17, s2
	v_alignbit_b32 v23, v14, v20, v21
	s_delay_alu instid0(VALU_DEP_2) | instskip(NEXT) | instid1(VALU_DEP_1)
	v_alignbit_b32 v22, v20, v16, v21
	v_dual_cndmask_b32 v14, v23, v14, vcc_lo :: v_dual_cndmask_b32 v18, v22, v20, vcc_lo
	s_delay_alu instid0(VALU_DEP_1) | instskip(NEXT) | instid1(VALU_DEP_1)
	v_bfe_u32 v19, v14, 29, 1
	v_sub_nc_u32_e32 v20, 0, v19
	v_cndmask_b32_e64 v15, v17, v15, s2
	s_delay_alu instid0(VALU_DEP_4) | instskip(NEXT) | instid1(VALU_DEP_1)
	v_alignbit_b32 v17, v14, v18, 30
	v_xor_b32_e32 v17, v17, v20
	s_delay_alu instid0(VALU_DEP_3) | instskip(NEXT) | instid1(VALU_DEP_1)
	v_alignbit_b32 v21, v16, v15, v21
	v_cndmask_b32_e32 v16, v21, v16, vcc_lo
	s_delay_alu instid0(VALU_DEP_3) | instskip(NEXT) | instid1(VALU_DEP_2)
	v_clz_i32_u32_e32 v21, v17
	v_alignbit_b32 v18, v18, v16, 30
	s_delay_alu instid0(VALU_DEP_2) | instskip(SKIP_1) | instid1(VALU_DEP_2)
	v_min_u32_e32 v21, 32, v21
	v_alignbit_b32 v15, v16, v15, 30
	v_dual_sub_nc_u32 v18, 31, v21 :: v_dual_bitop2_b32 v16, v18, v20 bitop3:0x14
	s_delay_alu instid0(VALU_DEP_2) | instskip(SKIP_1) | instid1(VALU_DEP_3)
	v_dual_lshrrev_b32 v20, 29, v14 :: v_dual_bitop2_b32 v15, v15, v20 bitop3:0x14
	v_dual_lshlrev_b32 v22, 23, v21 :: v_dual_lshrrev_b32 v14, 30, v14
	v_alignbit_b32 v17, v17, v16, v18
	s_delay_alu instid0(VALU_DEP_3) | instskip(NEXT) | instid1(VALU_DEP_4)
	v_alignbit_b32 v15, v16, v15, v18
	v_lshlrev_b32_e32 v16, 31, v20
	s_delay_alu instid0(VALU_DEP_2) | instskip(NEXT) | instid1(VALU_DEP_2)
	v_alignbit_b32 v18, v17, v15, 9
	v_dual_lshrrev_b32 v17, 9, v17 :: v_dual_bitop2_b32 v20, 0.5, v16 bitop3:0x54
	v_or_b32_e32 v16, 0x33000000, v16
	s_delay_alu instid0(VALU_DEP_3) | instskip(NEXT) | instid1(VALU_DEP_3)
	v_clz_i32_u32_e32 v23, v18
	v_sub_nc_u32_e32 v20, v20, v22
	s_delay_alu instid0(VALU_DEP_2) | instskip(NEXT) | instid1(VALU_DEP_1)
	v_min_u32_e32 v22, 32, v23
	v_add_lshl_u32 v21, v22, v21, 23
	s_delay_alu instid0(VALU_DEP_3) | instskip(SKIP_1) | instid1(VALU_DEP_3)
	v_or_b32_e32 v17, v17, v20
	v_not_b32_e32 v20, v22
	v_sub_nc_u32_e32 v16, v16, v21
	s_delay_alu instid0(VALU_DEP_3) | instskip(NEXT) | instid1(VALU_DEP_3)
	v_mul_f32_e32 v23, 0x3fc90fda, v17
	v_alignbit_b32 v15, v18, v15, v20
	s_delay_alu instid0(VALU_DEP_2) | instskip(NEXT) | instid1(VALU_DEP_2)
	v_fma_f32 v18, 0x3fc90fda, v17, -v23
	v_lshrrev_b32_e32 v15, 9, v15
	s_delay_alu instid0(VALU_DEP_2) | instskip(NEXT) | instid1(VALU_DEP_2)
	v_fmamk_f32 v17, v17, 0x33a22168, v18
	v_dual_add_nc_u32 v16, v19, v14 :: v_dual_bitop2_b32 v15, v16, v15 bitop3:0x54
	s_delay_alu instid0(VALU_DEP_1) | instskip(NEXT) | instid1(VALU_DEP_1)
	v_fmac_f32_e32 v17, 0x3fc90fda, v15
	v_add_f32_e32 v15, v23, v17
                                        ; implicit-def: $vgpr17
	s_and_not1_saveexec_b32 s1, s3
	s_cbranch_execnz .LBB12_82
	s_branch .LBB12_83
.LBB12_81:
	s_and_not1_saveexec_b32 s1, s3
.LBB12_82:
	v_rndne_f32_e32 v14, v17
	s_delay_alu instid0(VALU_DEP_1) | instskip(SKIP_1) | instid1(VALU_DEP_2)
	v_fma_f32 v15, 0xbfc90fda, v14, |v3|
	v_cvt_i32_f32_e32 v16, v14
	v_fmamk_f32 v15, v14, 0xb3a22168, v15
	s_delay_alu instid0(VALU_DEP_1)
	v_fmamk_f32 v15, v14, 0xa7c234c4, v15
.LBB12_83:
	s_or_b32 exec_lo, exec_lo, s1
	v_div_scale_f32 v14, null, v9, v9, 0x40a00000
	v_div_scale_f32 v19, vcc_lo, 0x40a00000, v9, 0x40a00000
	s_mov_b32 s1, 0xb94c1982
	v_rcp_f32_e32 v17, v14
	v_mul_f32_e32 v26, 0x4f800000, v9
	s_mov_b32 s2, 0x37d75334
	v_xor_b32_e32 v11, v11, v3
	v_and_b32_e32 v21, 1, v16
	s_delay_alu instid0(TRANS32_DEP_1) | instskip(NEXT) | instid1(VALU_DEP_1)
	v_fma_f32 v18, -v14, v17, 1.0
	v_fmac_f32_e32 v17, v18, v17
	s_delay_alu instid0(VALU_DEP_1) | instskip(NEXT) | instid1(VALU_DEP_1)
	v_mul_f32_e32 v18, v19, v17
	v_fma_f32 v20, -v14, v18, v19
	s_delay_alu instid0(VALU_DEP_1) | instskip(NEXT) | instid1(VALU_DEP_1)
	v_dual_fmac_f32 v18, v20, v17 :: v_dual_mul_f32 v20, v15, v15
	v_fma_f32 v14, -v14, v18, v19
	s_delay_alu instid0(VALU_DEP_2) | instskip(NEXT) | instid1(VALU_DEP_2)
	v_fmaak_f32 v29, s1, v20, 0x3c0881c4
	v_div_fmas_f32 v14, v14, v17, v18
	v_mul_f32_e32 v17, v12, v12
	s_delay_alu instid0(VALU_DEP_3) | instskip(SKIP_1) | instid1(VALU_DEP_4)
	v_fmaak_f32 v29, v20, v29, 0xbe2aaa9d
	v_dual_lshlrev_b32 v13, 30, v13 :: v_dual_bitop2_b32 v18, 1, v13 bitop3:0x40
	v_div_fixup_f32 v14, v14, v9, 0x40a00000
	s_delay_alu instid0(VALU_DEP_4) | instskip(SKIP_1) | instid1(VALU_DEP_4)
	v_fmaak_f32 v27, s1, v17, 0x3c0881c4
	v_cmp_gt_f32_e64 s1, 0xf800000, v9
	v_cmp_eq_u32_e64 s3, 0, v18
	v_and_b32_e32 v13, 0x80000000, v13
	v_dual_mul_f32 v19, v14, v14 :: v_dual_lshlrev_b32 v16, 30, v16
	s_delay_alu instid0(VALU_DEP_4) | instskip(SKIP_1) | instid1(VALU_DEP_3)
	v_cndmask_b32_e64 v9, v9, v26, s1
	v_fmaak_f32 v27, v17, v27, 0xbe2aaa9d
	v_dual_mul_f32 v29, v20, v29 :: v_dual_fmaak_f32 v22, 0, v19, 0x3d513fd3
	v_fmaak_f32 v23, 0, v19, 0x3a15c4d9
	v_fmaak_f32 v25, 0, v19, 0x3a47c962
	v_sqrt_f32_e32 v33, v9
	v_fmaak_f32 v24, 0, v19, 0x42947983
	v_dual_fmaak_f32 v22, v19, v22, 0x409f6dae :: v_dual_mul_f32 v27, v17, v27
	v_fmaak_f32 v23, v19, v23, 0x3d8cfeeb
	v_fmaak_f32 v25, v19, v25, 0x3d95ca45
	v_dual_fmaak_f32 v30, s2, v20, 0xbab64f3b :: v_dual_fmac_f32 v15, v15, v29
	s_delay_alu instid0(TRANS32_DEP_1) | instid1(VALU_DEP_3)
	v_dual_fmaak_f32 v23, v19, v23, 0x3f8d754e :: v_dual_add_nc_u32 v38, 1, v33
	s_delay_alu instid0(VALU_DEP_3) | instskip(SKIP_1) | instid1(VALU_DEP_4)
	v_dual_fmac_f32 v12, v12, v27 :: v_dual_fmaak_f32 v25, v19, v25, 0x3f9047f6
	v_fmaak_f32 v22, v19, v22, 0x4297a5cd
	v_fmaak_f32 v30, v20, v30, 0x3d2aabf7
	s_delay_alu instid0(VALU_DEP_4) | instskip(NEXT) | instid1(VALU_DEP_4)
	v_fmaak_f32 v23, v19, v23, 0x40a25d18
	v_fmaak_f32 v25, v19, v25, 0x40a39628
	s_delay_alu instid0(VALU_DEP_4) | instskip(NEXT) | instid1(VALU_DEP_4)
	;; [unrolled: 3-line block ×4, first 2 shown]
	v_fmaak_f32 v22, v19, v22, 0x4431b6ce
	v_fma_f32 v20, v20, v30, 1.0
	s_delay_alu instid0(VALU_DEP_4) | instskip(NEXT) | instid1(VALU_DEP_4)
	v_fmaak_f32 v23, v19, v23, 0x40a6b6ea
	v_fmaak_f32 v25, v19, v25, 0x40a6dd51
	s_delay_alu instid0(VALU_DEP_4) | instskip(NEXT) | instid1(VALU_DEP_3)
	v_fmaak_f32 v22, v19, v22, 0x44155f56
	v_fma_f32 v23, v19, v23, 1.0
	s_delay_alu instid0(VALU_DEP_3) | instskip(NEXT) | instid1(VALU_DEP_3)
	v_fma_f32 v25, v19, v25, 1.0
	v_fmaak_f32 v22, v19, v22, 0x4353b052
	s_delay_alu instid0(VALU_DEP_2) | instskip(SKIP_1) | instid1(VALU_DEP_1)
	v_div_scale_f32 v36, vcc_lo, v25, v23, v25
	v_fmaak_f32 v24, v19, v24, 0x44840e5d
	v_fmaak_f32 v24, v19, v24, 0x459bd349
	s_delay_alu instid0(VALU_DEP_1) | instskip(NEXT) | instid1(VALU_DEP_1)
	v_fmaak_f32 v24, v19, v24, 0x46156947
	v_fmaak_f32 v24, v19, v24, 0x45f9e855
	s_delay_alu instid0(VALU_DEP_1) | instskip(NEXT) | instid1(VALU_DEP_1)
	v_fmaak_f32 v24, v19, v24, 0x4530a316
	v_fmaak_f32 v24, v19, v24, 0x43a80bfb
	;; [unrolled: 1-line block ×3, first 2 shown]
	v_div_scale_f32 v22, null, v23, v23, v25
	s_delay_alu instid0(VALU_DEP_2) | instskip(NEXT) | instid1(VALU_DEP_2)
	v_div_scale_f32 v26, null, v24, v24, v19
	v_rcp_f32_e32 v31, v22
	s_delay_alu instid0(VALU_DEP_1) | instskip(NEXT) | instid1(TRANS32_DEP_2)
	v_rcp_f32_e32 v32, v26
	v_fma_f32 v34, -v22, v31, 1.0
	s_delay_alu instid0(TRANS32_DEP_1) | instskip(NEXT) | instid1(VALU_DEP_1)
	v_fma_f32 v35, -v26, v32, 1.0
	v_dual_fmac_f32 v31, v34, v31 :: v_dual_fmac_f32 v32, v35, v32
	s_delay_alu instid0(VALU_DEP_1) | instskip(NEXT) | instid1(VALU_DEP_1)
	v_dual_add_nc_u32 v35, -1, v33 :: v_dual_mul_f32 v37, v36, v31
	v_fma_f32 v27, -v22, v37, v36
	v_fmaak_f32 v28, s2, v17, 0xbab64f3b
	v_div_scale_f32 v34, s2, v19, v24, v19
	s_delay_alu instid0(VALU_DEP_4) | instskip(NEXT) | instid1(VALU_DEP_3)
	v_fma_f32 v29, -v35, v33, v9
	v_dual_fmac_f32 v37, v27, v31 :: v_dual_fmaak_f32 v28, v17, v28, 0x3d2aabf7
	s_delay_alu instid0(VALU_DEP_3) | instskip(NEXT) | instid1(VALU_DEP_2)
	v_mul_f32_e32 v39, v34, v32
	v_fmaak_f32 v28, v17, v28, 0xbf000004
	s_delay_alu instid0(VALU_DEP_1) | instskip(NEXT) | instid1(VALU_DEP_3)
	v_fma_f32 v17, v17, v28, 1.0
	v_fma_f32 v28, -v26, v39, v34
	s_delay_alu instid0(VALU_DEP_2) | instskip(NEXT) | instid1(VALU_DEP_2)
	v_dual_fma_f32 v27, -v38, v33, v9 :: v_dual_cndmask_b32 v12, v17, v12, s3
	v_fmac_f32_e32 v39, v28, v32
	v_cmp_eq_u32_e64 s3, 0, v21
	v_fma_f32 v17, -v22, v37, v36
	s_delay_alu instid0(VALU_DEP_4) | instskip(NEXT) | instid1(VALU_DEP_3)
	v_xor3_b32 v11, v11, v13, v12
	v_cndmask_b32_e64 v15, -v15, v20, s3
	s_delay_alu instid0(VALU_DEP_3) | instskip(SKIP_3) | instid1(VALU_DEP_1)
	v_div_fmas_f32 v17, v17, v31, v37
	s_mov_b32 vcc_lo, s2
	v_cmp_lt_f32_e64 s2, 0, v27
	v_fma_f32 v18, -v26, v39, v34
	v_div_fmas_f32 v18, v18, v32, v39
	v_cmp_ge_f32_e32 vcc_lo, 0, v29
	s_delay_alu instid0(VALU_DEP_2) | instskip(SKIP_4) | instid1(VALU_DEP_4)
	v_div_fixup_f32 v12, v18, v24, v19
	v_cndmask_b32_e32 v20, v33, v35, vcc_lo
	v_cmp_class_f32_e64 vcc_lo, v3, 0x1f8
	v_bitop3_b32 v3, v16, v15, 0x80000000 bitop3:0x6c
	v_div_fixup_f32 v15, v17, v23, v25
	v_dual_mul_f32 v12, v14, v12 :: v_dual_cndmask_b32 v13, v20, v38, s2
	v_cndmask_b32_e32 v11, 0x7fc00000, v11, vcc_lo
	s_delay_alu instid0(VALU_DEP_4) | instskip(SKIP_1) | instid1(VALU_DEP_2)
	v_cndmask_b32_e32 v3, 0x7fc00000, v3, vcc_lo
	v_cmp_class_f32_e64 vcc_lo, v9, 0x260
	v_dual_mul_f32 v14, 0x37800000, v13 :: v_dual_mul_f32 v3, v12, v3
	s_delay_alu instid0(VALU_DEP_1) | instskip(NEXT) | instid1(VALU_DEP_1)
	v_dual_cndmask_b32 v12, v13, v14, s1 :: v_dual_fmac_f32 v3, v15, v11
	v_cndmask_b32_e32 v9, v12, v9, vcc_lo
	s_delay_alu instid0(VALU_DEP_2) | instskip(NEXT) | instid1(VALU_DEP_1)
	v_mul_f32_e32 v3, 0x3f4c422a, v3
	v_div_scale_f32 v11, null, v9, v9, v3
	s_delay_alu instid0(VALU_DEP_1) | instskip(SKIP_1) | instid1(TRANS32_DEP_1)
	v_rcp_f32_e32 v12, v11
	v_nop
	v_fma_f32 v13, -v11, v12, 1.0
	s_delay_alu instid0(VALU_DEP_1) | instskip(SKIP_1) | instid1(VALU_DEP_1)
	v_fmac_f32_e32 v12, v13, v12
	v_div_scale_f32 v13, vcc_lo, v3, v9, v3
	v_mul_f32_e32 v14, v13, v12
	s_delay_alu instid0(VALU_DEP_1) | instskip(NEXT) | instid1(VALU_DEP_1)
	v_fma_f32 v15, -v11, v14, v13
	v_fmac_f32_e32 v14, v15, v12
	s_delay_alu instid0(VALU_DEP_1) | instskip(NEXT) | instid1(VALU_DEP_1)
	v_fma_f32 v11, -v11, v14, v13
	v_div_fmas_f32 v11, v11, v12, v14
	s_delay_alu instid0(VALU_DEP_1)
	v_div_fixup_f32 v3, v11, v9, v3
.LBB12_84:
	s_or_b32 exec_lo, exec_lo, s6
	s_delay_alu instid0(SALU_CYCLE_1) | instskip(SKIP_1) | instid1(SALU_CYCLE_1)
	s_or_b32 exec_lo, exec_lo, s5
	s_and_saveexec_b32 s1, s0
	s_xor_b32 s0, exec_lo, s1
	s_cbranch_execnz .LBB12_73
.LBB12_85:
	s_or_b32 exec_lo, exec_lo, s0
	s_delay_alu instid0(SALU_CYCLE_1)
	s_mov_b32 s0, exec_lo
	v_cmpx_lt_i32_e64 v7, v4
	s_cbranch_execz .LBB12_74
.LBB12_86:
	v_dual_mov_b32 v9, 0 :: v_dual_add_nc_u32 v8, s4, v7
	v_add_nc_u32_e32 v7, 0x100, v7
	s_delay_alu instid0(VALU_DEP_2) | instskip(SKIP_3) | instid1(SALU_CYCLE_1)
	v_lshl_add_u64 v[8:9], v[8:9], 2, v[0:1]
	flat_store_b32 v[8:9], v5
	s_wait_xcnt 0x0
	s_or_b32 exec_lo, exec_lo, s0
	s_mov_b32 s0, exec_lo
	v_cmpx_lt_i32_e64 v7, v4
	s_cbranch_execnz .LBB12_75
.LBB12_87:
	s_or_b32 exec_lo, exec_lo, s0
	s_delay_alu instid0(SALU_CYCLE_1)
	s_mov_b32 s0, exec_lo
	v_cmpx_lt_i32_e64 v7, v4
	s_cbranch_execz .LBB12_76
.LBB12_88:
	v_dual_mov_b32 v5, 0 :: v_dual_add_nc_u32 v4, s4, v7
	s_delay_alu instid0(VALU_DEP_1)
	v_lshl_add_u64 v[0:1], v[4:5], 2, v[0:1]
	flat_store_b32 v[0:1], v3
	s_wait_xcnt 0x0
	s_or_b32 exec_lo, exec_lo, s0
	s_wait_dscnt 0x0
	s_set_pc_i64 s[30:31]
.Lfunc_end12:
	.size	_ZN2at6native25elementwise_kernel_helperILb0EZZZNS0_12_GLOBAL__N_121bessel_y1_kernel_cudaERNS_18TensorIteratorBaseEENKUlvE_clEvENKUlvE0_clEvEUlfE_NS0_6memory8policies11unroll_baseILi256ESt5arrayIPcLm2EE23TrivialOffsetCalculatorILi1EjESF_NS8_15LoadWithoutCastENS8_16StoreWithoutCastELi4ELi1EEEEEvT0_T1_, .Lfunc_end12-_ZN2at6native25elementwise_kernel_helperILb0EZZZNS0_12_GLOBAL__N_121bessel_y1_kernel_cudaERNS_18TensorIteratorBaseEENKUlvE_clEvENKUlvE0_clEvEUlfE_NS0_6memory8policies11unroll_baseILi256ESt5arrayIPcLm2EE23TrivialOffsetCalculatorILi1EjESF_NS8_15LoadWithoutCastENS8_16StoreWithoutCastELi4ELi1EEEEEvT0_T1_
                                        ; -- End function
	.set .L_ZN2at6native25elementwise_kernel_helperILb0EZZZNS0_12_GLOBAL__N_121bessel_y1_kernel_cudaERNS_18TensorIteratorBaseEENKUlvE_clEvENKUlvE0_clEvEUlfE_NS0_6memory8policies11unroll_baseILi256ESt5arrayIPcLm2EE23TrivialOffsetCalculatorILi1EjESF_NS8_15LoadWithoutCastENS8_16StoreWithoutCastELi4ELi1EEEEEvT0_T1_.num_vgpr, 50
	.set .L_ZN2at6native25elementwise_kernel_helperILb0EZZZNS0_12_GLOBAL__N_121bessel_y1_kernel_cudaERNS_18TensorIteratorBaseEENKUlvE_clEvENKUlvE0_clEvEUlfE_NS0_6memory8policies11unroll_baseILi256ESt5arrayIPcLm2EE23TrivialOffsetCalculatorILi1EjESF_NS8_15LoadWithoutCastENS8_16StoreWithoutCastELi4ELi1EEEEEvT0_T1_.num_agpr, 0
	.set .L_ZN2at6native25elementwise_kernel_helperILb0EZZZNS0_12_GLOBAL__N_121bessel_y1_kernel_cudaERNS_18TensorIteratorBaseEENKUlvE_clEvENKUlvE0_clEvEUlfE_NS0_6memory8policies11unroll_baseILi256ESt5arrayIPcLm2EE23TrivialOffsetCalculatorILi1EjESF_NS8_15LoadWithoutCastENS8_16StoreWithoutCastELi4ELi1EEEEEvT0_T1_.numbered_sgpr, 32
	.set .L_ZN2at6native25elementwise_kernel_helperILb0EZZZNS0_12_GLOBAL__N_121bessel_y1_kernel_cudaERNS_18TensorIteratorBaseEENKUlvE_clEvENKUlvE0_clEvEUlfE_NS0_6memory8policies11unroll_baseILi256ESt5arrayIPcLm2EE23TrivialOffsetCalculatorILi1EjESF_NS8_15LoadWithoutCastENS8_16StoreWithoutCastELi4ELi1EEEEEvT0_T1_.num_named_barrier, 0
	.set .L_ZN2at6native25elementwise_kernel_helperILb0EZZZNS0_12_GLOBAL__N_121bessel_y1_kernel_cudaERNS_18TensorIteratorBaseEENKUlvE_clEvENKUlvE0_clEvEUlfE_NS0_6memory8policies11unroll_baseILi256ESt5arrayIPcLm2EE23TrivialOffsetCalculatorILi1EjESF_NS8_15LoadWithoutCastENS8_16StoreWithoutCastELi4ELi1EEEEEvT0_T1_.private_seg_size, 0
	.set .L_ZN2at6native25elementwise_kernel_helperILb0EZZZNS0_12_GLOBAL__N_121bessel_y1_kernel_cudaERNS_18TensorIteratorBaseEENKUlvE_clEvENKUlvE0_clEvEUlfE_NS0_6memory8policies11unroll_baseILi256ESt5arrayIPcLm2EE23TrivialOffsetCalculatorILi1EjESF_NS8_15LoadWithoutCastENS8_16StoreWithoutCastELi4ELi1EEEEEvT0_T1_.uses_vcc, 1
	.set .L_ZN2at6native25elementwise_kernel_helperILb0EZZZNS0_12_GLOBAL__N_121bessel_y1_kernel_cudaERNS_18TensorIteratorBaseEENKUlvE_clEvENKUlvE0_clEvEUlfE_NS0_6memory8policies11unroll_baseILi256ESt5arrayIPcLm2EE23TrivialOffsetCalculatorILi1EjESF_NS8_15LoadWithoutCastENS8_16StoreWithoutCastELi4ELi1EEEEEvT0_T1_.uses_flat_scratch, 0
	.set .L_ZN2at6native25elementwise_kernel_helperILb0EZZZNS0_12_GLOBAL__N_121bessel_y1_kernel_cudaERNS_18TensorIteratorBaseEENKUlvE_clEvENKUlvE0_clEvEUlfE_NS0_6memory8policies11unroll_baseILi256ESt5arrayIPcLm2EE23TrivialOffsetCalculatorILi1EjESF_NS8_15LoadWithoutCastENS8_16StoreWithoutCastELi4ELi1EEEEEvT0_T1_.has_dyn_sized_stack, 0
	.set .L_ZN2at6native25elementwise_kernel_helperILb0EZZZNS0_12_GLOBAL__N_121bessel_y1_kernel_cudaERNS_18TensorIteratorBaseEENKUlvE_clEvENKUlvE0_clEvEUlfE_NS0_6memory8policies11unroll_baseILi256ESt5arrayIPcLm2EE23TrivialOffsetCalculatorILi1EjESF_NS8_15LoadWithoutCastENS8_16StoreWithoutCastELi4ELi1EEEEEvT0_T1_.has_recursion, 0
	.set .L_ZN2at6native25elementwise_kernel_helperILb0EZZZNS0_12_GLOBAL__N_121bessel_y1_kernel_cudaERNS_18TensorIteratorBaseEENKUlvE_clEvENKUlvE0_clEvEUlfE_NS0_6memory8policies11unroll_baseILi256ESt5arrayIPcLm2EE23TrivialOffsetCalculatorILi1EjESF_NS8_15LoadWithoutCastENS8_16StoreWithoutCastELi4ELi1EEEEEvT0_T1_.has_indirect_call, 0
	.section	.AMDGPU.csdata,"",@progbits
; Function info:
; codeLenInByte = 15096
; TotalNumSgprs: 34
; NumVgprs: 50
; ScratchSize: 0
; MemoryBound: 0
	.text
	.p2align	2                               ; -- Begin function _ZN2at6native25elementwise_kernel_helperILb0EZZZNS0_12_GLOBAL__N_121bessel_y1_kernel_cudaERNS_18TensorIteratorBaseEENKUlvE_clEvENKUlvE0_clEvEUlfE_NS0_6memory8policies10vectorizedILi4ESt5arrayIPcLm2EELi4EEEEEvT0_T1_
	.type	_ZN2at6native25elementwise_kernel_helperILb0EZZZNS0_12_GLOBAL__N_121bessel_y1_kernel_cudaERNS_18TensorIteratorBaseEENKUlvE_clEvENKUlvE0_clEvEUlfE_NS0_6memory8policies10vectorizedILi4ESt5arrayIPcLm2EELi4EEEEEvT0_T1_,@function
_ZN2at6native25elementwise_kernel_helperILb0EZZZNS0_12_GLOBAL__N_121bessel_y1_kernel_cudaERNS_18TensorIteratorBaseEENKUlvE_clEvENKUlvE0_clEvEUlfE_NS0_6memory8policies10vectorizedILi4ESt5arrayIPcLm2EELi4EEEEEvT0_T1_: ; @_ZN2at6native25elementwise_kernel_helperILb0EZZZNS0_12_GLOBAL__N_121bessel_y1_kernel_cudaERNS_18TensorIteratorBaseEENKUlvE_clEvENKUlvE0_clEvEUlfE_NS0_6memory8policies10vectorizedILi4ESt5arrayIPcLm2EELi4EEEEEvT0_T1_
; %bb.0:
	s_wait_loadcnt_dscnt 0x0
	s_wait_kmcnt 0x0
	s_bfe_u32 s0, ttmp6, 0x4000c
	s_and_b32 s1, ttmp6, 15
	s_add_co_i32 s0, s0, 1
	s_getreg_b32 s2, hwreg(HW_REG_IB_STS2, 6, 4)
	s_mul_i32 s0, ttmp9, s0
	v_and_b32_e32 v4, 0x3ff, v31
	s_add_co_i32 s1, s1, s0
	s_cmp_eq_u32 s2, 0
	v_mov_b32_e32 v11, 0
	s_cselect_b32 s0, ttmp9, s1
	v_lshlrev_b32_e32 v10, 4, v4
	s_lshl_b32 s4, s0, 10
                                        ; implicit-def: $vgpr6
	s_mov_b32 s0, exec_lo
	s_ashr_i32 s5, s4, 31
	s_delay_alu instid0(SALU_CYCLE_1) | instskip(NEXT) | instid1(VALU_DEP_1)
	v_lshl_add_u64 v[2:3], s[4:5], 2, v[2:3]
	v_add_nc_u64_e32 v[2:3], v[2:3], v[10:11]
	flat_load_b128 v[2:5], v[2:3]
	s_wait_loadcnt_dscnt 0x0
	v_cmpx_ge_f32_e32 0x40a00000, v2
	s_xor_b32 s3, exec_lo, s0
	s_cbranch_execz .LBB13_6
; %bb.1:
	v_mov_b32_e32 v6, 0xff800000
	s_mov_b32 s6, exec_lo
	v_cmpx_neq_f32_e32 0, v2
	s_cbranch_execz .LBB13_5
; %bb.2:
	v_mov_b32_e32 v6, 0x7fc00000
	s_mov_b32 s7, exec_lo
	v_cmpx_nge_f32_e32 0, v2
	s_cbranch_execz .LBB13_4
; %bb.3:
	v_mul_f32_e32 v6, v2, v2
	v_mov_b64_e32 v[18:19], 0x548a37dcce5691e2
	v_mov_b64_e32 v[20:21], 0x5832585252d295d0
	v_mov_b64_e32 v[14:15], 0x508bc61dd316b96b
	v_mov_b64_e32 v[16:17], 0x5461faf856d04aa6
	v_dual_fmaak_f32 v7, 0, v6, 0x4414934d :: v_dual_mul_f32 v12, 0, v6
	v_cmp_gt_f32_e64 s0, 0x800000, v2
	v_div_scale_f32 v26, s2, -1.0, v2, -1.0
	s_delay_alu instid0(VALU_DEP_3) | instskip(NEXT) | instid1(VALU_DEP_1)
	v_fmaak_f32 v7, v6, v7, 0x48660b06
	v_dual_fmaak_f32 v8, 0, v6, 0x441b3589 :: v_dual_mul_f32 v13, v6, v7
	s_delay_alu instid0(VALU_DEP_1) | instskip(SKIP_1) | instid1(VALU_DEP_2)
	v_fmaak_f32 v11, v6, v8, 0x487af6d0
	v_mov_b64_e32 v[8:9], 0x4c8c277d4e9695f3
	v_fmaak_f32 v7, v6, v11, 0x4c9f4aa7
	s_delay_alu instid0(VALU_DEP_2) | instskip(NEXT) | instid1(VALU_DEP_2)
	v_pk_add_f32 v[8:9], v[12:13], v[8:9]
	v_fmaak_f32 v7, v6, v7, 0x50a509fc
	s_delay_alu instid0(VALU_DEP_1) | instskip(NEXT) | instid1(VALU_DEP_3)
	v_mul_f32_e32 v13, v6, v7
	v_pk_fma_f32 v[8:9], v[6:7], v[8:9], v[14:15] op_sel_hi:[0,1,1]
	v_mov_b64_e32 v[14:15], 0x580d1937d9e700d2
	s_delay_alu instid0(VALU_DEP_3) | instskip(SKIP_1) | instid1(VALU_DEP_4)
	v_pk_add_f32 v[12:13], v[12:13], v[18:19]
	v_mov_b64_e32 v[18:19], 0x5b9f0600d6845497
	v_pk_fma_f32 v[8:9], v[6:7], v[8:9], v[16:17] op_sel_hi:[0,1,1]
	v_mov_b64_e32 v[16:17], 0x5b741f1e5c33cd68
	s_delay_alu instid0(VALU_DEP_4) | instskip(SKIP_1) | instid1(VALU_DEP_4)
	v_pk_fma_f32 v[12:13], v[6:7], v[12:13], v[20:21] op_sel_hi:[0,1,1]
	v_mov_b64_e32 v[20:21], 0x5e93bcac59515a15
	v_pk_fma_f32 v[8:9], v[6:7], v[8:9], v[14:15] op_sel_hi:[0,1,1]
	v_mov_b64_e32 v[14:15], 0x5e5c878ddd2cf20b
	s_delay_alu instid0(VALU_DEP_4) | instskip(NEXT) | instid1(VALU_DEP_3)
	v_pk_fma_f32 v[12:13], v[6:7], v[12:13], v[18:19] op_sel_hi:[0,1,1]
	v_pk_fma_f32 v[8:9], v[6:7], v[8:9], v[16:17] op_sel_hi:[0,1,1]
	v_div_scale_f32 v17, null, v2, v2, -1.0
	s_delay_alu instid0(VALU_DEP_3) | instskip(NEXT) | instid1(VALU_DEP_1)
	v_pk_fma_f32 v[12:13], v[6:7], v[12:13], v[20:21] op_sel_hi:[0,1,1]
	v_div_scale_f32 v11, null, v13, v13, v12
	v_div_scale_f32 v21, s1, v12, v13, v12
	s_delay_alu instid0(VALU_DEP_2) | instskip(SKIP_1) | instid1(TRANS32_DEP_1)
	v_rcp_f32_e32 v16, v11
	v_nop
	v_fma_f32 v19, -v11, v16, 1.0
	s_delay_alu instid0(VALU_DEP_1) | instskip(SKIP_2) | instid1(VALU_DEP_3)
	v_fmac_f32_e32 v16, v19, v16
	v_pk_fma_f32 v[8:9], v[6:7], v[8:9], v[14:15] op_sel_hi:[0,1,1]
	v_cndmask_b32_e64 v14, 0, 32, s0
	v_mul_f32_e32 v22, v21, v16
	s_delay_alu instid0(VALU_DEP_3) | instskip(NEXT) | instid1(VALU_DEP_3)
	v_div_scale_f32 v7, null, v9, v9, v8
	v_ldexp_f32 v14, v2, v14
	v_div_scale_f32 v20, vcc_lo, v8, v9, v8
	s_delay_alu instid0(VALU_DEP_3) | instskip(SKIP_1) | instid1(VALU_DEP_3)
	v_rcp_f32_e32 v15, v7
	v_fma_f32 v25, -v11, v22, v21
	v_log_f32_e32 v23, v14
	s_delay_alu instid0(VALU_DEP_1) | instskip(NEXT) | instid1(TRANS32_DEP_2)
	v_fmac_f32_e32 v22, v25, v16
	v_fma_f32 v18, -v7, v15, 1.0
	s_delay_alu instid0(VALU_DEP_1) | instskip(SKIP_2) | instid1(TRANS32_DEP_1)
	v_dual_fma_f32 v11, -v11, v22, v21 :: v_dual_fmac_f32 v15, v18, v15
	v_rcp_f32_e32 v18, v17
	v_nop
	v_fma_f32 v14, -v17, v18, 1.0
	s_delay_alu instid0(VALU_DEP_1) | instskip(NEXT) | instid1(VALU_DEP_1)
	v_dual_mul_f32 v19, v20, v15 :: v_dual_fmac_f32 v18, v14, v18
	v_fma_f32 v24, -v7, v19, v20
	v_mul_f32_e32 v27, 0x3f317217, v23
	s_delay_alu instid0(VALU_DEP_2) | instskip(NEXT) | instid1(VALU_DEP_1)
	v_fmac_f32_e32 v19, v24, v15
	v_dual_fma_f32 v7, -v7, v19, v20 :: v_dual_mul_f32 v20, v26, v18
	s_delay_alu instid0(VALU_DEP_3) | instskip(NEXT) | instid1(VALU_DEP_2)
	v_fma_f32 v24, 0x3f317217, v23, -v27
	v_div_fmas_f32 v19, v7, v15, v19
	s_mov_b32 vcc_lo, s1
	v_mov_b64_e32 v[14:15], 0xc16ae95ac244dfb3
	v_div_fmas_f32 v7, v11, v16, v22
	v_fma_f32 v11, -v17, v20, v26
	v_cmp_gt_f32_e64 vcc_lo, 0x7f800000, |v23|
	v_div_fixup_f32 v8, v19, v9, v8
	s_delay_alu instid0(VALU_DEP_4) | instskip(SKIP_3) | instid1(VALU_DEP_4)
	v_div_fixup_f32 v12, v7, v13, v12
	v_fmamk_f32 v16, v23, 0x3377d1cf, v24
	v_fmac_f32_e32 v20, v11, v18
	v_pk_add_f32 v[6:7], v[6:7], v[14:15] op_sel_hi:[0,1]
	v_mul_f32_e32 v11, v2, v12
	v_cndmask_b32_e64 v12, 0, 0x41b17218, s0
	s_delay_alu instid0(VALU_DEP_2) | instskip(NEXT) | instid1(VALU_DEP_1)
	v_dual_fma_f32 v13, -v17, v20, v26 :: v_dual_mul_f32 v7, v7, v11
	v_mul_f32_e32 v6, v6, v7
	v_fmac_f32_e32 v16, 0x3f317217, v23
	s_delay_alu instid0(VALU_DEP_1) | instskip(SKIP_2) | instid1(VALU_DEP_2)
	v_cndmask_b32_e32 v14, v23, v16, vcc_lo
	s_mov_b32 vcc_lo, s2
	v_div_fmas_f32 v11, v13, v18, v20
	v_sub_f32_e32 v12, v14, v12
	s_delay_alu instid0(VALU_DEP_2) | instskip(NEXT) | instid1(VALU_DEP_1)
	v_div_fixup_f32 v7, v11, v2, -1.0
	v_fmac_f32_e32 v7, v12, v6
	s_delay_alu instid0(VALU_DEP_1) | instskip(NEXT) | instid1(VALU_DEP_1)
	v_mul_f32_e32 v6, 0x3f22f983, v7
	v_fmac_f32_e32 v6, v2, v8
.LBB13_4:
	s_or_b32 exec_lo, exec_lo, s7
.LBB13_5:
	s_delay_alu instid0(SALU_CYCLE_1)
	s_or_b32 exec_lo, exec_lo, s6
.LBB13_6:
	s_and_not1_saveexec_b32 s3, s3
	s_cbranch_execz .LBB13_16
; %bb.7:
	v_add_f32_e32 v6, 0xc016cbe4, v2
                                        ; implicit-def: $vgpr9
                                        ; implicit-def: $vgpr8
	s_delay_alu instid0(VALU_DEP_1) | instskip(NEXT) | instid1(VALU_DEP_1)
	v_and_b32_e32 v7, 0x7fffffff, v6
	v_lshrrev_b32_e32 v11, 23, v7
	v_cmp_ngt_f32_e64 s2, 0x48000000, |v6|
	s_and_saveexec_b32 s0, s2
	s_delay_alu instid0(SALU_CYCLE_1)
	s_xor_b32 s6, exec_lo, s0
	s_cbranch_execz .LBB13_9
; %bb.8:
	s_mov_b32 s0, 0x7fffff
	v_mov_b32_e32 v9, 0
	v_and_or_b32 v8, v7, s0, 0x800000
	s_mov_b64 s[0:1], 0xfe5163ab
	s_delay_alu instid0(VALU_DEP_1) | instid1(SALU_CYCLE_1)
	v_mul_u64_e32 v[12:13], s[0:1], v[8:9]
	s_delay_alu instid0(VALU_DEP_1) | instskip(SKIP_2) | instid1(VALU_DEP_3)
	v_dual_mov_b32 v14, v13 :: v_dual_mov_b32 v15, v9
	v_dual_mov_b32 v17, v9 :: v_dual_mov_b32 v19, v9
	;; [unrolled: 1-line block ×3, first 2 shown]
	v_mad_nc_u64_u32 v[14:15], 0x3c439041, v8, v[14:15]
	v_add_nc_u32_e32 v13, 0xffffff88, v11
	v_mov_b32_e32 v25, v9
	s_delay_alu instid0(VALU_DEP_2) | instskip(NEXT) | instid1(VALU_DEP_4)
	v_cmp_lt_u32_e32 vcc_lo, 63, v13
	v_mov_b32_e32 v16, v15
	v_cndmask_b32_e64 v15, 0, 0xffffffc0, vcc_lo
	s_delay_alu instid0(VALU_DEP_2) | instskip(NEXT) | instid1(VALU_DEP_2)
	v_mad_nc_u64_u32 v[16:17], 0xdb629599, v8, v[16:17]
	v_add_nc_u32_e32 v13, v15, v13
	s_delay_alu instid0(VALU_DEP_1) | instskip(NEXT) | instid1(VALU_DEP_3)
	v_cmp_lt_u32_e64 s0, 31, v13
	v_mov_b32_e32 v18, v17
	s_delay_alu instid0(VALU_DEP_2) | instskip(NEXT) | instid1(VALU_DEP_2)
	v_cndmask_b32_e64 v15, 0, 0xffffffe0, s0
	v_mad_nc_u64_u32 v[18:19], 0xf534ddc0, v8, v[18:19]
	s_delay_alu instid0(VALU_DEP_1) | instskip(NEXT) | instid1(VALU_DEP_1)
	v_dual_mov_b32 v20, v19 :: v_dual_cndmask_b32 v14, v18, v14, vcc_lo
	v_mad_nc_u64_u32 v[20:21], 0xfc2757d1, v8, v[20:21]
	s_delay_alu instid0(VALU_DEP_1) | instskip(NEXT) | instid1(VALU_DEP_1)
	v_dual_mov_b32 v22, v21 :: v_dual_cndmask_b32 v19, v20, v16
	v_mad_nc_u64_u32 v[22:23], 0x4e441529, v8, v[22:23]
	s_delay_alu instid0(VALU_DEP_1) | instskip(NEXT) | instid1(VALU_DEP_1)
	v_dual_mov_b32 v24, v23 :: v_dual_cndmask_b32 v17, v22, v18
	v_mad_nc_u64_u32 v[8:9], 0xa2f9836e, v8, v[24:25]
	s_delay_alu instid0(VALU_DEP_1) | instskip(NEXT) | instid1(VALU_DEP_1)
	v_dual_cndmask_b32 v8, v8, v20 :: v_dual_add_nc_u32 v13, v15, v13
	v_cmp_lt_u32_e64 s1, 31, v13
	s_delay_alu instid0(VALU_DEP_3) | instskip(NEXT) | instid1(VALU_DEP_2)
	v_cndmask_b32_e32 v9, v9, v22, vcc_lo
	v_cndmask_b32_e64 v15, 0, 0xffffffe0, s1
	s_delay_alu instid0(VALU_DEP_1) | instskip(NEXT) | instid1(VALU_DEP_3)
	v_add_nc_u32_e32 v13, v15, v13
	v_dual_cndmask_b32 v15, v8, v17, s0 :: v_dual_cndmask_b32 v8, v9, v8, s0
	v_dual_cndmask_b32 v9, v17, v19, s0 :: v_dual_cndmask_b32 v18, v19, v14, s0
	s_delay_alu instid0(VALU_DEP_2) | instskip(NEXT) | instid1(VALU_DEP_2)
	v_dual_sub_nc_u32 v17, 32, v13 :: v_dual_cndmask_b32 v8, v8, v15, s1
	v_dual_cndmask_b32 v15, v15, v9, s1 :: v_dual_cndmask_b32 v9, v9, v18, s1
	v_cndmask_b32_e32 v12, v16, v12, vcc_lo
	v_cmp_eq_u32_e32 vcc_lo, 0, v13
	s_delay_alu instid0(VALU_DEP_3) | instskip(NEXT) | instid1(VALU_DEP_4)
	v_alignbit_b32 v19, v8, v15, v17
	v_alignbit_b32 v16, v15, v9, v17
	s_delay_alu instid0(VALU_DEP_1) | instskip(SKIP_1) | instid1(VALU_DEP_2)
	v_dual_cndmask_b32 v8, v19, v8 :: v_dual_cndmask_b32 v13, v16, v15
	v_cndmask_b32_e64 v12, v14, v12, s0
	v_bfe_u32 v14, v8, 29, 1
	s_delay_alu instid0(VALU_DEP_1) | instskip(NEXT) | instid1(VALU_DEP_4)
	v_dual_cndmask_b32 v12, v18, v12, s1 :: v_dual_sub_nc_u32 v16, 0, v14
	v_alignbit_b32 v15, v8, v13, 30
	s_delay_alu instid0(VALU_DEP_2) | instskip(NEXT) | instid1(VALU_DEP_1)
	v_alignbit_b32 v17, v9, v12, v17
	v_dual_cndmask_b32 v9, v17, v9, vcc_lo :: v_dual_bitop2_b32 v15, v15, v16 bitop3:0x14
	s_delay_alu instid0(VALU_DEP_1) | instskip(NEXT) | instid1(VALU_DEP_2)
	v_clz_i32_u32_e32 v17, v15
	v_alignbit_b32 v13, v13, v9, 30
	v_alignbit_b32 v9, v9, v12, 30
	s_delay_alu instid0(VALU_DEP_3) | instskip(NEXT) | instid1(VALU_DEP_1)
	v_min_u32_e32 v17, 32, v17
	v_dual_lshlrev_b32 v18, 23, v17 :: v_dual_bitop2_b32 v12, v13, v16 bitop3:0x14
	s_delay_alu instid0(VALU_DEP_3) | instskip(NEXT) | instid1(VALU_DEP_1)
	v_dual_sub_nc_u32 v13, 31, v17 :: v_dual_bitop2_b32 v9, v9, v16 bitop3:0x14
	v_alignbit_b32 v15, v15, v12, v13
	v_lshrrev_b32_e32 v16, 29, v8
	s_delay_alu instid0(VALU_DEP_3) | instskip(NEXT) | instid1(VALU_DEP_1)
	v_alignbit_b32 v9, v12, v9, v13
	v_alignbit_b32 v13, v15, v9, 9
	s_delay_alu instid0(VALU_DEP_3) | instskip(NEXT) | instid1(VALU_DEP_2)
	v_dual_lshrrev_b32 v15, 9, v15 :: v_dual_lshlrev_b32 v12, 31, v16
	v_clz_i32_u32_e32 v19, v13
	s_delay_alu instid0(VALU_DEP_2) | instskip(SKIP_1) | instid1(VALU_DEP_2)
	v_or_b32_e32 v16, 0.5, v12
	v_or_b32_e32 v12, 0x33000000, v12
	v_sub_nc_u32_e32 v16, v16, v18
	s_delay_alu instid0(VALU_DEP_4) | instskip(NEXT) | instid1(VALU_DEP_2)
	v_min_u32_e32 v18, 32, v19
	v_or_b32_e32 v15, v15, v16
	s_delay_alu instid0(VALU_DEP_2) | instskip(SKIP_1) | instid1(VALU_DEP_2)
	v_not_b32_e32 v16, v18
	v_add_lshl_u32 v17, v18, v17, 23
	v_alignbit_b32 v9, v13, v9, v16
	s_delay_alu instid0(VALU_DEP_2) | instskip(NEXT) | instid1(VALU_DEP_2)
	v_sub_nc_u32_e32 v12, v12, v17
	v_lshrrev_b32_e32 v9, 9, v9
	v_mul_f32_e32 v19, 0x3fc90fda, v15
	s_delay_alu instid0(VALU_DEP_2) | instskip(NEXT) | instid1(VALU_DEP_2)
	v_or_b32_e32 v9, v12, v9
	v_fma_f32 v13, 0x3fc90fda, v15, -v19
	s_delay_alu instid0(VALU_DEP_1) | instskip(NEXT) | instid1(VALU_DEP_1)
	v_fmamk_f32 v13, v15, 0x33a22168, v13
	v_fmac_f32_e32 v13, 0x3fc90fda, v9
	s_delay_alu instid0(VALU_DEP_1) | instskip(NEXT) | instid1(VALU_DEP_1)
	v_dual_add_f32 v8, v19, v13 :: v_dual_lshrrev_b32 v9, 30, v8
	v_add_nc_u32_e32 v9, v14, v9
	s_or_saveexec_b32 s0, s6
	v_mul_f32_e64 v14, 0x3f22f983, |v6|
	s_xor_b32 exec_lo, exec_lo, s0
	s_branch .LBB13_10
.LBB13_9:
	s_or_saveexec_b32 s0, s6
	v_mul_f32_e64 v14, 0x3f22f983, |v6|
	s_xor_b32 exec_lo, exec_lo, s0
.LBB13_10:
	s_delay_alu instid0(VALU_DEP_1) | instskip(NEXT) | instid1(VALU_DEP_1)
	v_rndne_f32_e32 v9, v14
	v_fma_f32 v8, 0xbfc90fda, v9, |v6|
	s_delay_alu instid0(VALU_DEP_1) | instskip(NEXT) | instid1(VALU_DEP_1)
	v_fmamk_f32 v8, v9, 0xb3a22168, v8
	v_fmamk_f32 v8, v9, 0xa7c234c4, v8
	v_cvt_i32_f32_e32 v9, v9
; %bb.11:
	s_or_b32 exec_lo, exec_lo, s0
                                        ; implicit-def: $vgpr13
                                        ; implicit-def: $vgpr12
	s_and_saveexec_b32 s0, s2
	s_delay_alu instid0(SALU_CYCLE_1)
	s_xor_b32 s2, exec_lo, s0
	s_cbranch_execz .LBB13_13
; %bb.12:
	s_mov_b32 s0, 0x7fffff
	v_mov_b32_e32 v13, 0
	v_and_or_b32 v12, v7, s0, 0x800000
	s_mov_b64 s[0:1], 0xfe5163ab
	v_add_nc_u32_e32 v11, 0xffffff88, v11
	s_delay_alu instid0(VALU_DEP_2) | instskip(NEXT) | instid1(VALU_DEP_2)
	v_mul_u64_e32 v[14:15], s[0:1], v[12:13]
	v_cmp_lt_u32_e32 vcc_lo, 63, v11
	s_delay_alu instid0(VALU_DEP_2) | instskip(SKIP_2) | instid1(VALU_DEP_3)
	v_dual_mov_b32 v16, v15 :: v_dual_mov_b32 v17, v13
	v_dual_mov_b32 v19, v13 :: v_dual_mov_b32 v21, v13
	;; [unrolled: 1-line block ×3, first 2 shown]
	v_mad_nc_u64_u32 v[16:17], 0x3c439041, v12, v[16:17]
	v_cndmask_b32_e64 v15, 0, 0xffffffc0, vcc_lo
	s_delay_alu instid0(VALU_DEP_1) | instskip(NEXT) | instid1(VALU_DEP_3)
	v_dual_mov_b32 v27, v13 :: v_dual_add_nc_u32 v11, v15, v11
	v_mov_b32_e32 v18, v17
	s_delay_alu instid0(VALU_DEP_2) | instskip(NEXT) | instid1(VALU_DEP_2)
	v_cmp_lt_u32_e64 s0, 31, v11
	v_mad_nc_u64_u32 v[18:19], 0xdb629599, v12, v[18:19]
	s_delay_alu instid0(VALU_DEP_2) | instskip(NEXT) | instid1(VALU_DEP_1)
	v_cndmask_b32_e64 v15, 0, 0xffffffe0, s0
	v_add_nc_u32_e32 v11, v15, v11
	s_delay_alu instid0(VALU_DEP_3) | instskip(NEXT) | instid1(VALU_DEP_2)
	v_mov_b32_e32 v20, v19
	v_cmp_lt_u32_e64 s1, 31, v11
	v_cndmask_b32_e32 v14, v18, v14, vcc_lo
	s_delay_alu instid0(VALU_DEP_3) | instskip(NEXT) | instid1(VALU_DEP_3)
	v_mad_nc_u64_u32 v[20:21], 0xf534ddc0, v12, v[20:21]
	v_cndmask_b32_e64 v15, 0, 0xffffffe0, s1
	s_delay_alu instid0(VALU_DEP_1) | instskip(NEXT) | instid1(VALU_DEP_3)
	v_dual_add_nc_u32 v11, v15, v11 :: v_dual_cndmask_b32 v15, v20, v16, vcc_lo
	v_mov_b32_e32 v22, v21
	s_delay_alu instid0(VALU_DEP_1) | instskip(NEXT) | instid1(VALU_DEP_1)
	v_mad_nc_u64_u32 v[22:23], 0xfc2757d1, v12, v[22:23]
	v_dual_mov_b32 v24, v23 :: v_dual_cndmask_b32 v19, v22, v18
	s_delay_alu instid0(VALU_DEP_1) | instskip(NEXT) | instid1(VALU_DEP_1)
	v_mad_nc_u64_u32 v[24:25], 0x4e441529, v12, v[24:25]
	v_dual_mov_b32 v26, v25 :: v_dual_cndmask_b32 v17, v24, v20
	s_delay_alu instid0(VALU_DEP_1) | instskip(NEXT) | instid1(VALU_DEP_1)
	v_mad_nc_u64_u32 v[12:13], 0xa2f9836e, v12, v[26:27]
	v_dual_cndmask_b32 v12, v12, v22 :: v_dual_cndmask_b32 v13, v13, v24
	v_cmp_eq_u32_e32 vcc_lo, 0, v11
	s_delay_alu instid0(VALU_DEP_2) | instskip(SKIP_2) | instid1(VALU_DEP_3)
	v_dual_cndmask_b32 v16, v12, v17, s0 :: v_dual_cndmask_b32 v12, v13, v12, s0
	v_cndmask_b32_e64 v13, v17, v19, s0
	v_sub_nc_u32_e32 v17, 32, v11
	v_dual_cndmask_b32 v19, v19, v15, s0 :: v_dual_cndmask_b32 v12, v12, v16, s1
	s_delay_alu instid0(VALU_DEP_3) | instskip(NEXT) | instid1(VALU_DEP_1)
	v_cndmask_b32_e64 v16, v16, v13, s1
	v_alignbit_b32 v20, v12, v16, v17
	s_delay_alu instid0(VALU_DEP_1) | instskip(NEXT) | instid1(VALU_DEP_1)
	v_dual_cndmask_b32 v13, v13, v19, s1 :: v_dual_cndmask_b32 v11, v20, v12, vcc_lo
	v_alignbit_b32 v18, v16, v13, v17
	v_cndmask_b32_e64 v12, v15, v14, s0
	s_delay_alu instid0(VALU_DEP_3) | instskip(NEXT) | instid1(VALU_DEP_3)
	v_bfe_u32 v15, v11, 29, 1
	v_cndmask_b32_e32 v14, v18, v16, vcc_lo
	s_delay_alu instid0(VALU_DEP_2) | instskip(NEXT) | instid1(VALU_DEP_2)
	v_dual_cndmask_b32 v12, v19, v12, s1 :: v_dual_sub_nc_u32 v18, 0, v15
	v_alignbit_b32 v16, v11, v14, 30
	s_delay_alu instid0(VALU_DEP_2) | instskip(NEXT) | instid1(VALU_DEP_1)
	v_alignbit_b32 v17, v13, v12, v17
	v_dual_cndmask_b32 v13, v17, v13, vcc_lo :: v_dual_bitop2_b32 v16, v16, v18 bitop3:0x14
	s_delay_alu instid0(VALU_DEP_1) | instskip(NEXT) | instid1(VALU_DEP_2)
	v_clz_i32_u32_e32 v17, v16
	v_alignbit_b32 v14, v14, v13, 30
	v_alignbit_b32 v12, v13, v12, 30
	s_delay_alu instid0(VALU_DEP_3) | instskip(NEXT) | instid1(VALU_DEP_3)
	v_min_u32_e32 v17, 32, v17
	v_xor_b32_e32 v13, v14, v18
	s_delay_alu instid0(VALU_DEP_3) | instskip(NEXT) | instid1(VALU_DEP_3)
	v_dual_lshrrev_b32 v18, 29, v11 :: v_dual_bitop2_b32 v12, v12, v18 bitop3:0x14
	v_dual_lshrrev_b32 v11, 30, v11 :: v_dual_sub_nc_u32 v14, 31, v17
	v_lshlrev_b32_e32 v19, 23, v17
	s_delay_alu instid0(VALU_DEP_2) | instskip(NEXT) | instid1(VALU_DEP_4)
	v_alignbit_b32 v16, v16, v13, v14
	v_alignbit_b32 v12, v13, v12, v14
	v_lshlrev_b32_e32 v13, 31, v18
	s_delay_alu instid0(VALU_DEP_2) | instskip(NEXT) | instid1(VALU_DEP_2)
	v_alignbit_b32 v14, v16, v12, 9
	v_dual_lshrrev_b32 v16, 9, v16 :: v_dual_bitop2_b32 v18, 0.5, v13 bitop3:0x54
	v_or_b32_e32 v13, 0x33000000, v13
	s_delay_alu instid0(VALU_DEP_3) | instskip(NEXT) | instid1(VALU_DEP_3)
	v_clz_i32_u32_e32 v20, v14
	v_sub_nc_u32_e32 v18, v18, v19
	s_delay_alu instid0(VALU_DEP_2) | instskip(NEXT) | instid1(VALU_DEP_1)
	v_min_u32_e32 v19, 32, v20
	v_add_lshl_u32 v17, v19, v17, 23
	s_delay_alu instid0(VALU_DEP_1) | instskip(SKIP_1) | instid1(VALU_DEP_1)
	v_dual_sub_nc_u32 v13, v13, v17 :: v_dual_bitop2_b32 v16, v16, v18 bitop3:0x54
	v_not_b32_e32 v18, v19
	v_alignbit_b32 v12, v14, v12, v18
	s_delay_alu instid0(VALU_DEP_1) | instskip(NEXT) | instid1(VALU_DEP_4)
	v_lshrrev_b32_e32 v12, 9, v12
	v_mul_f32_e32 v20, 0x3fc90fda, v16
	s_delay_alu instid0(VALU_DEP_2) | instskip(NEXT) | instid1(VALU_DEP_2)
	v_or_b32_e32 v12, v13, v12
	v_fma_f32 v14, 0x3fc90fda, v16, -v20
	s_delay_alu instid0(VALU_DEP_1) | instskip(NEXT) | instid1(VALU_DEP_1)
	v_dual_fmamk_f32 v14, v16, 0x33a22168, v14 :: v_dual_add_nc_u32 v13, v15, v11
	v_fmac_f32_e32 v14, 0x3fc90fda, v12
	s_delay_alu instid0(VALU_DEP_1)
	v_add_f32_e32 v12, v20, v14
                                        ; implicit-def: $vgpr14
	s_and_not1_saveexec_b32 s0, s2
	s_cbranch_execnz .LBB13_14
	s_branch .LBB13_15
.LBB13_13:
	s_and_not1_saveexec_b32 s0, s2
.LBB13_14:
	v_rndne_f32_e32 v11, v14
	s_delay_alu instid0(VALU_DEP_1) | instskip(SKIP_1) | instid1(VALU_DEP_2)
	v_fma_f32 v12, 0xbfc90fda, v11, |v6|
	v_cvt_i32_f32_e32 v13, v11
	v_fmamk_f32 v12, v11, 0xb3a22168, v12
	s_delay_alu instid0(VALU_DEP_1)
	v_fmamk_f32 v12, v11, 0xa7c234c4, v12
.LBB13_15:
	s_or_b32 exec_lo, exec_lo, s0
	v_div_scale_f32 v11, null, v2, v2, 0x40a00000
	v_div_scale_f32 v16, vcc_lo, 0x40a00000, v2, 0x40a00000
	s_mov_b32 s0, 0xb94c1982
	v_rcp_f32_e32 v14, v11
	v_mul_f32_e32 v23, 0x4f800000, v2
	s_mov_b32 s1, 0x37d75334
	v_and_b32_e32 v18, 1, v13
	v_xor_b32_e32 v7, v7, v6
	s_delay_alu instid0(TRANS32_DEP_1) | instskip(NEXT) | instid1(VALU_DEP_1)
	v_fma_f32 v15, -v11, v14, 1.0
	v_fmac_f32_e32 v14, v15, v14
	s_delay_alu instid0(VALU_DEP_1) | instskip(NEXT) | instid1(VALU_DEP_1)
	v_mul_f32_e32 v15, v16, v14
	v_fma_f32 v17, -v11, v15, v16
	s_delay_alu instid0(VALU_DEP_1) | instskip(NEXT) | instid1(VALU_DEP_1)
	v_dual_fmac_f32 v15, v17, v14 :: v_dual_mul_f32 v17, v12, v12
	v_fma_f32 v11, -v11, v15, v16
	s_delay_alu instid0(VALU_DEP_2) | instskip(NEXT) | instid1(VALU_DEP_2)
	v_fmaak_f32 v26, s0, v17, 0x3c0881c4
	v_div_fmas_f32 v11, v11, v14, v15
	v_mul_f32_e32 v14, v8, v8
	s_delay_alu instid0(VALU_DEP_3) | instskip(SKIP_1) | instid1(VALU_DEP_4)
	v_fmaak_f32 v26, v17, v26, 0xbe2aaa9d
	v_dual_lshlrev_b32 v9, 30, v9 :: v_dual_bitop2_b32 v15, 1, v9 bitop3:0x40
	v_div_fixup_f32 v11, v11, v2, 0x40a00000
	s_delay_alu instid0(VALU_DEP_4) | instskip(SKIP_1) | instid1(VALU_DEP_4)
	v_fmaak_f32 v24, s0, v14, 0x3c0881c4
	v_cmp_gt_f32_e64 s0, 0xf800000, v2
	v_cmp_eq_u32_e64 s2, 0, v15
	v_and_b32_e32 v9, 0x80000000, v9
	v_dual_mul_f32 v16, v11, v11 :: v_dual_lshlrev_b32 v13, 30, v13
	s_delay_alu instid0(VALU_DEP_4) | instskip(SKIP_1) | instid1(VALU_DEP_3)
	v_cndmask_b32_e64 v2, v2, v23, s0
	v_fmaak_f32 v24, v14, v24, 0xbe2aaa9d
	v_dual_mul_f32 v26, v17, v26 :: v_dual_fmaak_f32 v19, 0, v16, 0x3d513fd3
	v_fmaak_f32 v20, 0, v16, 0x3a15c4d9
	v_fmaak_f32 v22, 0, v16, 0x3a47c962
	v_sqrt_f32_e32 v30, v2
	v_fmaak_f32 v21, 0, v16, 0x42947983
	v_dual_fmaak_f32 v19, v16, v19, 0x409f6dae :: v_dual_mul_f32 v24, v14, v24
	v_fmaak_f32 v20, v16, v20, 0x3d8cfeeb
	v_fmaak_f32 v22, v16, v22, 0x3d95ca45
	v_fmaak_f32 v25, s1, v14, 0xbab64f3b
	s_delay_alu instid0(TRANS32_DEP_1) | instskip(SKIP_4) | instid1(VALU_DEP_4)
	v_add_nc_u32_e32 v35, 1, v30
	v_fmaak_f32 v19, v16, v19, 0x4297a5cd
	v_fmaak_f32 v20, v16, v20, 0x3f8d754e
	;; [unrolled: 1-line block ×3, first 2 shown]
	v_dual_fmaak_f32 v27, s1, v17, 0xbab64f3b :: v_dual_fmac_f32 v12, v12, v26
	v_fmaak_f32 v19, v16, v19, 0x43b763ca
	s_delay_alu instid0(VALU_DEP_4) | instskip(NEXT) | instid1(VALU_DEP_4)
	v_fmaak_f32 v20, v16, v20, 0x40a25d18
	v_fmaak_f32 v22, v16, v22, 0x40a39628
	v_fmac_f32_e32 v8, v8, v24
	s_delay_alu instid0(VALU_DEP_4) | instskip(NEXT) | instid1(VALU_DEP_4)
	v_fmaak_f32 v19, v16, v19, 0x4431b6ce
	v_fmaak_f32 v20, v16, v20, 0x410665cf
	s_delay_alu instid0(VALU_DEP_4) | instskip(NEXT) | instid1(VALU_DEP_3)
	v_fmaak_f32 v22, v16, v22, 0x4106c8e4
	v_fmaak_f32 v19, v16, v19, 0x44155f56
	s_delay_alu instid0(VALU_DEP_3) | instskip(NEXT) | instid1(VALU_DEP_3)
	v_fmaak_f32 v20, v16, v20, 0x40a6b6ea
	v_fmaak_f32 v22, v16, v22, 0x40a6dd51
	s_delay_alu instid0(VALU_DEP_3) | instskip(NEXT) | instid1(VALU_DEP_3)
	v_fmaak_f32 v19, v16, v19, 0x4353b052
	v_fma_f32 v20, v16, v20, 1.0
	s_delay_alu instid0(VALU_DEP_3) | instskip(NEXT) | instid1(VALU_DEP_1)
	v_fma_f32 v22, v16, v22, 1.0
	v_div_scale_f32 v33, vcc_lo, v22, v20, v22
	v_fmaak_f32 v21, v16, v21, 0x44840e5d
	s_delay_alu instid0(VALU_DEP_1) | instskip(NEXT) | instid1(VALU_DEP_1)
	v_fmaak_f32 v21, v16, v21, 0x459bd349
	v_fmaak_f32 v21, v16, v21, 0x46156947
	s_delay_alu instid0(VALU_DEP_1) | instskip(NEXT) | instid1(VALU_DEP_1)
	v_fmaak_f32 v21, v16, v21, 0x45f9e855
	v_fmaak_f32 v21, v16, v21, 0x4530a316
	s_delay_alu instid0(VALU_DEP_1) | instskip(SKIP_2) | instid1(VALU_DEP_2)
	v_fmaak_f32 v21, v16, v21, 0x43a80bfb
	v_fmaak_f32 v16, v16, v19, 0x41c9a7fa
	v_div_scale_f32 v19, null, v20, v20, v22
	v_div_scale_f32 v23, null, v21, v21, v16
	s_delay_alu instid0(VALU_DEP_2) | instskip(NEXT) | instid1(VALU_DEP_1)
	v_rcp_f32_e32 v28, v19
	v_rcp_f32_e32 v29, v23
	s_delay_alu instid0(TRANS32_DEP_2) | instskip(NEXT) | instid1(TRANS32_DEP_1)
	v_fma_f32 v31, -v19, v28, 1.0
	v_fma_f32 v32, -v23, v29, 1.0
	s_delay_alu instid0(VALU_DEP_2) | instskip(SKIP_1) | instid1(VALU_DEP_3)
	v_fmac_f32_e32 v28, v31, v28
	v_div_scale_f32 v31, s1, v16, v21, v16
	v_dual_fmac_f32 v29, v32, v29 :: v_dual_add_nc_u32 v32, -1, v30
	s_delay_alu instid0(VALU_DEP_1) | instskip(NEXT) | instid1(VALU_DEP_1)
	v_dual_mul_f32 v34, v33, v28 :: v_dual_mul_f32 v36, v31, v29
	v_fma_f32 v24, -v19, v34, v33
	v_fmaak_f32 v25, v14, v25, 0x3d2aabf7
	s_delay_alu instid0(VALU_DEP_4) | instskip(NEXT) | instid1(VALU_DEP_2)
	v_fma_f32 v26, -v32, v30, v2
	v_dual_fmac_f32 v34, v24, v28 :: v_dual_fmaak_f32 v25, v14, v25, 0xbf000004
	s_delay_alu instid0(VALU_DEP_1) | instskip(SKIP_1) | instid1(VALU_DEP_2)
	v_fma_f32 v14, v14, v25, 1.0
	v_fma_f32 v25, -v23, v36, v31
	v_dual_fma_f32 v24, -v35, v30, v2 :: v_dual_cndmask_b32 v8, v14, v8, s2
	s_delay_alu instid0(VALU_DEP_2) | instskip(SKIP_2) | instid1(VALU_DEP_4)
	v_fmac_f32_e32 v36, v25, v29
	v_cmp_eq_u32_e64 s2, 0, v18
	v_fma_f32 v14, -v19, v34, v33
	v_xor3_b32 v7, v7, v9, v8
	s_delay_alu instid0(VALU_DEP_2) | instskip(SKIP_3) | instid1(VALU_DEP_1)
	v_div_fmas_f32 v14, v14, v28, v34
	s_mov_b32 vcc_lo, s1
	v_cmp_lt_f32_e64 s1, 0, v24
	v_fma_f32 v15, -v23, v36, v31
	v_div_fmas_f32 v15, v15, v29, v36
	v_cmp_ge_f32_e32 vcc_lo, 0, v26
	s_delay_alu instid0(VALU_DEP_2) | instskip(NEXT) | instid1(VALU_DEP_1)
	v_div_fixup_f32 v8, v15, v21, v16
	v_dual_mul_f32 v8, v11, v8 :: v_dual_fmaak_f32 v27, v17, v27, 0x3d2aabf7
	s_delay_alu instid0(VALU_DEP_1) | instskip(NEXT) | instid1(VALU_DEP_1)
	v_fmaak_f32 v27, v17, v27, 0xbf000004
	v_fma_f32 v17, v17, v27, 1.0
	s_delay_alu instid0(VALU_DEP_1) | instskip(SKIP_1) | instid1(VALU_DEP_2)
	v_dual_cndmask_b32 v12, -v12, v17, s2 :: v_dual_cndmask_b32 v17, v30, v32, vcc_lo
	v_cmp_class_f32_e64 vcc_lo, v6, 0x1f8
	v_bitop3_b32 v6, v13, v12, 0x80000000 bitop3:0x6c
	s_delay_alu instid0(VALU_DEP_3) | instskip(SKIP_2) | instid1(VALU_DEP_4)
	v_cndmask_b32_e64 v9, v17, v35, s1
	v_cndmask_b32_e32 v7, 0x7fc00000, v7, vcc_lo
	v_div_fixup_f32 v12, v14, v20, v22
	v_cndmask_b32_e32 v6, 0x7fc00000, v6, vcc_lo
	s_delay_alu instid0(VALU_DEP_4) | instskip(SKIP_1) | instid1(VALU_DEP_2)
	v_mul_f32_e32 v11, 0x37800000, v9
	v_cmp_class_f32_e64 vcc_lo, v2, 0x260
	v_dual_mul_f32 v6, v8, v6 :: v_dual_cndmask_b32 v8, v9, v11, s0
	s_delay_alu instid0(VALU_DEP_1) | instskip(NEXT) | instid1(VALU_DEP_2)
	v_fmac_f32_e32 v6, v12, v7
	v_cndmask_b32_e32 v2, v8, v2, vcc_lo
	s_delay_alu instid0(VALU_DEP_2) | instskip(NEXT) | instid1(VALU_DEP_1)
	v_mul_f32_e32 v6, 0x3f4c422a, v6
	v_div_scale_f32 v7, null, v2, v2, v6
	s_delay_alu instid0(VALU_DEP_1) | instskip(SKIP_1) | instid1(TRANS32_DEP_1)
	v_rcp_f32_e32 v8, v7
	v_nop
	v_fma_f32 v9, -v7, v8, 1.0
	s_delay_alu instid0(VALU_DEP_1) | instskip(SKIP_1) | instid1(VALU_DEP_1)
	v_fmac_f32_e32 v8, v9, v8
	v_div_scale_f32 v9, vcc_lo, v6, v2, v6
	v_mul_f32_e32 v11, v9, v8
	s_delay_alu instid0(VALU_DEP_1) | instskip(NEXT) | instid1(VALU_DEP_1)
	v_fma_f32 v12, -v7, v11, v9
	v_fmac_f32_e32 v11, v12, v8
	s_delay_alu instid0(VALU_DEP_1) | instskip(NEXT) | instid1(VALU_DEP_1)
	v_fma_f32 v7, -v7, v11, v9
	v_div_fmas_f32 v7, v7, v8, v11
	s_delay_alu instid0(VALU_DEP_1)
	v_div_fixup_f32 v6, v7, v2, v6
.LBB13_16:
	s_or_b32 exec_lo, exec_lo, s3
	s_delay_alu instid0(SALU_CYCLE_1)
	s_mov_b32 s0, exec_lo
	v_cmpx_ge_f32_e32 0x40a00000, v3
	s_xor_b32 s3, exec_lo, s0
	s_cbranch_execz .LBB13_22
; %bb.17:
	v_mov_b32_e32 v7, 0xff800000
	s_mov_b32 s6, exec_lo
	v_cmpx_neq_f32_e32 0, v3
	s_cbranch_execz .LBB13_21
; %bb.18:
	v_mov_b32_e32 v7, 0x7fc00000
	s_mov_b32 s7, exec_lo
	v_cmpx_nge_f32_e32 0, v3
	s_cbranch_execz .LBB13_20
; %bb.19:
	v_mul_f32_e32 v2, v3, v3
	v_mov_b64_e32 v[18:19], 0x548a37dcce5691e2
	v_mov_b64_e32 v[20:21], 0x5832585252d295d0
	;; [unrolled: 1-line block ×4, first 2 shown]
	v_dual_fmaak_f32 v7, 0, v2, 0x4414934d :: v_dual_mul_f32 v12, 0, v2
	v_cmp_gt_f32_e64 s0, 0x800000, v3
	v_div_scale_f32 v26, s2, -1.0, v3, -1.0
	s_delay_alu instid0(VALU_DEP_3) | instskip(NEXT) | instid1(VALU_DEP_1)
	v_fmaak_f32 v7, v2, v7, 0x48660b06
	v_dual_fmaak_f32 v8, 0, v2, 0x441b3589 :: v_dual_mul_f32 v13, v2, v7
	s_delay_alu instid0(VALU_DEP_1) | instskip(SKIP_1) | instid1(VALU_DEP_2)
	v_fmaak_f32 v11, v2, v8, 0x487af6d0
	v_mov_b64_e32 v[8:9], 0x4c8c277d4e9695f3
	v_fmaak_f32 v7, v2, v11, 0x4c9f4aa7
	s_delay_alu instid0(VALU_DEP_2) | instskip(NEXT) | instid1(VALU_DEP_2)
	v_pk_add_f32 v[8:9], v[12:13], v[8:9]
	v_fmaak_f32 v7, v2, v7, 0x50a509fc
	s_delay_alu instid0(VALU_DEP_2) | instskip(SKIP_1) | instid1(VALU_DEP_3)
	v_pk_fma_f32 v[8:9], v[2:3], v[8:9], v[14:15] op_sel_hi:[0,1,1]
	v_mov_b64_e32 v[14:15], 0x580d1937d9e700d2
	v_mul_f32_e32 v13, v2, v7
	s_delay_alu instid0(VALU_DEP_3) | instskip(SKIP_1) | instid1(VALU_DEP_3)
	v_pk_fma_f32 v[8:9], v[2:3], v[8:9], v[16:17] op_sel_hi:[0,1,1]
	v_mov_b64_e32 v[16:17], 0x5b741f1e5c33cd68
	v_pk_add_f32 v[12:13], v[12:13], v[18:19]
	v_mov_b64_e32 v[18:19], 0x5b9f0600d6845497
	s_delay_alu instid0(VALU_DEP_4) | instskip(SKIP_1) | instid1(VALU_DEP_4)
	v_pk_fma_f32 v[8:9], v[2:3], v[8:9], v[14:15] op_sel_hi:[0,1,1]
	v_mov_b64_e32 v[14:15], 0x5e5c878ddd2cf20b
	v_pk_fma_f32 v[12:13], v[2:3], v[12:13], v[20:21] op_sel_hi:[0,1,1]
	v_mov_b64_e32 v[20:21], 0x5e93bcac59515a15
	s_delay_alu instid0(VALU_DEP_4) | instskip(SKIP_1) | instid1(VALU_DEP_4)
	v_pk_fma_f32 v[8:9], v[2:3], v[8:9], v[16:17] op_sel_hi:[0,1,1]
	v_div_scale_f32 v17, null, v3, v3, -1.0
	v_pk_fma_f32 v[12:13], v[2:3], v[12:13], v[18:19] op_sel_hi:[0,1,1]
	s_delay_alu instid0(VALU_DEP_1) | instskip(NEXT) | instid1(VALU_DEP_1)
	v_pk_fma_f32 v[12:13], v[2:3], v[12:13], v[20:21] op_sel_hi:[0,1,1]
	v_div_scale_f32 v11, null, v13, v13, v12
	v_div_scale_f32 v21, s1, v12, v13, v12
	s_delay_alu instid0(VALU_DEP_2) | instskip(SKIP_1) | instid1(TRANS32_DEP_1)
	v_rcp_f32_e32 v16, v11
	v_nop
	v_fma_f32 v19, -v11, v16, 1.0
	s_delay_alu instid0(VALU_DEP_1) | instskip(NEXT) | instid1(VALU_DEP_1)
	v_fmac_f32_e32 v16, v19, v16
	v_mul_f32_e32 v22, v21, v16
	v_pk_fma_f32 v[8:9], v[2:3], v[8:9], v[14:15] op_sel_hi:[0,1,1]
	v_cndmask_b32_e64 v14, 0, 32, s0
	s_delay_alu instid0(VALU_DEP_3) | instskip(NEXT) | instid1(VALU_DEP_3)
	v_fma_f32 v25, -v11, v22, v21
	v_div_scale_f32 v7, null, v9, v9, v8
	s_delay_alu instid0(VALU_DEP_3) | instskip(SKIP_1) | instid1(VALU_DEP_3)
	v_ldexp_f32 v14, v3, v14
	v_div_scale_f32 v20, vcc_lo, v8, v9, v8
	v_rcp_f32_e32 v15, v7
	v_fmac_f32_e32 v22, v25, v16
	s_delay_alu instid0(VALU_DEP_3) | instskip(NEXT) | instid1(VALU_DEP_1)
	v_log_f32_e32 v23, v14
	v_fma_f32 v11, -v11, v22, v21
	s_delay_alu instid0(TRANS32_DEP_2) | instskip(NEXT) | instid1(VALU_DEP_1)
	v_fma_f32 v18, -v7, v15, 1.0
	v_fmac_f32_e32 v15, v18, v15
	v_rcp_f32_e32 v18, v17
	v_nop
	s_delay_alu instid0(TRANS32_DEP_1) | instskip(NEXT) | instid1(VALU_DEP_1)
	v_fma_f32 v14, -v17, v18, 1.0
	v_dual_mul_f32 v19, v20, v15 :: v_dual_fmac_f32 v18, v14, v18
	s_delay_alu instid0(VALU_DEP_1) | instskip(SKIP_1) | instid1(VALU_DEP_2)
	v_fma_f32 v24, -v7, v19, v20
	v_mul_f32_e32 v27, 0x3f317217, v23
	v_fmac_f32_e32 v19, v24, v15
	s_delay_alu instid0(VALU_DEP_1) | instskip(NEXT) | instid1(VALU_DEP_3)
	v_dual_fma_f32 v7, -v7, v19, v20 :: v_dual_mul_f32 v20, v26, v18
	v_fma_f32 v24, 0x3f317217, v23, -v27
	s_delay_alu instid0(VALU_DEP_2)
	v_div_fmas_f32 v7, v7, v15, v19
	s_mov_b32 vcc_lo, s1
	v_mov_b64_e32 v[14:15], 0xc16ae95ac244dfb3
	v_div_fmas_f32 v11, v11, v16, v22
	v_fma_f32 v16, -v17, v20, v26
	v_cmp_gt_f32_e64 vcc_lo, 0x7f800000, |v23|
	s_delay_alu instid0(VALU_DEP_3) | instskip(NEXT) | instid1(VALU_DEP_3)
	v_div_fixup_f32 v11, v11, v13, v12
	v_fmac_f32_e32 v20, v16, v18
	v_pk_add_f32 v[12:13], v[2:3], v[14:15] op_sel_hi:[0,1]
	s_delay_alu instid0(VALU_DEP_2) | instskip(SKIP_1) | instid1(VALU_DEP_2)
	v_dual_mul_f32 v2, v3, v11 :: v_dual_fma_f32 v14, -v17, v20, v26
	v_cndmask_b32_e64 v11, 0, 0x41b17218, s0
	v_dual_mul_f32 v2, v13, v2 :: v_dual_fmamk_f32 v19, v23, 0x3377d1cf, v24
	s_delay_alu instid0(VALU_DEP_1) | instskip(NEXT) | instid1(VALU_DEP_1)
	v_dual_mul_f32 v2, v12, v2 :: v_dual_fmac_f32 v19, 0x3f317217, v23
	v_cndmask_b32_e32 v15, v23, v19, vcc_lo
	s_mov_b32 vcc_lo, s2
	v_div_fmas_f32 v13, v14, v18, v20
	s_delay_alu instid0(VALU_DEP_2) | instskip(NEXT) | instid1(VALU_DEP_2)
	v_sub_f32_e32 v11, v15, v11
	v_div_fixup_f32 v12, v13, v3, -1.0
	s_delay_alu instid0(VALU_DEP_1) | instskip(SKIP_1) | instid1(VALU_DEP_2)
	v_fmac_f32_e32 v12, v11, v2
	v_div_fixup_f32 v2, v7, v9, v8
	v_mul_f32_e32 v7, 0x3f22f983, v12
	s_delay_alu instid0(VALU_DEP_1)
	v_fmac_f32_e32 v7, v3, v2
.LBB13_20:
	s_or_b32 exec_lo, exec_lo, s7
.LBB13_21:
	s_delay_alu instid0(SALU_CYCLE_1)
	s_or_b32 exec_lo, exec_lo, s6
.LBB13_22:
	s_and_not1_saveexec_b32 s3, s3
	s_cbranch_execz .LBB13_32
; %bb.23:
	v_add_f32_e32 v2, 0xc016cbe4, v3
                                        ; implicit-def: $vgpr9
                                        ; implicit-def: $vgpr8
	s_delay_alu instid0(VALU_DEP_1) | instskip(SKIP_1) | instid1(VALU_DEP_2)
	v_and_b32_e32 v7, 0x7fffffff, v2
	v_cmp_ngt_f32_e64 s2, 0x48000000, |v2|
	v_lshrrev_b32_e32 v11, 23, v7
	s_and_saveexec_b32 s0, s2
	s_delay_alu instid0(SALU_CYCLE_1)
	s_xor_b32 s6, exec_lo, s0
	s_cbranch_execz .LBB13_25
; %bb.24:
	s_mov_b32 s0, 0x7fffff
	v_mov_b32_e32 v9, 0
	v_and_or_b32 v8, v7, s0, 0x800000
	s_mov_b64 s[0:1], 0xfe5163ab
	s_delay_alu instid0(VALU_DEP_1) | instid1(SALU_CYCLE_1)
	v_mul_u64_e32 v[12:13], s[0:1], v[8:9]
	s_delay_alu instid0(VALU_DEP_1) | instskip(SKIP_2) | instid1(VALU_DEP_3)
	v_dual_mov_b32 v14, v13 :: v_dual_mov_b32 v15, v9
	v_dual_mov_b32 v17, v9 :: v_dual_mov_b32 v19, v9
	;; [unrolled: 1-line block ×3, first 2 shown]
	v_mad_nc_u64_u32 v[14:15], 0x3c439041, v8, v[14:15]
	v_add_nc_u32_e32 v13, 0xffffff88, v11
	v_mov_b32_e32 v25, v9
	s_delay_alu instid0(VALU_DEP_2) | instskip(NEXT) | instid1(VALU_DEP_4)
	v_cmp_lt_u32_e32 vcc_lo, 63, v13
	v_mov_b32_e32 v16, v15
	v_cndmask_b32_e64 v15, 0, 0xffffffc0, vcc_lo
	s_delay_alu instid0(VALU_DEP_2) | instskip(NEXT) | instid1(VALU_DEP_2)
	v_mad_nc_u64_u32 v[16:17], 0xdb629599, v8, v[16:17]
	v_add_nc_u32_e32 v13, v15, v13
	s_delay_alu instid0(VALU_DEP_1) | instskip(NEXT) | instid1(VALU_DEP_3)
	v_cmp_lt_u32_e64 s0, 31, v13
	v_mov_b32_e32 v18, v17
	s_delay_alu instid0(VALU_DEP_2) | instskip(NEXT) | instid1(VALU_DEP_2)
	v_cndmask_b32_e64 v15, 0, 0xffffffe0, s0
	v_mad_nc_u64_u32 v[18:19], 0xf534ddc0, v8, v[18:19]
	s_delay_alu instid0(VALU_DEP_1) | instskip(NEXT) | instid1(VALU_DEP_1)
	v_dual_mov_b32 v20, v19 :: v_dual_cndmask_b32 v14, v18, v14, vcc_lo
	v_mad_nc_u64_u32 v[20:21], 0xfc2757d1, v8, v[20:21]
	s_delay_alu instid0(VALU_DEP_1) | instskip(NEXT) | instid1(VALU_DEP_1)
	v_dual_mov_b32 v22, v21 :: v_dual_cndmask_b32 v19, v20, v16
	v_mad_nc_u64_u32 v[22:23], 0x4e441529, v8, v[22:23]
	s_delay_alu instid0(VALU_DEP_1) | instskip(NEXT) | instid1(VALU_DEP_1)
	v_dual_mov_b32 v24, v23 :: v_dual_cndmask_b32 v17, v22, v18
	v_mad_nc_u64_u32 v[8:9], 0xa2f9836e, v8, v[24:25]
	s_delay_alu instid0(VALU_DEP_1) | instskip(NEXT) | instid1(VALU_DEP_1)
	v_dual_cndmask_b32 v8, v8, v20 :: v_dual_add_nc_u32 v13, v15, v13
	v_cmp_lt_u32_e64 s1, 31, v13
	s_delay_alu instid0(VALU_DEP_3) | instskip(NEXT) | instid1(VALU_DEP_2)
	v_cndmask_b32_e32 v9, v9, v22, vcc_lo
	v_cndmask_b32_e64 v15, 0, 0xffffffe0, s1
	s_delay_alu instid0(VALU_DEP_1) | instskip(NEXT) | instid1(VALU_DEP_3)
	v_add_nc_u32_e32 v13, v15, v13
	v_dual_cndmask_b32 v15, v8, v17, s0 :: v_dual_cndmask_b32 v8, v9, v8, s0
	v_dual_cndmask_b32 v9, v17, v19, s0 :: v_dual_cndmask_b32 v18, v19, v14, s0
	s_delay_alu instid0(VALU_DEP_2) | instskip(NEXT) | instid1(VALU_DEP_2)
	v_dual_sub_nc_u32 v17, 32, v13 :: v_dual_cndmask_b32 v8, v8, v15, s1
	v_dual_cndmask_b32 v15, v15, v9, s1 :: v_dual_cndmask_b32 v9, v9, v18, s1
	v_cndmask_b32_e32 v12, v16, v12, vcc_lo
	v_cmp_eq_u32_e32 vcc_lo, 0, v13
	s_delay_alu instid0(VALU_DEP_3) | instskip(NEXT) | instid1(VALU_DEP_4)
	v_alignbit_b32 v19, v8, v15, v17
	v_alignbit_b32 v16, v15, v9, v17
	s_delay_alu instid0(VALU_DEP_1) | instskip(SKIP_1) | instid1(VALU_DEP_2)
	v_dual_cndmask_b32 v8, v19, v8 :: v_dual_cndmask_b32 v13, v16, v15
	v_cndmask_b32_e64 v12, v14, v12, s0
	v_bfe_u32 v14, v8, 29, 1
	s_delay_alu instid0(VALU_DEP_1) | instskip(NEXT) | instid1(VALU_DEP_4)
	v_dual_cndmask_b32 v12, v18, v12, s1 :: v_dual_sub_nc_u32 v16, 0, v14
	v_alignbit_b32 v15, v8, v13, 30
	s_delay_alu instid0(VALU_DEP_2) | instskip(NEXT) | instid1(VALU_DEP_1)
	v_alignbit_b32 v17, v9, v12, v17
	v_dual_cndmask_b32 v9, v17, v9, vcc_lo :: v_dual_bitop2_b32 v15, v15, v16 bitop3:0x14
	s_delay_alu instid0(VALU_DEP_1) | instskip(NEXT) | instid1(VALU_DEP_2)
	v_clz_i32_u32_e32 v17, v15
	v_alignbit_b32 v13, v13, v9, 30
	v_alignbit_b32 v9, v9, v12, 30
	s_delay_alu instid0(VALU_DEP_3) | instskip(NEXT) | instid1(VALU_DEP_1)
	v_min_u32_e32 v17, 32, v17
	v_dual_lshlrev_b32 v18, 23, v17 :: v_dual_bitop2_b32 v12, v13, v16 bitop3:0x14
	s_delay_alu instid0(VALU_DEP_3) | instskip(NEXT) | instid1(VALU_DEP_1)
	v_dual_sub_nc_u32 v13, 31, v17 :: v_dual_bitop2_b32 v9, v9, v16 bitop3:0x14
	v_alignbit_b32 v15, v15, v12, v13
	v_lshrrev_b32_e32 v16, 29, v8
	s_delay_alu instid0(VALU_DEP_3) | instskip(NEXT) | instid1(VALU_DEP_1)
	v_alignbit_b32 v9, v12, v9, v13
	v_alignbit_b32 v13, v15, v9, 9
	s_delay_alu instid0(VALU_DEP_3) | instskip(NEXT) | instid1(VALU_DEP_2)
	v_dual_lshrrev_b32 v15, 9, v15 :: v_dual_lshlrev_b32 v12, 31, v16
	v_clz_i32_u32_e32 v19, v13
	s_delay_alu instid0(VALU_DEP_2) | instskip(SKIP_1) | instid1(VALU_DEP_2)
	v_or_b32_e32 v16, 0.5, v12
	v_or_b32_e32 v12, 0x33000000, v12
	v_sub_nc_u32_e32 v16, v16, v18
	s_delay_alu instid0(VALU_DEP_4) | instskip(NEXT) | instid1(VALU_DEP_2)
	v_min_u32_e32 v18, 32, v19
	v_or_b32_e32 v15, v15, v16
	s_delay_alu instid0(VALU_DEP_2) | instskip(SKIP_1) | instid1(VALU_DEP_2)
	v_not_b32_e32 v16, v18
	v_add_lshl_u32 v17, v18, v17, 23
	v_alignbit_b32 v9, v13, v9, v16
	s_delay_alu instid0(VALU_DEP_2) | instskip(NEXT) | instid1(VALU_DEP_2)
	v_sub_nc_u32_e32 v12, v12, v17
	v_lshrrev_b32_e32 v9, 9, v9
	v_mul_f32_e32 v19, 0x3fc90fda, v15
	s_delay_alu instid0(VALU_DEP_2) | instskip(NEXT) | instid1(VALU_DEP_2)
	v_or_b32_e32 v9, v12, v9
	v_fma_f32 v13, 0x3fc90fda, v15, -v19
	s_delay_alu instid0(VALU_DEP_1) | instskip(NEXT) | instid1(VALU_DEP_1)
	v_fmamk_f32 v13, v15, 0x33a22168, v13
	v_fmac_f32_e32 v13, 0x3fc90fda, v9
	s_delay_alu instid0(VALU_DEP_1) | instskip(NEXT) | instid1(VALU_DEP_1)
	v_dual_add_f32 v8, v19, v13 :: v_dual_lshrrev_b32 v9, 30, v8
	v_add_nc_u32_e32 v9, v14, v9
	s_or_saveexec_b32 s0, s6
	v_mul_f32_e64 v14, 0x3f22f983, |v2|
	s_xor_b32 exec_lo, exec_lo, s0
	s_branch .LBB13_26
.LBB13_25:
	s_or_saveexec_b32 s0, s6
	v_mul_f32_e64 v14, 0x3f22f983, |v2|
	s_xor_b32 exec_lo, exec_lo, s0
.LBB13_26:
	s_delay_alu instid0(VALU_DEP_1) | instskip(NEXT) | instid1(VALU_DEP_1)
	v_rndne_f32_e32 v9, v14
	v_fma_f32 v8, 0xbfc90fda, v9, |v2|
	s_delay_alu instid0(VALU_DEP_1) | instskip(NEXT) | instid1(VALU_DEP_1)
	v_fmamk_f32 v8, v9, 0xb3a22168, v8
	v_fmamk_f32 v8, v9, 0xa7c234c4, v8
	v_cvt_i32_f32_e32 v9, v9
; %bb.27:
	s_or_b32 exec_lo, exec_lo, s0
                                        ; implicit-def: $vgpr13
                                        ; implicit-def: $vgpr12
	s_and_saveexec_b32 s0, s2
	s_delay_alu instid0(SALU_CYCLE_1)
	s_xor_b32 s2, exec_lo, s0
	s_cbranch_execz .LBB13_29
; %bb.28:
	s_mov_b32 s0, 0x7fffff
	v_mov_b32_e32 v13, 0
	v_and_or_b32 v12, v7, s0, 0x800000
	s_mov_b64 s[0:1], 0xfe5163ab
	v_add_nc_u32_e32 v11, 0xffffff88, v11
	s_delay_alu instid0(VALU_DEP_2) | instskip(NEXT) | instid1(VALU_DEP_2)
	v_mul_u64_e32 v[14:15], s[0:1], v[12:13]
	v_cmp_lt_u32_e32 vcc_lo, 63, v11
	s_delay_alu instid0(VALU_DEP_2) | instskip(SKIP_2) | instid1(VALU_DEP_3)
	v_dual_mov_b32 v16, v15 :: v_dual_mov_b32 v17, v13
	v_dual_mov_b32 v19, v13 :: v_dual_mov_b32 v21, v13
	;; [unrolled: 1-line block ×3, first 2 shown]
	v_mad_nc_u64_u32 v[16:17], 0x3c439041, v12, v[16:17]
	v_cndmask_b32_e64 v15, 0, 0xffffffc0, vcc_lo
	s_delay_alu instid0(VALU_DEP_1) | instskip(NEXT) | instid1(VALU_DEP_3)
	v_dual_mov_b32 v27, v13 :: v_dual_add_nc_u32 v11, v15, v11
	v_mov_b32_e32 v18, v17
	s_delay_alu instid0(VALU_DEP_2) | instskip(NEXT) | instid1(VALU_DEP_2)
	v_cmp_lt_u32_e64 s0, 31, v11
	v_mad_nc_u64_u32 v[18:19], 0xdb629599, v12, v[18:19]
	s_delay_alu instid0(VALU_DEP_2) | instskip(NEXT) | instid1(VALU_DEP_1)
	v_cndmask_b32_e64 v15, 0, 0xffffffe0, s0
	v_add_nc_u32_e32 v11, v15, v11
	s_delay_alu instid0(VALU_DEP_3) | instskip(NEXT) | instid1(VALU_DEP_2)
	v_mov_b32_e32 v20, v19
	v_cmp_lt_u32_e64 s1, 31, v11
	v_cndmask_b32_e32 v14, v18, v14, vcc_lo
	s_delay_alu instid0(VALU_DEP_3) | instskip(NEXT) | instid1(VALU_DEP_3)
	v_mad_nc_u64_u32 v[20:21], 0xf534ddc0, v12, v[20:21]
	v_cndmask_b32_e64 v15, 0, 0xffffffe0, s1
	s_delay_alu instid0(VALU_DEP_1) | instskip(NEXT) | instid1(VALU_DEP_3)
	v_dual_add_nc_u32 v11, v15, v11 :: v_dual_cndmask_b32 v15, v20, v16, vcc_lo
	v_mov_b32_e32 v22, v21
	s_delay_alu instid0(VALU_DEP_1) | instskip(NEXT) | instid1(VALU_DEP_1)
	v_mad_nc_u64_u32 v[22:23], 0xfc2757d1, v12, v[22:23]
	v_dual_mov_b32 v24, v23 :: v_dual_cndmask_b32 v19, v22, v18
	s_delay_alu instid0(VALU_DEP_1) | instskip(NEXT) | instid1(VALU_DEP_1)
	v_mad_nc_u64_u32 v[24:25], 0x4e441529, v12, v[24:25]
	v_dual_mov_b32 v26, v25 :: v_dual_cndmask_b32 v17, v24, v20
	s_delay_alu instid0(VALU_DEP_1) | instskip(NEXT) | instid1(VALU_DEP_1)
	v_mad_nc_u64_u32 v[12:13], 0xa2f9836e, v12, v[26:27]
	v_dual_cndmask_b32 v12, v12, v22 :: v_dual_cndmask_b32 v13, v13, v24
	v_cmp_eq_u32_e32 vcc_lo, 0, v11
	s_delay_alu instid0(VALU_DEP_2) | instskip(SKIP_2) | instid1(VALU_DEP_3)
	v_dual_cndmask_b32 v16, v12, v17, s0 :: v_dual_cndmask_b32 v12, v13, v12, s0
	v_cndmask_b32_e64 v13, v17, v19, s0
	v_sub_nc_u32_e32 v17, 32, v11
	v_dual_cndmask_b32 v19, v19, v15, s0 :: v_dual_cndmask_b32 v12, v12, v16, s1
	s_delay_alu instid0(VALU_DEP_3) | instskip(NEXT) | instid1(VALU_DEP_1)
	v_cndmask_b32_e64 v16, v16, v13, s1
	v_alignbit_b32 v20, v12, v16, v17
	s_delay_alu instid0(VALU_DEP_1) | instskip(NEXT) | instid1(VALU_DEP_1)
	v_dual_cndmask_b32 v13, v13, v19, s1 :: v_dual_cndmask_b32 v11, v20, v12, vcc_lo
	v_alignbit_b32 v18, v16, v13, v17
	v_cndmask_b32_e64 v12, v15, v14, s0
	s_delay_alu instid0(VALU_DEP_3) | instskip(NEXT) | instid1(VALU_DEP_3)
	v_bfe_u32 v15, v11, 29, 1
	v_cndmask_b32_e32 v14, v18, v16, vcc_lo
	s_delay_alu instid0(VALU_DEP_2) | instskip(NEXT) | instid1(VALU_DEP_2)
	v_dual_cndmask_b32 v12, v19, v12, s1 :: v_dual_sub_nc_u32 v18, 0, v15
	v_alignbit_b32 v16, v11, v14, 30
	s_delay_alu instid0(VALU_DEP_2) | instskip(NEXT) | instid1(VALU_DEP_1)
	v_alignbit_b32 v17, v13, v12, v17
	v_dual_cndmask_b32 v13, v17, v13, vcc_lo :: v_dual_bitop2_b32 v16, v16, v18 bitop3:0x14
	s_delay_alu instid0(VALU_DEP_1) | instskip(NEXT) | instid1(VALU_DEP_2)
	v_clz_i32_u32_e32 v17, v16
	v_alignbit_b32 v14, v14, v13, 30
	v_alignbit_b32 v12, v13, v12, 30
	s_delay_alu instid0(VALU_DEP_3) | instskip(NEXT) | instid1(VALU_DEP_3)
	v_min_u32_e32 v17, 32, v17
	v_xor_b32_e32 v13, v14, v18
	s_delay_alu instid0(VALU_DEP_3) | instskip(NEXT) | instid1(VALU_DEP_3)
	v_dual_lshrrev_b32 v18, 29, v11 :: v_dual_bitop2_b32 v12, v12, v18 bitop3:0x14
	v_dual_lshrrev_b32 v11, 30, v11 :: v_dual_sub_nc_u32 v14, 31, v17
	v_lshlrev_b32_e32 v19, 23, v17
	s_delay_alu instid0(VALU_DEP_2) | instskip(NEXT) | instid1(VALU_DEP_4)
	v_alignbit_b32 v16, v16, v13, v14
	v_alignbit_b32 v12, v13, v12, v14
	v_lshlrev_b32_e32 v13, 31, v18
	s_delay_alu instid0(VALU_DEP_2) | instskip(NEXT) | instid1(VALU_DEP_2)
	v_alignbit_b32 v14, v16, v12, 9
	v_dual_lshrrev_b32 v16, 9, v16 :: v_dual_bitop2_b32 v18, 0.5, v13 bitop3:0x54
	v_or_b32_e32 v13, 0x33000000, v13
	s_delay_alu instid0(VALU_DEP_3) | instskip(NEXT) | instid1(VALU_DEP_3)
	v_clz_i32_u32_e32 v20, v14
	v_sub_nc_u32_e32 v18, v18, v19
	s_delay_alu instid0(VALU_DEP_2) | instskip(NEXT) | instid1(VALU_DEP_1)
	v_min_u32_e32 v19, 32, v20
	v_add_lshl_u32 v17, v19, v17, 23
	s_delay_alu instid0(VALU_DEP_1) | instskip(SKIP_1) | instid1(VALU_DEP_1)
	v_dual_sub_nc_u32 v13, v13, v17 :: v_dual_bitop2_b32 v16, v16, v18 bitop3:0x54
	v_not_b32_e32 v18, v19
	v_alignbit_b32 v12, v14, v12, v18
	s_delay_alu instid0(VALU_DEP_1) | instskip(NEXT) | instid1(VALU_DEP_4)
	v_lshrrev_b32_e32 v12, 9, v12
	v_mul_f32_e32 v20, 0x3fc90fda, v16
	s_delay_alu instid0(VALU_DEP_2) | instskip(NEXT) | instid1(VALU_DEP_2)
	v_or_b32_e32 v12, v13, v12
	v_fma_f32 v14, 0x3fc90fda, v16, -v20
	s_delay_alu instid0(VALU_DEP_1) | instskip(NEXT) | instid1(VALU_DEP_1)
	v_dual_fmamk_f32 v14, v16, 0x33a22168, v14 :: v_dual_add_nc_u32 v13, v15, v11
	v_fmac_f32_e32 v14, 0x3fc90fda, v12
	s_delay_alu instid0(VALU_DEP_1)
	v_add_f32_e32 v12, v20, v14
                                        ; implicit-def: $vgpr14
	s_and_not1_saveexec_b32 s0, s2
	s_cbranch_execnz .LBB13_30
	s_branch .LBB13_31
.LBB13_29:
	s_and_not1_saveexec_b32 s0, s2
.LBB13_30:
	v_rndne_f32_e32 v11, v14
	s_delay_alu instid0(VALU_DEP_1) | instskip(SKIP_1) | instid1(VALU_DEP_2)
	v_fma_f32 v12, 0xbfc90fda, v11, |v2|
	v_cvt_i32_f32_e32 v13, v11
	v_fmamk_f32 v12, v11, 0xb3a22168, v12
	s_delay_alu instid0(VALU_DEP_1)
	v_fmamk_f32 v12, v11, 0xa7c234c4, v12
.LBB13_31:
	s_or_b32 exec_lo, exec_lo, s0
	v_div_scale_f32 v11, null, v3, v3, 0x40a00000
	v_div_scale_f32 v16, vcc_lo, 0x40a00000, v3, 0x40a00000
	s_mov_b32 s0, 0xb94c1982
	v_rcp_f32_e32 v14, v11
	v_mul_f32_e32 v23, 0x4f800000, v3
	s_mov_b32 s1, 0x37d75334
	v_and_b32_e32 v18, 1, v13
	v_xor_b32_e32 v7, v7, v2
	s_delay_alu instid0(TRANS32_DEP_1) | instskip(NEXT) | instid1(VALU_DEP_1)
	v_fma_f32 v15, -v11, v14, 1.0
	v_fmac_f32_e32 v14, v15, v14
	s_delay_alu instid0(VALU_DEP_1) | instskip(NEXT) | instid1(VALU_DEP_1)
	v_mul_f32_e32 v15, v16, v14
	v_fma_f32 v17, -v11, v15, v16
	s_delay_alu instid0(VALU_DEP_1) | instskip(NEXT) | instid1(VALU_DEP_1)
	v_dual_fmac_f32 v15, v17, v14 :: v_dual_mul_f32 v17, v12, v12
	v_fma_f32 v11, -v11, v15, v16
	s_delay_alu instid0(VALU_DEP_2) | instskip(NEXT) | instid1(VALU_DEP_2)
	v_fmaak_f32 v26, s0, v17, 0x3c0881c4
	v_div_fmas_f32 v11, v11, v14, v15
	v_mul_f32_e32 v14, v8, v8
	s_delay_alu instid0(VALU_DEP_3) | instskip(SKIP_1) | instid1(VALU_DEP_4)
	v_fmaak_f32 v26, v17, v26, 0xbe2aaa9d
	v_dual_lshlrev_b32 v9, 30, v9 :: v_dual_bitop2_b32 v15, 1, v9 bitop3:0x40
	v_div_fixup_f32 v11, v11, v3, 0x40a00000
	s_delay_alu instid0(VALU_DEP_4) | instskip(SKIP_1) | instid1(VALU_DEP_4)
	v_fmaak_f32 v24, s0, v14, 0x3c0881c4
	v_cmp_gt_f32_e64 s0, 0xf800000, v3
	v_cmp_eq_u32_e64 s2, 0, v15
	v_and_b32_e32 v9, 0x80000000, v9
	v_dual_mul_f32 v16, v11, v11 :: v_dual_lshlrev_b32 v13, 30, v13
	s_delay_alu instid0(VALU_DEP_4) | instskip(SKIP_1) | instid1(VALU_DEP_3)
	v_cndmask_b32_e64 v3, v3, v23, s0
	v_fmaak_f32 v24, v14, v24, 0xbe2aaa9d
	v_dual_mul_f32 v26, v17, v26 :: v_dual_fmaak_f32 v19, 0, v16, 0x3d513fd3
	v_fmaak_f32 v20, 0, v16, 0x3a15c4d9
	v_fmaak_f32 v22, 0, v16, 0x3a47c962
	v_sqrt_f32_e32 v30, v3
	v_fmaak_f32 v21, 0, v16, 0x42947983
	v_dual_fmaak_f32 v19, v16, v19, 0x409f6dae :: v_dual_mul_f32 v24, v14, v24
	v_fmaak_f32 v20, v16, v20, 0x3d8cfeeb
	v_fmaak_f32 v22, v16, v22, 0x3d95ca45
	;; [unrolled: 1-line block ×3, first 2 shown]
	s_delay_alu instid0(TRANS32_DEP_1) | instskip(SKIP_4) | instid1(VALU_DEP_4)
	v_add_nc_u32_e32 v35, 1, v30
	v_fmaak_f32 v19, v16, v19, 0x4297a5cd
	v_fmaak_f32 v20, v16, v20, 0x3f8d754e
	;; [unrolled: 1-line block ×3, first 2 shown]
	v_dual_fmaak_f32 v27, s1, v17, 0xbab64f3b :: v_dual_fmac_f32 v12, v12, v26
	v_fmaak_f32 v19, v16, v19, 0x43b763ca
	s_delay_alu instid0(VALU_DEP_4) | instskip(NEXT) | instid1(VALU_DEP_4)
	v_fmaak_f32 v20, v16, v20, 0x40a25d18
	v_fmaak_f32 v22, v16, v22, 0x40a39628
	v_dual_fmac_f32 v8, v8, v24 :: v_dual_fmaak_f32 v25, v14, v25, 0x3d2aabf7
	s_delay_alu instid0(VALU_DEP_4) | instskip(NEXT) | instid1(VALU_DEP_4)
	v_fmaak_f32 v19, v16, v19, 0x4431b6ce
	v_fmaak_f32 v20, v16, v20, 0x410665cf
	s_delay_alu instid0(VALU_DEP_4)
	v_fmaak_f32 v22, v16, v22, 0x4106c8e4
	v_fmaak_f32 v27, v17, v27, 0x3d2aabf7
	;; [unrolled: 1-line block ×7, first 2 shown]
	v_fma_f32 v14, v14, v25, 1.0
	v_fmaak_f32 v19, v16, v19, 0x4353b052
	v_fma_f32 v20, v16, v20, 1.0
	v_fma_f32 v22, v16, v22, 1.0
	;; [unrolled: 1-line block ×3, first 2 shown]
	v_cndmask_b32_e64 v8, v14, v8, s2
	v_cmp_eq_u32_e64 s2, 0, v18
	s_delay_alu instid0(VALU_DEP_4) | instskip(SKIP_1) | instid1(VALU_DEP_3)
	v_div_scale_f32 v33, vcc_lo, v22, v20, v22
	v_fmaak_f32 v21, v16, v21, 0x44840e5d
	v_cndmask_b32_e64 v12, -v12, v17, s2
	v_xor3_b32 v7, v7, v9, v8
	s_delay_alu instid0(VALU_DEP_3) | instskip(NEXT) | instid1(VALU_DEP_1)
	v_fmaak_f32 v21, v16, v21, 0x459bd349
	v_fmaak_f32 v21, v16, v21, 0x46156947
	s_delay_alu instid0(VALU_DEP_1) | instskip(NEXT) | instid1(VALU_DEP_1)
	v_fmaak_f32 v21, v16, v21, 0x45f9e855
	v_fmaak_f32 v21, v16, v21, 0x4530a316
	s_delay_alu instid0(VALU_DEP_1) | instskip(SKIP_2) | instid1(VALU_DEP_2)
	v_fmaak_f32 v21, v16, v21, 0x43a80bfb
	v_fmaak_f32 v16, v16, v19, 0x41c9a7fa
	v_div_scale_f32 v19, null, v20, v20, v22
	v_div_scale_f32 v23, null, v21, v21, v16
	s_delay_alu instid0(VALU_DEP_2) | instskip(NEXT) | instid1(VALU_DEP_1)
	v_rcp_f32_e32 v28, v19
	v_rcp_f32_e32 v29, v23
	s_delay_alu instid0(TRANS32_DEP_2) | instskip(NEXT) | instid1(TRANS32_DEP_1)
	v_fma_f32 v31, -v19, v28, 1.0
	v_fma_f32 v32, -v23, v29, 1.0
	s_delay_alu instid0(VALU_DEP_2) | instskip(SKIP_1) | instid1(VALU_DEP_3)
	v_fmac_f32_e32 v28, v31, v28
	v_div_scale_f32 v31, s1, v16, v21, v16
	v_dual_fmac_f32 v29, v32, v29 :: v_dual_add_nc_u32 v32, -1, v30
	s_delay_alu instid0(VALU_DEP_1) | instskip(NEXT) | instid1(VALU_DEP_1)
	v_dual_mul_f32 v34, v33, v28 :: v_dual_mul_f32 v36, v31, v29
	v_fma_f32 v24, -v19, v34, v33
	s_delay_alu instid0(VALU_DEP_2) | instskip(NEXT) | instid1(VALU_DEP_2)
	v_fma_f32 v25, -v23, v36, v31
	v_fmac_f32_e32 v34, v24, v28
	v_dual_fma_f32 v26, -v32, v30, v3 :: v_dual_fma_f32 v24, -v35, v30, v3
	s_delay_alu instid0(VALU_DEP_2) | instskip(NEXT) | instid1(VALU_DEP_1)
	v_dual_fmac_f32 v36, v25, v29 :: v_dual_fma_f32 v14, -v19, v34, v33
	v_fma_f32 v15, -v23, v36, v31
	s_delay_alu instid0(VALU_DEP_2) | instskip(SKIP_2) | instid1(VALU_DEP_3)
	v_div_fmas_f32 v14, v14, v28, v34
	s_mov_b32 vcc_lo, s1
	v_cmp_lt_f32_e64 s1, 0, v24
	v_div_fmas_f32 v15, v15, v29, v36
	v_cmp_ge_f32_e32 vcc_lo, 0, v26
	s_delay_alu instid0(VALU_DEP_2) | instskip(SKIP_4) | instid1(VALU_DEP_4)
	v_div_fixup_f32 v8, v15, v21, v16
	v_cndmask_b32_e32 v17, v30, v32, vcc_lo
	v_cmp_class_f32_e64 vcc_lo, v2, 0x1f8
	v_bitop3_b32 v2, v13, v12, 0x80000000 bitop3:0x6c
	v_div_fixup_f32 v12, v14, v20, v22
	v_dual_mul_f32 v8, v11, v8 :: v_dual_cndmask_b32 v9, v17, v35, s1
	v_cndmask_b32_e32 v7, 0x7fc00000, v7, vcc_lo
	s_delay_alu instid0(VALU_DEP_4) | instskip(SKIP_1) | instid1(VALU_DEP_2)
	v_cndmask_b32_e32 v2, 0x7fc00000, v2, vcc_lo
	v_cmp_class_f32_e64 vcc_lo, v3, 0x260
	v_dual_mul_f32 v11, 0x37800000, v9 :: v_dual_mul_f32 v2, v8, v2
	s_delay_alu instid0(VALU_DEP_1) | instskip(NEXT) | instid1(VALU_DEP_2)
	v_cndmask_b32_e64 v8, v9, v11, s0
	v_fmac_f32_e32 v2, v12, v7
	s_delay_alu instid0(VALU_DEP_1) | instskip(NEXT) | instid1(VALU_DEP_1)
	v_dual_cndmask_b32 v3, v8, v3 :: v_dual_mul_f32 v2, 0x3f4c422a, v2
	v_div_scale_f32 v7, null, v3, v3, v2
	s_delay_alu instid0(VALU_DEP_1) | instskip(SKIP_1) | instid1(TRANS32_DEP_1)
	v_rcp_f32_e32 v8, v7
	v_nop
	v_fma_f32 v9, -v7, v8, 1.0
	s_delay_alu instid0(VALU_DEP_1) | instskip(SKIP_1) | instid1(VALU_DEP_1)
	v_fmac_f32_e32 v8, v9, v8
	v_div_scale_f32 v9, vcc_lo, v2, v3, v2
	v_mul_f32_e32 v11, v9, v8
	s_delay_alu instid0(VALU_DEP_1) | instskip(NEXT) | instid1(VALU_DEP_1)
	v_fma_f32 v12, -v7, v11, v9
	v_fmac_f32_e32 v11, v12, v8
	s_delay_alu instid0(VALU_DEP_1) | instskip(NEXT) | instid1(VALU_DEP_1)
	v_fma_f32 v7, -v7, v11, v9
	v_div_fmas_f32 v7, v7, v8, v11
	s_delay_alu instid0(VALU_DEP_1)
	v_div_fixup_f32 v7, v7, v3, v2
.LBB13_32:
	s_or_b32 exec_lo, exec_lo, s3
	s_delay_alu instid0(SALU_CYCLE_1)
	s_mov_b32 s0, exec_lo
	v_cmpx_ge_f32_e32 0x40a00000, v4
	s_xor_b32 s3, exec_lo, s0
	s_cbranch_execz .LBB13_38
; %bb.33:
	v_mov_b32_e32 v8, 0xff800000
	s_mov_b32 s6, exec_lo
	v_cmpx_neq_f32_e32 0, v4
	s_cbranch_execz .LBB13_37
; %bb.34:
	v_mov_b32_e32 v8, 0x7fc00000
	s_mov_b32 s7, exec_lo
	v_cmpx_nge_f32_e32 0, v4
	s_cbranch_execz .LBB13_36
; %bb.35:
	v_mul_f32_e32 v2, v4, v4
	v_mov_b64_e32 v[18:19], 0x548a37dcce5691e2
	v_mov_b64_e32 v[20:21], 0x5832585252d295d0
	;; [unrolled: 1-line block ×4, first 2 shown]
	v_dual_fmaak_f32 v3, 0, v2, 0x4414934d :: v_dual_mul_f32 v12, 0, v2
	v_cmp_gt_f32_e64 s0, 0x800000, v4
	v_div_scale_f32 v26, s2, -1.0, v4, -1.0
	s_delay_alu instid0(VALU_DEP_3) | instskip(NEXT) | instid1(VALU_DEP_1)
	v_fmaak_f32 v3, v2, v3, 0x48660b06
	v_dual_fmaak_f32 v8, 0, v2, 0x441b3589 :: v_dual_mul_f32 v13, v2, v3
	s_delay_alu instid0(VALU_DEP_1) | instskip(SKIP_1) | instid1(VALU_DEP_2)
	v_fmaak_f32 v11, v2, v8, 0x487af6d0
	v_mov_b64_e32 v[8:9], 0x4c8c277d4e9695f3
	v_fmaak_f32 v3, v2, v11, 0x4c9f4aa7
	s_delay_alu instid0(VALU_DEP_2) | instskip(NEXT) | instid1(VALU_DEP_2)
	v_pk_add_f32 v[8:9], v[12:13], v[8:9]
	v_fmaak_f32 v3, v2, v3, 0x50a509fc
	s_delay_alu instid0(VALU_DEP_1) | instskip(NEXT) | instid1(VALU_DEP_3)
	v_mul_f32_e32 v13, v2, v3
	v_pk_fma_f32 v[8:9], v[2:3], v[8:9], v[14:15] op_sel_hi:[0,1,1]
	v_mov_b64_e32 v[14:15], 0x580d1937d9e700d2
	s_delay_alu instid0(VALU_DEP_3) | instskip(SKIP_1) | instid1(VALU_DEP_4)
	v_pk_add_f32 v[12:13], v[12:13], v[18:19]
	v_mov_b64_e32 v[18:19], 0x5b9f0600d6845497
	v_pk_fma_f32 v[8:9], v[2:3], v[8:9], v[16:17] op_sel_hi:[0,1,1]
	v_mov_b64_e32 v[16:17], 0x5b741f1e5c33cd68
	s_delay_alu instid0(VALU_DEP_4) | instskip(SKIP_1) | instid1(VALU_DEP_4)
	v_pk_fma_f32 v[12:13], v[2:3], v[12:13], v[20:21] op_sel_hi:[0,1,1]
	v_mov_b64_e32 v[20:21], 0x5e93bcac59515a15
	v_pk_fma_f32 v[8:9], v[2:3], v[8:9], v[14:15] op_sel_hi:[0,1,1]
	v_mov_b64_e32 v[14:15], 0x5e5c878ddd2cf20b
	s_delay_alu instid0(VALU_DEP_4) | instskip(NEXT) | instid1(VALU_DEP_3)
	v_pk_fma_f32 v[12:13], v[2:3], v[12:13], v[18:19] op_sel_hi:[0,1,1]
	v_pk_fma_f32 v[8:9], v[2:3], v[8:9], v[16:17] op_sel_hi:[0,1,1]
	v_div_scale_f32 v17, null, v4, v4, -1.0
	s_delay_alu instid0(VALU_DEP_3) | instskip(NEXT) | instid1(VALU_DEP_1)
	v_pk_fma_f32 v[12:13], v[2:3], v[12:13], v[20:21] op_sel_hi:[0,1,1]
	v_div_scale_f32 v11, null, v13, v13, v12
	v_div_scale_f32 v21, s1, v12, v13, v12
	s_delay_alu instid0(VALU_DEP_2) | instskip(SKIP_1) | instid1(TRANS32_DEP_1)
	v_rcp_f32_e32 v16, v11
	v_nop
	v_fma_f32 v19, -v11, v16, 1.0
	s_delay_alu instid0(VALU_DEP_1) | instskip(NEXT) | instid1(VALU_DEP_1)
	v_fmac_f32_e32 v16, v19, v16
	v_mul_f32_e32 v22, v21, v16
	s_delay_alu instid0(VALU_DEP_1) | instskip(NEXT) | instid1(VALU_DEP_1)
	v_fma_f32 v25, -v11, v22, v21
	v_fmac_f32_e32 v22, v25, v16
	v_pk_fma_f32 v[8:9], v[2:3], v[8:9], v[14:15] op_sel_hi:[0,1,1]
	v_cndmask_b32_e64 v14, 0, 32, s0
	s_delay_alu instid0(VALU_DEP_3) | instskip(NEXT) | instid1(VALU_DEP_3)
	v_fma_f32 v11, -v11, v22, v21
	v_div_scale_f32 v3, null, v9, v9, v8
	s_delay_alu instid0(VALU_DEP_3) | instskip(SKIP_1) | instid1(VALU_DEP_3)
	v_ldexp_f32 v14, v4, v14
	v_div_scale_f32 v20, vcc_lo, v8, v9, v8
	v_rcp_f32_e32 v15, v3
	s_delay_alu instid0(VALU_DEP_2) | instskip(NEXT) | instid1(TRANS32_DEP_2)
	v_log_f32_e32 v23, v14
	v_fma_f32 v18, -v3, v15, 1.0
	s_delay_alu instid0(VALU_DEP_1) | instskip(SKIP_2) | instid1(TRANS32_DEP_1)
	v_fmac_f32_e32 v15, v18, v15
	v_rcp_f32_e32 v18, v17
	v_nop
	v_fma_f32 v14, -v17, v18, 1.0
	s_delay_alu instid0(VALU_DEP_1) | instskip(NEXT) | instid1(VALU_DEP_1)
	v_dual_mul_f32 v19, v20, v15 :: v_dual_fmac_f32 v18, v14, v18
	v_fma_f32 v24, -v3, v19, v20
	v_mul_f32_e32 v27, 0x3f317217, v23
	s_delay_alu instid0(VALU_DEP_2) | instskip(NEXT) | instid1(VALU_DEP_1)
	v_fmac_f32_e32 v19, v24, v15
	v_dual_fma_f32 v3, -v3, v19, v20 :: v_dual_mul_f32 v20, v26, v18
	s_delay_alu instid0(VALU_DEP_3) | instskip(NEXT) | instid1(VALU_DEP_2)
	v_fma_f32 v24, 0x3f317217, v23, -v27
	v_div_fmas_f32 v19, v3, v15, v19
	s_mov_b32 vcc_lo, s1
	v_mov_b64_e32 v[14:15], 0xc16ae95ac244dfb3
	v_div_fmas_f32 v3, v11, v16, v22
	v_fma_f32 v11, -v17, v20, v26
	v_cmp_gt_f32_e64 vcc_lo, 0x7f800000, |v23|
	s_delay_alu instid0(VALU_DEP_3) | instskip(SKIP_1) | instid1(VALU_DEP_4)
	v_div_fixup_f32 v12, v3, v13, v12
	v_fmamk_f32 v16, v23, 0x3377d1cf, v24
	v_fmac_f32_e32 v20, v11, v18
	v_pk_add_f32 v[2:3], v[2:3], v[14:15] op_sel_hi:[0,1]
	s_delay_alu instid0(VALU_DEP_4) | instskip(SKIP_1) | instid1(VALU_DEP_2)
	v_mul_f32_e32 v11, v4, v12
	v_cndmask_b32_e64 v12, 0, 0x41b17218, s0
	v_mul_f32_e32 v3, v3, v11
	s_delay_alu instid0(VALU_DEP_1) | instskip(SKIP_1) | instid1(VALU_DEP_1)
	v_mul_f32_e32 v2, v2, v3
	v_fmac_f32_e32 v16, 0x3f317217, v23
	v_cndmask_b32_e32 v14, v23, v16, vcc_lo
	s_mov_b32 vcc_lo, s2
	s_delay_alu instid0(VALU_DEP_1) | instskip(SKIP_1) | instid1(VALU_DEP_1)
	v_sub_f32_e32 v12, v14, v12
	v_fma_f32 v13, -v17, v20, v26
	v_div_fmas_f32 v11, v13, v18, v20
	s_delay_alu instid0(VALU_DEP_1) | instskip(NEXT) | instid1(VALU_DEP_1)
	v_div_fixup_f32 v3, v11, v4, -1.0
	v_fmac_f32_e32 v3, v12, v2
	v_div_fixup_f32 v2, v19, v9, v8
	s_delay_alu instid0(VALU_DEP_2) | instskip(NEXT) | instid1(VALU_DEP_1)
	v_mul_f32_e32 v8, 0x3f22f983, v3
	v_fmac_f32_e32 v8, v4, v2
.LBB13_36:
	s_or_b32 exec_lo, exec_lo, s7
.LBB13_37:
	s_delay_alu instid0(SALU_CYCLE_1)
	s_or_b32 exec_lo, exec_lo, s6
.LBB13_38:
	s_and_not1_saveexec_b32 s3, s3
	s_cbranch_execz .LBB13_48
; %bb.39:
	v_add_f32_e32 v2, 0xc016cbe4, v4
                                        ; implicit-def: $vgpr9
                                        ; implicit-def: $vgpr8
	s_delay_alu instid0(VALU_DEP_1) | instskip(NEXT) | instid1(VALU_DEP_1)
	v_and_b32_e32 v3, 0x7fffffff, v2
	v_lshrrev_b32_e32 v11, 23, v3
	v_cmp_ngt_f32_e64 s2, 0x48000000, |v2|
	s_and_saveexec_b32 s0, s2
	s_delay_alu instid0(SALU_CYCLE_1)
	s_xor_b32 s6, exec_lo, s0
	s_cbranch_execz .LBB13_41
; %bb.40:
	s_mov_b32 s0, 0x7fffff
	v_mov_b32_e32 v9, 0
	v_and_or_b32 v8, v3, s0, 0x800000
	s_mov_b64 s[0:1], 0xfe5163ab
	s_delay_alu instid0(VALU_DEP_1) | instid1(SALU_CYCLE_1)
	v_mul_u64_e32 v[12:13], s[0:1], v[8:9]
	s_delay_alu instid0(VALU_DEP_1) | instskip(SKIP_2) | instid1(VALU_DEP_3)
	v_dual_mov_b32 v14, v13 :: v_dual_mov_b32 v15, v9
	v_dual_mov_b32 v17, v9 :: v_dual_mov_b32 v19, v9
	;; [unrolled: 1-line block ×3, first 2 shown]
	v_mad_nc_u64_u32 v[14:15], 0x3c439041, v8, v[14:15]
	v_add_nc_u32_e32 v13, 0xffffff88, v11
	v_mov_b32_e32 v25, v9
	s_delay_alu instid0(VALU_DEP_2) | instskip(NEXT) | instid1(VALU_DEP_4)
	v_cmp_lt_u32_e32 vcc_lo, 63, v13
	v_mov_b32_e32 v16, v15
	v_cndmask_b32_e64 v15, 0, 0xffffffc0, vcc_lo
	s_delay_alu instid0(VALU_DEP_2) | instskip(NEXT) | instid1(VALU_DEP_2)
	v_mad_nc_u64_u32 v[16:17], 0xdb629599, v8, v[16:17]
	v_add_nc_u32_e32 v13, v15, v13
	s_delay_alu instid0(VALU_DEP_1) | instskip(NEXT) | instid1(VALU_DEP_3)
	v_cmp_lt_u32_e64 s0, 31, v13
	v_mov_b32_e32 v18, v17
	s_delay_alu instid0(VALU_DEP_2) | instskip(NEXT) | instid1(VALU_DEP_2)
	v_cndmask_b32_e64 v15, 0, 0xffffffe0, s0
	v_mad_nc_u64_u32 v[18:19], 0xf534ddc0, v8, v[18:19]
	s_delay_alu instid0(VALU_DEP_1) | instskip(NEXT) | instid1(VALU_DEP_1)
	v_dual_mov_b32 v20, v19 :: v_dual_cndmask_b32 v14, v18, v14, vcc_lo
	v_mad_nc_u64_u32 v[20:21], 0xfc2757d1, v8, v[20:21]
	s_delay_alu instid0(VALU_DEP_1) | instskip(NEXT) | instid1(VALU_DEP_1)
	v_dual_mov_b32 v22, v21 :: v_dual_cndmask_b32 v19, v20, v16
	v_mad_nc_u64_u32 v[22:23], 0x4e441529, v8, v[22:23]
	s_delay_alu instid0(VALU_DEP_1) | instskip(NEXT) | instid1(VALU_DEP_1)
	v_dual_mov_b32 v24, v23 :: v_dual_cndmask_b32 v17, v22, v18
	v_mad_nc_u64_u32 v[8:9], 0xa2f9836e, v8, v[24:25]
	s_delay_alu instid0(VALU_DEP_1) | instskip(NEXT) | instid1(VALU_DEP_1)
	v_dual_cndmask_b32 v8, v8, v20 :: v_dual_add_nc_u32 v13, v15, v13
	v_cmp_lt_u32_e64 s1, 31, v13
	s_delay_alu instid0(VALU_DEP_3) | instskip(NEXT) | instid1(VALU_DEP_2)
	v_cndmask_b32_e32 v9, v9, v22, vcc_lo
	v_cndmask_b32_e64 v15, 0, 0xffffffe0, s1
	s_delay_alu instid0(VALU_DEP_1) | instskip(NEXT) | instid1(VALU_DEP_3)
	v_add_nc_u32_e32 v13, v15, v13
	v_dual_cndmask_b32 v15, v8, v17, s0 :: v_dual_cndmask_b32 v8, v9, v8, s0
	v_dual_cndmask_b32 v9, v17, v19, s0 :: v_dual_cndmask_b32 v18, v19, v14, s0
	s_delay_alu instid0(VALU_DEP_2) | instskip(NEXT) | instid1(VALU_DEP_2)
	v_dual_sub_nc_u32 v17, 32, v13 :: v_dual_cndmask_b32 v8, v8, v15, s1
	v_dual_cndmask_b32 v15, v15, v9, s1 :: v_dual_cndmask_b32 v9, v9, v18, s1
	v_cndmask_b32_e32 v12, v16, v12, vcc_lo
	v_cmp_eq_u32_e32 vcc_lo, 0, v13
	s_delay_alu instid0(VALU_DEP_3) | instskip(NEXT) | instid1(VALU_DEP_4)
	v_alignbit_b32 v19, v8, v15, v17
	v_alignbit_b32 v16, v15, v9, v17
	s_delay_alu instid0(VALU_DEP_1) | instskip(SKIP_1) | instid1(VALU_DEP_2)
	v_dual_cndmask_b32 v8, v19, v8 :: v_dual_cndmask_b32 v13, v16, v15
	v_cndmask_b32_e64 v12, v14, v12, s0
	v_bfe_u32 v14, v8, 29, 1
	s_delay_alu instid0(VALU_DEP_1) | instskip(NEXT) | instid1(VALU_DEP_4)
	v_dual_cndmask_b32 v12, v18, v12, s1 :: v_dual_sub_nc_u32 v16, 0, v14
	v_alignbit_b32 v15, v8, v13, 30
	s_delay_alu instid0(VALU_DEP_2) | instskip(NEXT) | instid1(VALU_DEP_1)
	v_alignbit_b32 v17, v9, v12, v17
	v_dual_cndmask_b32 v9, v17, v9, vcc_lo :: v_dual_bitop2_b32 v15, v15, v16 bitop3:0x14
	s_delay_alu instid0(VALU_DEP_1) | instskip(NEXT) | instid1(VALU_DEP_2)
	v_clz_i32_u32_e32 v17, v15
	v_alignbit_b32 v13, v13, v9, 30
	v_alignbit_b32 v9, v9, v12, 30
	s_delay_alu instid0(VALU_DEP_3) | instskip(NEXT) | instid1(VALU_DEP_1)
	v_min_u32_e32 v17, 32, v17
	v_dual_lshlrev_b32 v18, 23, v17 :: v_dual_bitop2_b32 v12, v13, v16 bitop3:0x14
	s_delay_alu instid0(VALU_DEP_3) | instskip(NEXT) | instid1(VALU_DEP_1)
	v_dual_sub_nc_u32 v13, 31, v17 :: v_dual_bitop2_b32 v9, v9, v16 bitop3:0x14
	v_alignbit_b32 v15, v15, v12, v13
	v_lshrrev_b32_e32 v16, 29, v8
	s_delay_alu instid0(VALU_DEP_3) | instskip(NEXT) | instid1(VALU_DEP_1)
	v_alignbit_b32 v9, v12, v9, v13
	v_alignbit_b32 v13, v15, v9, 9
	s_delay_alu instid0(VALU_DEP_3) | instskip(NEXT) | instid1(VALU_DEP_2)
	v_dual_lshrrev_b32 v15, 9, v15 :: v_dual_lshlrev_b32 v12, 31, v16
	v_clz_i32_u32_e32 v19, v13
	s_delay_alu instid0(VALU_DEP_2) | instskip(SKIP_1) | instid1(VALU_DEP_2)
	v_or_b32_e32 v16, 0.5, v12
	v_or_b32_e32 v12, 0x33000000, v12
	v_sub_nc_u32_e32 v16, v16, v18
	s_delay_alu instid0(VALU_DEP_4) | instskip(NEXT) | instid1(VALU_DEP_2)
	v_min_u32_e32 v18, 32, v19
	v_or_b32_e32 v15, v15, v16
	s_delay_alu instid0(VALU_DEP_2) | instskip(SKIP_1) | instid1(VALU_DEP_2)
	v_not_b32_e32 v16, v18
	v_add_lshl_u32 v17, v18, v17, 23
	v_alignbit_b32 v9, v13, v9, v16
	s_delay_alu instid0(VALU_DEP_2) | instskip(NEXT) | instid1(VALU_DEP_2)
	v_sub_nc_u32_e32 v12, v12, v17
	v_lshrrev_b32_e32 v9, 9, v9
	v_mul_f32_e32 v19, 0x3fc90fda, v15
	s_delay_alu instid0(VALU_DEP_2) | instskip(NEXT) | instid1(VALU_DEP_2)
	v_or_b32_e32 v9, v12, v9
	v_fma_f32 v13, 0x3fc90fda, v15, -v19
	s_delay_alu instid0(VALU_DEP_1) | instskip(NEXT) | instid1(VALU_DEP_1)
	v_fmamk_f32 v13, v15, 0x33a22168, v13
	v_fmac_f32_e32 v13, 0x3fc90fda, v9
	s_delay_alu instid0(VALU_DEP_1) | instskip(NEXT) | instid1(VALU_DEP_1)
	v_dual_add_f32 v8, v19, v13 :: v_dual_lshrrev_b32 v9, 30, v8
	v_add_nc_u32_e32 v9, v14, v9
	s_or_saveexec_b32 s0, s6
	v_mul_f32_e64 v14, 0x3f22f983, |v2|
	s_xor_b32 exec_lo, exec_lo, s0
	s_branch .LBB13_42
.LBB13_41:
	s_or_saveexec_b32 s0, s6
	v_mul_f32_e64 v14, 0x3f22f983, |v2|
	s_xor_b32 exec_lo, exec_lo, s0
.LBB13_42:
	s_delay_alu instid0(VALU_DEP_1) | instskip(NEXT) | instid1(VALU_DEP_1)
	v_rndne_f32_e32 v9, v14
	v_fma_f32 v8, 0xbfc90fda, v9, |v2|
	s_delay_alu instid0(VALU_DEP_1) | instskip(NEXT) | instid1(VALU_DEP_1)
	v_fmamk_f32 v8, v9, 0xb3a22168, v8
	v_fmamk_f32 v8, v9, 0xa7c234c4, v8
	v_cvt_i32_f32_e32 v9, v9
; %bb.43:
	s_or_b32 exec_lo, exec_lo, s0
                                        ; implicit-def: $vgpr13
                                        ; implicit-def: $vgpr12
	s_and_saveexec_b32 s0, s2
	s_delay_alu instid0(SALU_CYCLE_1)
	s_xor_b32 s2, exec_lo, s0
	s_cbranch_execz .LBB13_45
; %bb.44:
	s_mov_b32 s0, 0x7fffff
	v_mov_b32_e32 v13, 0
	v_and_or_b32 v12, v3, s0, 0x800000
	s_mov_b64 s[0:1], 0xfe5163ab
	v_add_nc_u32_e32 v11, 0xffffff88, v11
	s_delay_alu instid0(VALU_DEP_2) | instskip(NEXT) | instid1(VALU_DEP_2)
	v_mul_u64_e32 v[14:15], s[0:1], v[12:13]
	v_cmp_lt_u32_e32 vcc_lo, 63, v11
	s_delay_alu instid0(VALU_DEP_2) | instskip(SKIP_2) | instid1(VALU_DEP_3)
	v_dual_mov_b32 v16, v15 :: v_dual_mov_b32 v17, v13
	v_dual_mov_b32 v19, v13 :: v_dual_mov_b32 v21, v13
	;; [unrolled: 1-line block ×3, first 2 shown]
	v_mad_nc_u64_u32 v[16:17], 0x3c439041, v12, v[16:17]
	v_cndmask_b32_e64 v15, 0, 0xffffffc0, vcc_lo
	s_delay_alu instid0(VALU_DEP_1) | instskip(NEXT) | instid1(VALU_DEP_3)
	v_dual_mov_b32 v27, v13 :: v_dual_add_nc_u32 v11, v15, v11
	v_mov_b32_e32 v18, v17
	s_delay_alu instid0(VALU_DEP_2) | instskip(NEXT) | instid1(VALU_DEP_2)
	v_cmp_lt_u32_e64 s0, 31, v11
	v_mad_nc_u64_u32 v[18:19], 0xdb629599, v12, v[18:19]
	s_delay_alu instid0(VALU_DEP_2) | instskip(NEXT) | instid1(VALU_DEP_1)
	v_cndmask_b32_e64 v15, 0, 0xffffffe0, s0
	v_add_nc_u32_e32 v11, v15, v11
	s_delay_alu instid0(VALU_DEP_3) | instskip(NEXT) | instid1(VALU_DEP_2)
	v_mov_b32_e32 v20, v19
	v_cmp_lt_u32_e64 s1, 31, v11
	v_cndmask_b32_e32 v14, v18, v14, vcc_lo
	s_delay_alu instid0(VALU_DEP_3) | instskip(NEXT) | instid1(VALU_DEP_3)
	v_mad_nc_u64_u32 v[20:21], 0xf534ddc0, v12, v[20:21]
	v_cndmask_b32_e64 v15, 0, 0xffffffe0, s1
	s_delay_alu instid0(VALU_DEP_1) | instskip(NEXT) | instid1(VALU_DEP_3)
	v_dual_add_nc_u32 v11, v15, v11 :: v_dual_cndmask_b32 v15, v20, v16, vcc_lo
	v_mov_b32_e32 v22, v21
	s_delay_alu instid0(VALU_DEP_1) | instskip(NEXT) | instid1(VALU_DEP_1)
	v_mad_nc_u64_u32 v[22:23], 0xfc2757d1, v12, v[22:23]
	v_dual_mov_b32 v24, v23 :: v_dual_cndmask_b32 v19, v22, v18
	s_delay_alu instid0(VALU_DEP_1) | instskip(NEXT) | instid1(VALU_DEP_1)
	v_mad_nc_u64_u32 v[24:25], 0x4e441529, v12, v[24:25]
	v_dual_mov_b32 v26, v25 :: v_dual_cndmask_b32 v17, v24, v20
	s_delay_alu instid0(VALU_DEP_1) | instskip(NEXT) | instid1(VALU_DEP_1)
	v_mad_nc_u64_u32 v[12:13], 0xa2f9836e, v12, v[26:27]
	v_dual_cndmask_b32 v12, v12, v22 :: v_dual_cndmask_b32 v13, v13, v24
	v_cmp_eq_u32_e32 vcc_lo, 0, v11
	s_delay_alu instid0(VALU_DEP_2) | instskip(SKIP_2) | instid1(VALU_DEP_3)
	v_dual_cndmask_b32 v16, v12, v17, s0 :: v_dual_cndmask_b32 v12, v13, v12, s0
	v_cndmask_b32_e64 v13, v17, v19, s0
	v_sub_nc_u32_e32 v17, 32, v11
	v_dual_cndmask_b32 v19, v19, v15, s0 :: v_dual_cndmask_b32 v12, v12, v16, s1
	s_delay_alu instid0(VALU_DEP_3) | instskip(NEXT) | instid1(VALU_DEP_1)
	v_cndmask_b32_e64 v16, v16, v13, s1
	v_alignbit_b32 v20, v12, v16, v17
	s_delay_alu instid0(VALU_DEP_1) | instskip(NEXT) | instid1(VALU_DEP_1)
	v_dual_cndmask_b32 v13, v13, v19, s1 :: v_dual_cndmask_b32 v11, v20, v12, vcc_lo
	v_alignbit_b32 v18, v16, v13, v17
	v_cndmask_b32_e64 v12, v15, v14, s0
	s_delay_alu instid0(VALU_DEP_3) | instskip(NEXT) | instid1(VALU_DEP_3)
	v_bfe_u32 v15, v11, 29, 1
	v_cndmask_b32_e32 v14, v18, v16, vcc_lo
	s_delay_alu instid0(VALU_DEP_2) | instskip(NEXT) | instid1(VALU_DEP_2)
	v_dual_cndmask_b32 v12, v19, v12, s1 :: v_dual_sub_nc_u32 v18, 0, v15
	v_alignbit_b32 v16, v11, v14, 30
	s_delay_alu instid0(VALU_DEP_2) | instskip(NEXT) | instid1(VALU_DEP_1)
	v_alignbit_b32 v17, v13, v12, v17
	v_dual_cndmask_b32 v13, v17, v13, vcc_lo :: v_dual_bitop2_b32 v16, v16, v18 bitop3:0x14
	s_delay_alu instid0(VALU_DEP_1) | instskip(NEXT) | instid1(VALU_DEP_2)
	v_clz_i32_u32_e32 v17, v16
	v_alignbit_b32 v14, v14, v13, 30
	v_alignbit_b32 v12, v13, v12, 30
	s_delay_alu instid0(VALU_DEP_3) | instskip(NEXT) | instid1(VALU_DEP_3)
	v_min_u32_e32 v17, 32, v17
	v_xor_b32_e32 v13, v14, v18
	s_delay_alu instid0(VALU_DEP_3) | instskip(NEXT) | instid1(VALU_DEP_3)
	v_dual_lshrrev_b32 v18, 29, v11 :: v_dual_bitop2_b32 v12, v12, v18 bitop3:0x14
	v_dual_lshrrev_b32 v11, 30, v11 :: v_dual_sub_nc_u32 v14, 31, v17
	v_lshlrev_b32_e32 v19, 23, v17
	s_delay_alu instid0(VALU_DEP_2) | instskip(NEXT) | instid1(VALU_DEP_4)
	v_alignbit_b32 v16, v16, v13, v14
	v_alignbit_b32 v12, v13, v12, v14
	v_lshlrev_b32_e32 v13, 31, v18
	s_delay_alu instid0(VALU_DEP_2) | instskip(NEXT) | instid1(VALU_DEP_2)
	v_alignbit_b32 v14, v16, v12, 9
	v_dual_lshrrev_b32 v16, 9, v16 :: v_dual_bitop2_b32 v18, 0.5, v13 bitop3:0x54
	v_or_b32_e32 v13, 0x33000000, v13
	s_delay_alu instid0(VALU_DEP_3) | instskip(NEXT) | instid1(VALU_DEP_3)
	v_clz_i32_u32_e32 v20, v14
	v_sub_nc_u32_e32 v18, v18, v19
	s_delay_alu instid0(VALU_DEP_2) | instskip(NEXT) | instid1(VALU_DEP_1)
	v_min_u32_e32 v19, 32, v20
	v_add_lshl_u32 v17, v19, v17, 23
	s_delay_alu instid0(VALU_DEP_1) | instskip(SKIP_1) | instid1(VALU_DEP_1)
	v_dual_sub_nc_u32 v13, v13, v17 :: v_dual_bitop2_b32 v16, v16, v18 bitop3:0x54
	v_not_b32_e32 v18, v19
	v_alignbit_b32 v12, v14, v12, v18
	s_delay_alu instid0(VALU_DEP_1) | instskip(NEXT) | instid1(VALU_DEP_4)
	v_lshrrev_b32_e32 v12, 9, v12
	v_mul_f32_e32 v20, 0x3fc90fda, v16
	s_delay_alu instid0(VALU_DEP_2) | instskip(NEXT) | instid1(VALU_DEP_2)
	v_or_b32_e32 v12, v13, v12
	v_fma_f32 v14, 0x3fc90fda, v16, -v20
	s_delay_alu instid0(VALU_DEP_1) | instskip(NEXT) | instid1(VALU_DEP_1)
	v_dual_fmamk_f32 v14, v16, 0x33a22168, v14 :: v_dual_add_nc_u32 v13, v15, v11
	v_fmac_f32_e32 v14, 0x3fc90fda, v12
	s_delay_alu instid0(VALU_DEP_1)
	v_add_f32_e32 v12, v20, v14
                                        ; implicit-def: $vgpr14
	s_and_not1_saveexec_b32 s0, s2
	s_cbranch_execnz .LBB13_46
	s_branch .LBB13_47
.LBB13_45:
	s_and_not1_saveexec_b32 s0, s2
.LBB13_46:
	v_rndne_f32_e32 v11, v14
	s_delay_alu instid0(VALU_DEP_1) | instskip(SKIP_1) | instid1(VALU_DEP_2)
	v_fma_f32 v12, 0xbfc90fda, v11, |v2|
	v_cvt_i32_f32_e32 v13, v11
	v_fmamk_f32 v12, v11, 0xb3a22168, v12
	s_delay_alu instid0(VALU_DEP_1)
	v_fmamk_f32 v12, v11, 0xa7c234c4, v12
.LBB13_47:
	s_or_b32 exec_lo, exec_lo, s0
	v_div_scale_f32 v11, null, v4, v4, 0x40a00000
	v_div_scale_f32 v16, vcc_lo, 0x40a00000, v4, 0x40a00000
	s_mov_b32 s0, 0xb94c1982
	v_rcp_f32_e32 v14, v11
	v_mul_f32_e32 v23, 0x4f800000, v4
	s_mov_b32 s1, 0x37d75334
	v_and_b32_e32 v18, 1, v13
	v_xor_b32_e32 v3, v3, v2
	s_delay_alu instid0(TRANS32_DEP_1) | instskip(NEXT) | instid1(VALU_DEP_1)
	v_fma_f32 v15, -v11, v14, 1.0
	v_fmac_f32_e32 v14, v15, v14
	s_delay_alu instid0(VALU_DEP_1) | instskip(NEXT) | instid1(VALU_DEP_1)
	v_mul_f32_e32 v15, v16, v14
	v_fma_f32 v17, -v11, v15, v16
	s_delay_alu instid0(VALU_DEP_1) | instskip(NEXT) | instid1(VALU_DEP_1)
	v_dual_fmac_f32 v15, v17, v14 :: v_dual_mul_f32 v17, v12, v12
	v_fma_f32 v11, -v11, v15, v16
	s_delay_alu instid0(VALU_DEP_2) | instskip(NEXT) | instid1(VALU_DEP_2)
	v_fmaak_f32 v26, s0, v17, 0x3c0881c4
	v_div_fmas_f32 v11, v11, v14, v15
	v_dual_mul_f32 v14, v8, v8 :: v_dual_bitop2_b32 v15, 1, v9 bitop3:0x40
	v_lshlrev_b32_e32 v9, 30, v9
	s_delay_alu instid0(VALU_DEP_3) | instskip(NEXT) | instid1(VALU_DEP_3)
	v_div_fixup_f32 v11, v11, v4, 0x40a00000
	v_fmaak_f32 v24, s0, v14, 0x3c0881c4
	v_cmp_gt_f32_e64 s0, 0xf800000, v4
	v_cmp_eq_u32_e64 s2, 0, v15
	v_and_b32_e32 v9, 0x80000000, v9
	v_dual_mul_f32 v16, v11, v11 :: v_dual_lshlrev_b32 v13, 30, v13
	s_delay_alu instid0(VALU_DEP_4) | instskip(SKIP_2) | instid1(VALU_DEP_4)
	v_cndmask_b32_e64 v4, v4, v23, s0
	v_fmaak_f32 v26, v17, v26, 0xbe2aaa9d
	v_fmaak_f32 v24, v14, v24, 0xbe2aaa9d
	;; [unrolled: 1-line block ×4, first 2 shown]
	v_sqrt_f32_e32 v30, v4
	v_dual_fmaak_f32 v19, 0, v16, 0x3d513fd3 :: v_dual_mul_f32 v26, v17, v26
	s_delay_alu instid0(VALU_DEP_3) | instskip(NEXT) | instid1(VALU_DEP_3)
	v_fmaak_f32 v20, v16, v20, 0x3d8cfeeb
	v_fmaak_f32 v22, v16, v22, 0x3d95ca45
	;; [unrolled: 1-line block ×3, first 2 shown]
	s_delay_alu instid0(VALU_DEP_4)
	v_dual_fmaak_f32 v19, v16, v19, 0x409f6dae :: v_dual_mul_f32 v24, v14, v24
	s_delay_alu instid0(TRANS32_DEP_1) | instid1(VALU_DEP_4)
	v_dual_fmaak_f32 v20, v16, v20, 0x3f8d754e :: v_dual_add_nc_u32 v35, 1, v30
	s_delay_alu instid0(VALU_DEP_4) | instskip(NEXT) | instid1(VALU_DEP_4)
	v_fmaak_f32 v22, v16, v22, 0x3f9047f6
	v_fmaak_f32 v21, v16, v21, 0x44840e5d
	s_delay_alu instid0(VALU_DEP_4) | instskip(NEXT) | instid1(VALU_DEP_4)
	v_dual_fmaak_f32 v25, s1, v14, 0xbab64f3b :: v_dual_fmac_f32 v8, v8, v24
	v_fmaak_f32 v20, v16, v20, 0x40a25d18
	s_delay_alu instid0(VALU_DEP_4) | instskip(NEXT) | instid1(VALU_DEP_4)
	v_fmaak_f32 v22, v16, v22, 0x40a39628
	v_fmaak_f32 v21, v16, v21, 0x459bd349
	v_dual_fmaak_f32 v27, s1, v17, 0xbab64f3b :: v_dual_fmac_f32 v12, v12, v26
	s_delay_alu instid0(VALU_DEP_4) | instskip(NEXT) | instid1(VALU_DEP_4)
	v_fmaak_f32 v20, v16, v20, 0x410665cf
	v_fmaak_f32 v22, v16, v22, 0x4106c8e4
	s_delay_alu instid0(VALU_DEP_4) | instskip(NEXT) | instid1(VALU_DEP_3)
	v_fmaak_f32 v21, v16, v21, 0x46156947
	v_fmaak_f32 v20, v16, v20, 0x40a6b6ea
	s_delay_alu instid0(VALU_DEP_3) | instskip(NEXT) | instid1(VALU_DEP_3)
	v_fmaak_f32 v22, v16, v22, 0x40a6dd51
	v_fmaak_f32 v21, v16, v21, 0x45f9e855
	s_delay_alu instid0(VALU_DEP_3) | instskip(NEXT) | instid1(VALU_DEP_3)
	v_fma_f32 v20, v16, v20, 1.0
	v_fma_f32 v22, v16, v22, 1.0
	s_delay_alu instid0(VALU_DEP_3) | instskip(NEXT) | instid1(VALU_DEP_2)
	v_fmaak_f32 v21, v16, v21, 0x4530a316
	v_div_scale_f32 v33, vcc_lo, v22, v20, v22
	v_fmaak_f32 v19, v16, v19, 0x4297a5cd
	s_delay_alu instid0(VALU_DEP_3) | instskip(NEXT) | instid1(VALU_DEP_2)
	v_fmaak_f32 v21, v16, v21, 0x43a80bfb
	v_fmaak_f32 v19, v16, v19, 0x43b763ca
	s_delay_alu instid0(VALU_DEP_1) | instskip(NEXT) | instid1(VALU_DEP_1)
	v_fmaak_f32 v19, v16, v19, 0x4431b6ce
	v_fmaak_f32 v19, v16, v19, 0x44155f56
	s_delay_alu instid0(VALU_DEP_1) | instskip(NEXT) | instid1(VALU_DEP_1)
	v_fmaak_f32 v19, v16, v19, 0x4353b052
	v_fmaak_f32 v16, v16, v19, 0x41c9a7fa
	v_div_scale_f32 v19, null, v20, v20, v22
	s_delay_alu instid0(VALU_DEP_2) | instskip(NEXT) | instid1(VALU_DEP_2)
	v_div_scale_f32 v23, null, v21, v21, v16
	v_rcp_f32_e32 v28, v19
	s_delay_alu instid0(VALU_DEP_1) | instskip(NEXT) | instid1(TRANS32_DEP_2)
	v_rcp_f32_e32 v29, v23
	v_fma_f32 v31, -v19, v28, 1.0
	s_delay_alu instid0(TRANS32_DEP_1) | instskip(NEXT) | instid1(VALU_DEP_2)
	v_fma_f32 v32, -v23, v29, 1.0
	v_fmac_f32_e32 v28, v31, v28
	v_div_scale_f32 v31, s1, v16, v21, v16
	s_delay_alu instid0(VALU_DEP_3) | instskip(NEXT) | instid1(VALU_DEP_1)
	v_dual_fmac_f32 v29, v32, v29 :: v_dual_add_nc_u32 v32, -1, v30
	v_dual_mul_f32 v34, v33, v28 :: v_dual_mul_f32 v36, v31, v29
	s_delay_alu instid0(VALU_DEP_1) | instskip(SKIP_1) | instid1(VALU_DEP_4)
	v_fma_f32 v24, -v19, v34, v33
	v_fmaak_f32 v25, v14, v25, 0x3d2aabf7
	v_fma_f32 v26, -v32, v30, v4
	s_delay_alu instid0(VALU_DEP_2) | instskip(NEXT) | instid1(VALU_DEP_1)
	v_dual_fmac_f32 v34, v24, v28 :: v_dual_fmaak_f32 v25, v14, v25, 0xbf000004
	v_fma_f32 v14, v14, v25, 1.0
	v_fma_f32 v25, -v23, v36, v31
	s_delay_alu instid0(VALU_DEP_2) | instskip(NEXT) | instid1(VALU_DEP_2)
	v_dual_fma_f32 v24, -v35, v30, v4 :: v_dual_cndmask_b32 v8, v14, v8, s2
	v_fmac_f32_e32 v36, v25, v29
	v_cmp_eq_u32_e64 s2, 0, v18
	v_fma_f32 v14, -v19, v34, v33
	s_delay_alu instid0(VALU_DEP_4) | instskip(NEXT) | instid1(VALU_DEP_2)
	v_xor3_b32 v3, v3, v9, v8
	v_div_fmas_f32 v14, v14, v28, v34
	s_mov_b32 vcc_lo, s1
	v_cmp_lt_f32_e64 s1, 0, v24
	v_fma_f32 v15, -v23, v36, v31
	s_delay_alu instid0(VALU_DEP_1) | instskip(SKIP_1) | instid1(VALU_DEP_2)
	v_div_fmas_f32 v15, v15, v29, v36
	v_cmp_ge_f32_e32 vcc_lo, 0, v26
	v_div_fixup_f32 v8, v15, v21, v16
	s_delay_alu instid0(VALU_DEP_1) | instskip(NEXT) | instid1(VALU_DEP_1)
	v_dual_mul_f32 v8, v11, v8 :: v_dual_fmaak_f32 v27, v17, v27, 0x3d2aabf7
	v_fmaak_f32 v27, v17, v27, 0xbf000004
	s_delay_alu instid0(VALU_DEP_1) | instskip(NEXT) | instid1(VALU_DEP_1)
	v_fma_f32 v17, v17, v27, 1.0
	v_dual_cndmask_b32 v12, -v12, v17, s2 :: v_dual_cndmask_b32 v17, v30, v32, vcc_lo
	v_cmp_class_f32_e64 vcc_lo, v2, 0x1f8
	s_delay_alu instid0(VALU_DEP_2) | instskip(NEXT) | instid1(VALU_DEP_3)
	v_bitop3_b32 v2, v13, v12, 0x80000000 bitop3:0x6c
	v_cndmask_b32_e64 v9, v17, v35, s1
	v_cndmask_b32_e32 v3, 0x7fc00000, v3, vcc_lo
	v_div_fixup_f32 v12, v14, v20, v22
	s_delay_alu instid0(VALU_DEP_4) | instskip(NEXT) | instid1(VALU_DEP_4)
	v_cndmask_b32_e32 v2, 0x7fc00000, v2, vcc_lo
	v_mul_f32_e32 v11, 0x37800000, v9
	v_cmp_class_f32_e64 vcc_lo, v4, 0x260
	s_delay_alu instid0(VALU_DEP_2) | instskip(NEXT) | instid1(VALU_DEP_1)
	v_dual_mul_f32 v2, v8, v2 :: v_dual_cndmask_b32 v8, v9, v11, s0
	v_fmac_f32_e32 v2, v12, v3
	s_delay_alu instid0(VALU_DEP_1) | instskip(NEXT) | instid1(VALU_DEP_1)
	v_dual_cndmask_b32 v3, v8, v4 :: v_dual_mul_f32 v2, 0x3f4c422a, v2
	v_div_scale_f32 v4, null, v3, v3, v2
	s_delay_alu instid0(VALU_DEP_1) | instskip(SKIP_1) | instid1(TRANS32_DEP_1)
	v_rcp_f32_e32 v8, v4
	v_nop
	v_fma_f32 v9, -v4, v8, 1.0
	s_delay_alu instid0(VALU_DEP_1) | instskip(SKIP_1) | instid1(VALU_DEP_1)
	v_fmac_f32_e32 v8, v9, v8
	v_div_scale_f32 v9, vcc_lo, v2, v3, v2
	v_mul_f32_e32 v11, v9, v8
	s_delay_alu instid0(VALU_DEP_1) | instskip(NEXT) | instid1(VALU_DEP_1)
	v_fma_f32 v12, -v4, v11, v9
	v_fmac_f32_e32 v11, v12, v8
	s_delay_alu instid0(VALU_DEP_1) | instskip(NEXT) | instid1(VALU_DEP_1)
	v_fma_f32 v4, -v4, v11, v9
	v_div_fmas_f32 v4, v4, v8, v11
	s_delay_alu instid0(VALU_DEP_1)
	v_div_fixup_f32 v8, v4, v3, v2
.LBB13_48:
	s_or_b32 exec_lo, exec_lo, s3
	s_delay_alu instid0(SALU_CYCLE_1)
	s_mov_b32 s0, exec_lo
	v_cmpx_ge_f32_e32 0x40a00000, v5
	s_xor_b32 s3, exec_lo, s0
	s_cbranch_execz .LBB13_54
; %bb.49:
	v_mov_b32_e32 v9, 0xff800000
	s_mov_b32 s6, exec_lo
	v_cmpx_neq_f32_e32 0, v5
	s_cbranch_execz .LBB13_53
; %bb.50:
	v_mov_b32_e32 v9, 0x7fc00000
	s_mov_b32 s7, exec_lo
	v_cmpx_nge_f32_e32 0, v5
	s_cbranch_execz .LBB13_52
; %bb.51:
	v_mul_f32_e32 v2, v5, v5
	v_mov_b64_e32 v[12:13], 0x4c8c277d4e9695f3
	v_mov_b64_e32 v[16:17], 0x508bc61dd316b96b
	;; [unrolled: 1-line block ×4, first 2 shown]
	v_dual_fmaak_f32 v3, 0, v2, 0x4414934d :: v_dual_mul_f32 v14, 0, v2
	v_mov_b64_e32 v[22:23], 0x5832585252d295d0
	v_cmp_gt_f32_e64 s0, 0x800000, v5
	v_div_scale_f32 v26, s2, -1.0, v5, -1.0
	s_delay_alu instid0(VALU_DEP_4) | instskip(SKIP_1) | instid1(VALU_DEP_4)
	v_fmaak_f32 v3, v2, v3, 0x48660b06
	v_fmaak_f32 v4, 0, v2, 0x441b3589
	v_cndmask_b32_e64 v9, 0, 32, s0
	s_delay_alu instid0(VALU_DEP_2) | instskip(NEXT) | instid1(VALU_DEP_2)
	v_dual_mul_f32 v15, v2, v3 :: v_dual_fmaak_f32 v4, v2, v4, 0x487af6d0
	v_ldexp_f32 v9, v5, v9
	s_delay_alu instid0(VALU_DEP_2) | instskip(NEXT) | instid1(VALU_DEP_3)
	v_pk_add_f32 v[12:13], v[14:15], v[12:13]
	v_fmaak_f32 v3, v2, v4, 0x4c9f4aa7
	s_delay_alu instid0(VALU_DEP_3) | instskip(NEXT) | instid1(VALU_DEP_1)
	v_log_f32_e32 v9, v9
	v_fmaak_f32 v3, v2, v3, 0x50a509fc
	s_delay_alu instid0(VALU_DEP_1) | instskip(SKIP_2) | instid1(VALU_DEP_3)
	v_pk_fma_f32 v[12:13], v[2:3], v[12:13], v[16:17] op_sel_hi:[0,1,1]
	v_mul_f32_e32 v15, v2, v3
	v_mov_b64_e32 v[16:17], 0x580d1937d9e700d2
	v_pk_fma_f32 v[12:13], v[2:3], v[12:13], v[18:19] op_sel_hi:[0,1,1]
	s_delay_alu instid0(VALU_DEP_3) | instskip(SKIP_2) | instid1(VALU_DEP_4)
	v_pk_add_f32 v[14:15], v[14:15], v[20:21]
	v_mov_b64_e32 v[18:19], 0x5b741f1e5c33cd68
	v_mov_b64_e32 v[20:21], 0x5b9f0600d6845497
	v_pk_fma_f32 v[12:13], v[2:3], v[12:13], v[16:17] op_sel_hi:[0,1,1]
	s_delay_alu instid0(VALU_DEP_4) | instskip(SKIP_2) | instid1(VALU_DEP_4)
	v_pk_fma_f32 v[14:15], v[2:3], v[14:15], v[22:23] op_sel_hi:[0,1,1]
	v_mov_b64_e32 v[16:17], 0x5e5c878ddd2cf20b
	v_mov_b64_e32 v[22:23], 0x5e93bcac59515a15
	v_pk_fma_f32 v[12:13], v[2:3], v[12:13], v[18:19] op_sel_hi:[0,1,1]
	s_delay_alu instid0(VALU_DEP_4) | instskip(SKIP_1) | instid1(VALU_DEP_3)
	v_pk_fma_f32 v[14:15], v[2:3], v[14:15], v[20:21] op_sel_hi:[0,1,1]
	v_div_scale_f32 v18, null, v5, v5, -1.0
	v_pk_fma_f32 v[12:13], v[2:3], v[12:13], v[16:17] op_sel_hi:[0,1,1]
	s_delay_alu instid0(VALU_DEP_3) | instskip(NEXT) | instid1(VALU_DEP_2)
	v_pk_fma_f32 v[14:15], v[2:3], v[14:15], v[22:23] op_sel_hi:[0,1,1]
	v_div_scale_f32 v3, null, v13, v13, v12
	s_delay_alu instid0(VALU_DEP_2) | instskip(SKIP_1) | instid1(VALU_DEP_3)
	v_div_scale_f32 v4, null, v15, v15, v14
	v_div_scale_f32 v20, vcc_lo, v12, v13, v12
	v_rcp_f32_e32 v11, v3
	s_delay_alu instid0(VALU_DEP_2) | instskip(SKIP_1) | instid1(TRANS32_DEP_2)
	v_rcp_f32_e32 v16, v4
	v_div_scale_f32 v21, s1, v14, v15, v14
	v_fma_f32 v17, -v3, v11, 1.0
	s_delay_alu instid0(TRANS32_DEP_1) | instskip(NEXT) | instid1(VALU_DEP_1)
	v_fma_f32 v19, -v4, v16, 1.0
	v_dual_fmac_f32 v11, v17, v11 :: v_dual_fmac_f32 v16, v19, v16
	v_rcp_f32_e32 v19, v18
	s_delay_alu instid0(VALU_DEP_1) | instskip(NEXT) | instid1(TRANS32_DEP_1)
	v_dual_mul_f32 v17, v20, v11 :: v_dual_mul_f32 v22, v21, v16
	v_fma_f32 v23, -v18, v19, 1.0
	s_delay_alu instid0(VALU_DEP_2) | instskip(NEXT) | instid1(VALU_DEP_2)
	v_dual_fma_f32 v24, -v3, v17, v20 :: v_dual_fma_f32 v25, -v4, v22, v21
	v_fmac_f32_e32 v19, v23, v19
	s_delay_alu instid0(VALU_DEP_2) | instskip(SKIP_1) | instid1(VALU_DEP_2)
	v_dual_fmac_f32 v17, v24, v11 :: v_dual_fmac_f32 v22, v25, v16
	v_mul_f32_e32 v27, 0x3f317217, v9
	v_dual_fma_f32 v3, -v3, v17, v20 :: v_dual_fma_f32 v4, -v4, v22, v21
	s_delay_alu instid0(VALU_DEP_4) | instskip(NEXT) | instid1(VALU_DEP_3)
	v_mul_f32_e32 v20, v26, v19
	v_fma_f32 v23, 0x3f317217, v9, -v27
	s_delay_alu instid0(VALU_DEP_3)
	v_div_fmas_f32 v11, v3, v11, v17
	s_mov_b32 vcc_lo, s1
	v_div_fmas_f32 v3, v4, v16, v22
	v_mov_b64_e32 v[16:17], 0xc16ae95ac244dfb3
	v_fma_f32 v4, -v18, v20, v26
	v_cmp_gt_f32_e64 vcc_lo, 0x7f800000, |v9|
	s_delay_alu instid0(VALU_DEP_4) | instskip(NEXT) | instid1(VALU_DEP_3)
	v_div_fixup_f32 v14, v3, v15, v14
	v_fmac_f32_e32 v20, v4, v19
	v_pk_add_f32 v[2:3], v[2:3], v[16:17] op_sel_hi:[0,1]
	s_delay_alu instid0(VALU_DEP_3) | instskip(SKIP_1) | instid1(VALU_DEP_2)
	v_mul_f32_e32 v4, v5, v14
	v_cndmask_b32_e64 v14, 0, 0x41b17218, s0
	v_mul_f32_e32 v3, v3, v4
	s_delay_alu instid0(VALU_DEP_1) | instskip(NEXT) | instid1(VALU_DEP_1)
	v_dual_fmamk_f32 v21, v9, 0x3377d1cf, v23 :: v_dual_mul_f32 v2, v2, v3
	v_fmac_f32_e32 v21, 0x3f317217, v9
	s_delay_alu instid0(VALU_DEP_1) | instskip(SKIP_1) | instid1(VALU_DEP_1)
	v_dual_fma_f32 v15, -v18, v20, v26 :: v_dual_cndmask_b32 v9, v9, v21, vcc_lo
	s_mov_b32 vcc_lo, s2
	v_div_fmas_f32 v4, v15, v19, v20
	s_delay_alu instid0(VALU_DEP_2) | instskip(NEXT) | instid1(VALU_DEP_2)
	v_sub_f32_e32 v9, v9, v14
	v_div_fixup_f32 v3, v4, v5, -1.0
	s_delay_alu instid0(VALU_DEP_1) | instskip(SKIP_1) | instid1(VALU_DEP_2)
	v_fmac_f32_e32 v3, v9, v2
	v_div_fixup_f32 v2, v11, v13, v12
	v_mul_f32_e32 v9, 0x3f22f983, v3
	s_delay_alu instid0(VALU_DEP_1)
	v_fmac_f32_e32 v9, v5, v2
.LBB13_52:
	s_or_b32 exec_lo, exec_lo, s7
.LBB13_53:
	s_delay_alu instid0(SALU_CYCLE_1)
	s_or_b32 exec_lo, exec_lo, s6
                                        ; implicit-def: $vgpr2_vgpr3_vgpr4_vgpr5
.LBB13_54:
	s_and_not1_saveexec_b32 s3, s3
	s_cbranch_execz .LBB13_64
; %bb.55:
	v_add_f32_e32 v2, 0xc016cbe4, v5
                                        ; implicit-def: $vgpr9
                                        ; implicit-def: $vgpr4
	s_delay_alu instid0(VALU_DEP_1) | instskip(NEXT) | instid1(VALU_DEP_1)
	v_and_b32_e32 v3, 0x7fffffff, v2
	v_lshrrev_b32_e32 v11, 23, v3
	v_cmp_ngt_f32_e64 s2, 0x48000000, |v2|
	s_and_saveexec_b32 s0, s2
	s_delay_alu instid0(SALU_CYCLE_1)
	s_xor_b32 s6, exec_lo, s0
	s_cbranch_execz .LBB13_57
; %bb.56:
	s_mov_b32 s0, 0x7fffff
	v_mov_b32_e32 v13, 0
	v_and_or_b32 v12, v3, s0, 0x800000
	s_mov_b64 s[0:1], 0xfe5163ab
	s_delay_alu instid0(VALU_DEP_1) | instid1(SALU_CYCLE_1)
	v_mul_u64_e32 v[14:15], s[0:1], v[12:13]
	s_delay_alu instid0(VALU_DEP_1) | instskip(SKIP_2) | instid1(VALU_DEP_3)
	v_dual_mov_b32 v16, v15 :: v_dual_mov_b32 v17, v13
	v_dual_mov_b32 v19, v13 :: v_dual_add_nc_u32 v4, 0xffffff88, v11
	v_dual_mov_b32 v27, v13 :: v_dual_mov_b32 v21, v13
	v_mad_nc_u64_u32 v[16:17], 0x3c439041, v12, v[16:17]
	v_mov_b32_e32 v23, v13
	s_delay_alu instid0(VALU_DEP_4) | instskip(SKIP_3) | instid1(VALU_DEP_2)
	v_cmp_lt_u32_e32 vcc_lo, 63, v4
	v_mov_b32_e32 v25, v13
	v_cndmask_b32_e64 v9, 0, 0xffffffc0, vcc_lo
	v_mov_b32_e32 v18, v17
	v_add_nc_u32_e32 v4, v9, v4
	s_delay_alu instid0(VALU_DEP_2) | instskip(NEXT) | instid1(VALU_DEP_2)
	v_mad_nc_u64_u32 v[18:19], 0xdb629599, v12, v[18:19]
	v_cmp_lt_u32_e64 s0, 31, v4
	s_delay_alu instid0(VALU_DEP_1) | instskip(NEXT) | instid1(VALU_DEP_3)
	v_cndmask_b32_e64 v9, 0, 0xffffffe0, s0
	v_mov_b32_e32 v20, v19
	s_delay_alu instid0(VALU_DEP_1) | instskip(NEXT) | instid1(VALU_DEP_1)
	v_mad_nc_u64_u32 v[20:21], 0xf534ddc0, v12, v[20:21]
	v_mov_b32_e32 v22, v21
	s_delay_alu instid0(VALU_DEP_1) | instskip(NEXT) | instid1(VALU_DEP_1)
	v_mad_nc_u64_u32 v[22:23], 0xfc2757d1, v12, v[22:23]
	v_dual_mov_b32 v24, v23 :: v_dual_cndmask_b32 v17, v22, v18
	s_delay_alu instid0(VALU_DEP_1) | instskip(NEXT) | instid1(VALU_DEP_1)
	v_mad_nc_u64_u32 v[24:25], 0x4e441529, v12, v[24:25]
	v_dual_mov_b32 v26, v25 :: v_dual_cndmask_b32 v15, v24, v20
	s_delay_alu instid0(VALU_DEP_1) | instskip(NEXT) | instid1(VALU_DEP_1)
	v_mad_nc_u64_u32 v[12:13], 0xa2f9836e, v12, v[26:27]
	v_dual_add_nc_u32 v4, v9, v4 :: v_dual_cndmask_b32 v12, v12, v22, vcc_lo
	s_delay_alu instid0(VALU_DEP_1) | instskip(NEXT) | instid1(VALU_DEP_3)
	v_cmp_lt_u32_e64 s1, 31, v4
	v_cndmask_b32_e32 v13, v13, v24, vcc_lo
	s_delay_alu instid0(VALU_DEP_2) | instskip(NEXT) | instid1(VALU_DEP_1)
	v_cndmask_b32_e64 v9, 0, 0xffffffe0, s1
	v_add_nc_u32_e32 v4, v9, v4
	v_cndmask_b32_e32 v9, v20, v16, vcc_lo
	s_delay_alu instid0(VALU_DEP_4) | instskip(NEXT) | instid1(VALU_DEP_3)
	v_dual_cndmask_b32 v16, v12, v15, s0 :: v_dual_cndmask_b32 v12, v13, v12, s0
	v_dual_cndmask_b32 v13, v15, v17, s0 :: v_dual_sub_nc_u32 v15, 32, v4
	s_delay_alu instid0(VALU_DEP_2) | instskip(NEXT) | instid1(VALU_DEP_2)
	v_dual_cndmask_b32 v17, v17, v9, s0 :: v_dual_cndmask_b32 v12, v12, v16, s1
	v_cndmask_b32_e64 v16, v16, v13, s1
	s_delay_alu instid0(VALU_DEP_2) | instskip(NEXT) | instid1(VALU_DEP_2)
	v_cndmask_b32_e64 v13, v13, v17, s1
	v_alignbit_b32 v19, v12, v16, v15
	v_cndmask_b32_e32 v14, v18, v14, vcc_lo
	v_cmp_eq_u32_e32 vcc_lo, 0, v4
	s_delay_alu instid0(VALU_DEP_4) | instskip(NEXT) | instid1(VALU_DEP_3)
	v_alignbit_b32 v18, v16, v13, v15
	v_dual_cndmask_b32 v4, v19, v12, vcc_lo :: v_dual_cndmask_b32 v9, v9, v14, s0
	s_delay_alu instid0(VALU_DEP_2) | instskip(NEXT) | instid1(VALU_DEP_2)
	v_cndmask_b32_e32 v12, v18, v16, vcc_lo
	v_bfe_u32 v14, v4, 29, 1
	s_delay_alu instid0(VALU_DEP_3) | instskip(NEXT) | instid1(VALU_DEP_3)
	v_cndmask_b32_e64 v9, v17, v9, s1
	v_alignbit_b32 v16, v4, v12, 30
	s_delay_alu instid0(VALU_DEP_3) | instskip(NEXT) | instid1(VALU_DEP_3)
	v_sub_nc_u32_e32 v17, 0, v14
	v_alignbit_b32 v15, v13, v9, v15
	s_delay_alu instid0(VALU_DEP_2) | instskip(NEXT) | instid1(VALU_DEP_2)
	v_xor_b32_e32 v16, v16, v17
	v_cndmask_b32_e32 v13, v15, v13, vcc_lo
	s_delay_alu instid0(VALU_DEP_2) | instskip(NEXT) | instid1(VALU_DEP_2)
	v_clz_i32_u32_e32 v15, v16
	v_alignbit_b32 v12, v12, v13, 30
	v_alignbit_b32 v9, v13, v9, 30
	s_delay_alu instid0(VALU_DEP_3) | instskip(NEXT) | instid1(VALU_DEP_3)
	v_min_u32_e32 v15, 32, v15
	v_xor_b32_e32 v12, v12, v17
	s_delay_alu instid0(VALU_DEP_3) | instskip(NEXT) | instid1(VALU_DEP_3)
	v_dual_lshrrev_b32 v17, 29, v4 :: v_dual_bitop2_b32 v9, v9, v17 bitop3:0x14
	v_dual_sub_nc_u32 v13, 31, v15 :: v_dual_lshlrev_b32 v18, 23, v15
	s_delay_alu instid0(VALU_DEP_1) | instskip(NEXT) | instid1(VALU_DEP_3)
	v_alignbit_b32 v16, v16, v12, v13
	v_alignbit_b32 v9, v12, v9, v13
	s_delay_alu instid0(VALU_DEP_4) | instskip(NEXT) | instid1(VALU_DEP_2)
	v_lshlrev_b32_e32 v12, 31, v17
	v_alignbit_b32 v13, v16, v9, 9
	s_delay_alu instid0(VALU_DEP_2) | instskip(SKIP_2) | instid1(VALU_DEP_4)
	v_or_b32_e32 v17, 0.5, v12
	v_lshrrev_b32_e32 v16, 9, v16
	v_or_b32_e32 v12, 0x33000000, v12
	v_clz_i32_u32_e32 v19, v13
	s_delay_alu instid0(VALU_DEP_4) | instskip(NEXT) | instid1(VALU_DEP_2)
	v_sub_nc_u32_e32 v17, v17, v18
	v_min_u32_e32 v18, 32, v19
	s_delay_alu instid0(VALU_DEP_2) | instskip(NEXT) | instid1(VALU_DEP_2)
	v_or_b32_e32 v16, v16, v17
	v_not_b32_e32 v17, v18
	s_delay_alu instid0(VALU_DEP_2) | instskip(SKIP_1) | instid1(VALU_DEP_3)
	v_mul_f32_e32 v19, 0x3fc90fda, v16
	v_add_lshl_u32 v15, v18, v15, 23
	v_alignbit_b32 v9, v13, v9, v17
	s_delay_alu instid0(VALU_DEP_3) | instskip(NEXT) | instid1(VALU_DEP_2)
	v_fma_f32 v13, 0x3fc90fda, v16, -v19
	v_dual_sub_nc_u32 v12, v12, v15 :: v_dual_lshrrev_b32 v9, 9, v9
	s_delay_alu instid0(VALU_DEP_2) | instskip(NEXT) | instid1(VALU_DEP_2)
	v_fmamk_f32 v13, v16, 0x33a22168, v13
	v_or_b32_e32 v9, v12, v9
	s_delay_alu instid0(VALU_DEP_1) | instskip(NEXT) | instid1(VALU_DEP_1)
	v_fmac_f32_e32 v13, 0x3fc90fda, v9
	v_dual_add_f32 v4, v19, v13 :: v_dual_lshrrev_b32 v9, 30, v4
	s_delay_alu instid0(VALU_DEP_1)
	v_add_nc_u32_e32 v9, v14, v9
	s_or_saveexec_b32 s0, s6
	v_mul_f32_e64 v14, 0x3f22f983, |v2|
	s_xor_b32 exec_lo, exec_lo, s0
	s_branch .LBB13_58
.LBB13_57:
	s_or_saveexec_b32 s0, s6
	v_mul_f32_e64 v14, 0x3f22f983, |v2|
	s_xor_b32 exec_lo, exec_lo, s0
.LBB13_58:
	s_delay_alu instid0(VALU_DEP_1) | instskip(NEXT) | instid1(VALU_DEP_1)
	v_rndne_f32_e32 v9, v14
	v_fma_f32 v4, 0xbfc90fda, v9, |v2|
	s_delay_alu instid0(VALU_DEP_1) | instskip(NEXT) | instid1(VALU_DEP_1)
	v_fmamk_f32 v4, v9, 0xb3a22168, v4
	v_fmamk_f32 v4, v9, 0xa7c234c4, v4
	v_cvt_i32_f32_e32 v9, v9
; %bb.59:
	s_or_b32 exec_lo, exec_lo, s0
                                        ; implicit-def: $vgpr13
                                        ; implicit-def: $vgpr12
	s_and_saveexec_b32 s0, s2
	s_delay_alu instid0(SALU_CYCLE_1)
	s_xor_b32 s2, exec_lo, s0
	s_cbranch_execz .LBB13_61
; %bb.60:
	s_mov_b32 s0, 0x7fffff
	v_mov_b32_e32 v13, 0
	v_and_or_b32 v12, v3, s0, 0x800000
	s_mov_b64 s[0:1], 0xfe5163ab
	v_add_nc_u32_e32 v11, 0xffffff88, v11
	s_delay_alu instid0(VALU_DEP_2) | instskip(NEXT) | instid1(VALU_DEP_2)
	v_mul_u64_e32 v[14:15], s[0:1], v[12:13]
	v_cmp_lt_u32_e32 vcc_lo, 63, v11
	s_delay_alu instid0(VALU_DEP_2) | instskip(SKIP_2) | instid1(VALU_DEP_3)
	v_dual_mov_b32 v16, v15 :: v_dual_mov_b32 v17, v13
	v_dual_mov_b32 v19, v13 :: v_dual_mov_b32 v21, v13
	;; [unrolled: 1-line block ×3, first 2 shown]
	v_mad_nc_u64_u32 v[16:17], 0x3c439041, v12, v[16:17]
	v_cndmask_b32_e64 v15, 0, 0xffffffc0, vcc_lo
	s_delay_alu instid0(VALU_DEP_1) | instskip(NEXT) | instid1(VALU_DEP_3)
	v_dual_mov_b32 v27, v13 :: v_dual_add_nc_u32 v11, v15, v11
	v_mov_b32_e32 v18, v17
	s_delay_alu instid0(VALU_DEP_2) | instskip(NEXT) | instid1(VALU_DEP_2)
	v_cmp_lt_u32_e64 s0, 31, v11
	v_mad_nc_u64_u32 v[18:19], 0xdb629599, v12, v[18:19]
	s_delay_alu instid0(VALU_DEP_2) | instskip(NEXT) | instid1(VALU_DEP_1)
	v_cndmask_b32_e64 v15, 0, 0xffffffe0, s0
	v_add_nc_u32_e32 v11, v15, v11
	s_delay_alu instid0(VALU_DEP_3) | instskip(NEXT) | instid1(VALU_DEP_2)
	v_mov_b32_e32 v20, v19
	v_cmp_lt_u32_e64 s1, 31, v11
	v_cndmask_b32_e32 v14, v18, v14, vcc_lo
	s_delay_alu instid0(VALU_DEP_3) | instskip(NEXT) | instid1(VALU_DEP_3)
	v_mad_nc_u64_u32 v[20:21], 0xf534ddc0, v12, v[20:21]
	v_cndmask_b32_e64 v15, 0, 0xffffffe0, s1
	s_delay_alu instid0(VALU_DEP_1) | instskip(NEXT) | instid1(VALU_DEP_3)
	v_dual_add_nc_u32 v11, v15, v11 :: v_dual_cndmask_b32 v15, v20, v16, vcc_lo
	v_mov_b32_e32 v22, v21
	s_delay_alu instid0(VALU_DEP_1) | instskip(NEXT) | instid1(VALU_DEP_1)
	v_mad_nc_u64_u32 v[22:23], 0xfc2757d1, v12, v[22:23]
	v_dual_mov_b32 v24, v23 :: v_dual_cndmask_b32 v19, v22, v18
	s_delay_alu instid0(VALU_DEP_1) | instskip(NEXT) | instid1(VALU_DEP_1)
	v_mad_nc_u64_u32 v[24:25], 0x4e441529, v12, v[24:25]
	v_dual_mov_b32 v26, v25 :: v_dual_cndmask_b32 v17, v24, v20
	s_delay_alu instid0(VALU_DEP_1) | instskip(NEXT) | instid1(VALU_DEP_1)
	v_mad_nc_u64_u32 v[12:13], 0xa2f9836e, v12, v[26:27]
	v_dual_cndmask_b32 v12, v12, v22 :: v_dual_cndmask_b32 v13, v13, v24
	v_cmp_eq_u32_e32 vcc_lo, 0, v11
	s_delay_alu instid0(VALU_DEP_2) | instskip(SKIP_2) | instid1(VALU_DEP_3)
	v_dual_cndmask_b32 v16, v12, v17, s0 :: v_dual_cndmask_b32 v12, v13, v12, s0
	v_cndmask_b32_e64 v13, v17, v19, s0
	v_sub_nc_u32_e32 v17, 32, v11
	v_dual_cndmask_b32 v19, v19, v15, s0 :: v_dual_cndmask_b32 v12, v12, v16, s1
	s_delay_alu instid0(VALU_DEP_3) | instskip(NEXT) | instid1(VALU_DEP_1)
	v_cndmask_b32_e64 v16, v16, v13, s1
	v_alignbit_b32 v20, v12, v16, v17
	s_delay_alu instid0(VALU_DEP_1) | instskip(NEXT) | instid1(VALU_DEP_1)
	v_dual_cndmask_b32 v13, v13, v19, s1 :: v_dual_cndmask_b32 v11, v20, v12, vcc_lo
	v_alignbit_b32 v18, v16, v13, v17
	v_cndmask_b32_e64 v12, v15, v14, s0
	s_delay_alu instid0(VALU_DEP_3) | instskip(NEXT) | instid1(VALU_DEP_3)
	v_bfe_u32 v15, v11, 29, 1
	v_cndmask_b32_e32 v14, v18, v16, vcc_lo
	s_delay_alu instid0(VALU_DEP_2) | instskip(NEXT) | instid1(VALU_DEP_2)
	v_dual_cndmask_b32 v12, v19, v12, s1 :: v_dual_sub_nc_u32 v18, 0, v15
	v_alignbit_b32 v16, v11, v14, 30
	s_delay_alu instid0(VALU_DEP_2) | instskip(NEXT) | instid1(VALU_DEP_1)
	v_alignbit_b32 v17, v13, v12, v17
	v_dual_cndmask_b32 v13, v17, v13, vcc_lo :: v_dual_bitop2_b32 v16, v16, v18 bitop3:0x14
	s_delay_alu instid0(VALU_DEP_1) | instskip(NEXT) | instid1(VALU_DEP_2)
	v_clz_i32_u32_e32 v17, v16
	v_alignbit_b32 v14, v14, v13, 30
	v_alignbit_b32 v12, v13, v12, 30
	s_delay_alu instid0(VALU_DEP_3) | instskip(NEXT) | instid1(VALU_DEP_3)
	v_min_u32_e32 v17, 32, v17
	v_xor_b32_e32 v13, v14, v18
	s_delay_alu instid0(VALU_DEP_3) | instskip(NEXT) | instid1(VALU_DEP_3)
	v_dual_lshrrev_b32 v18, 29, v11 :: v_dual_bitop2_b32 v12, v12, v18 bitop3:0x14
	v_dual_lshrrev_b32 v11, 30, v11 :: v_dual_sub_nc_u32 v14, 31, v17
	v_lshlrev_b32_e32 v19, 23, v17
	s_delay_alu instid0(VALU_DEP_2) | instskip(NEXT) | instid1(VALU_DEP_4)
	v_alignbit_b32 v16, v16, v13, v14
	v_alignbit_b32 v12, v13, v12, v14
	v_lshlrev_b32_e32 v13, 31, v18
	s_delay_alu instid0(VALU_DEP_2) | instskip(NEXT) | instid1(VALU_DEP_2)
	v_alignbit_b32 v14, v16, v12, 9
	v_dual_lshrrev_b32 v16, 9, v16 :: v_dual_bitop2_b32 v18, 0.5, v13 bitop3:0x54
	v_or_b32_e32 v13, 0x33000000, v13
	s_delay_alu instid0(VALU_DEP_3) | instskip(NEXT) | instid1(VALU_DEP_3)
	v_clz_i32_u32_e32 v20, v14
	v_sub_nc_u32_e32 v18, v18, v19
	s_delay_alu instid0(VALU_DEP_2) | instskip(NEXT) | instid1(VALU_DEP_1)
	v_min_u32_e32 v19, 32, v20
	v_add_lshl_u32 v17, v19, v17, 23
	s_delay_alu instid0(VALU_DEP_1) | instskip(SKIP_1) | instid1(VALU_DEP_1)
	v_dual_sub_nc_u32 v13, v13, v17 :: v_dual_bitop2_b32 v16, v16, v18 bitop3:0x54
	v_not_b32_e32 v18, v19
	v_alignbit_b32 v12, v14, v12, v18
	s_delay_alu instid0(VALU_DEP_1) | instskip(NEXT) | instid1(VALU_DEP_4)
	v_lshrrev_b32_e32 v12, 9, v12
	v_mul_f32_e32 v20, 0x3fc90fda, v16
	s_delay_alu instid0(VALU_DEP_2) | instskip(NEXT) | instid1(VALU_DEP_2)
	v_or_b32_e32 v12, v13, v12
	v_fma_f32 v14, 0x3fc90fda, v16, -v20
	s_delay_alu instid0(VALU_DEP_1) | instskip(NEXT) | instid1(VALU_DEP_1)
	v_dual_fmamk_f32 v14, v16, 0x33a22168, v14 :: v_dual_add_nc_u32 v13, v15, v11
	v_fmac_f32_e32 v14, 0x3fc90fda, v12
	s_delay_alu instid0(VALU_DEP_1)
	v_add_f32_e32 v12, v20, v14
                                        ; implicit-def: $vgpr14
	s_and_not1_saveexec_b32 s0, s2
	s_cbranch_execnz .LBB13_62
	s_branch .LBB13_63
.LBB13_61:
	s_and_not1_saveexec_b32 s0, s2
.LBB13_62:
	v_rndne_f32_e32 v11, v14
	s_delay_alu instid0(VALU_DEP_1) | instskip(SKIP_1) | instid1(VALU_DEP_2)
	v_fma_f32 v12, 0xbfc90fda, v11, |v2|
	v_cvt_i32_f32_e32 v13, v11
	v_fmamk_f32 v12, v11, 0xb3a22168, v12
	s_delay_alu instid0(VALU_DEP_1)
	v_fmamk_f32 v12, v11, 0xa7c234c4, v12
.LBB13_63:
	s_or_b32 exec_lo, exec_lo, s0
	v_div_scale_f32 v11, null, v5, v5, 0x40a00000
	v_div_scale_f32 v16, vcc_lo, 0x40a00000, v5, 0x40a00000
	s_mov_b32 s0, 0xb94c1982
	v_rcp_f32_e32 v14, v11
	v_mul_f32_e32 v23, 0x4f800000, v5
	s_mov_b32 s1, 0x37d75334
	v_and_b32_e32 v18, 1, v13
	v_xor_b32_e32 v3, v3, v2
	s_delay_alu instid0(TRANS32_DEP_1) | instskip(NEXT) | instid1(VALU_DEP_1)
	v_fma_f32 v15, -v11, v14, 1.0
	v_fmac_f32_e32 v14, v15, v14
	s_delay_alu instid0(VALU_DEP_1) | instskip(NEXT) | instid1(VALU_DEP_1)
	v_mul_f32_e32 v15, v16, v14
	v_fma_f32 v17, -v11, v15, v16
	s_delay_alu instid0(VALU_DEP_1) | instskip(NEXT) | instid1(VALU_DEP_1)
	v_dual_fmac_f32 v15, v17, v14 :: v_dual_mul_f32 v17, v12, v12
	v_fma_f32 v11, -v11, v15, v16
	s_delay_alu instid0(VALU_DEP_2) | instskip(NEXT) | instid1(VALU_DEP_2)
	v_fmaak_f32 v26, s0, v17, 0x3c0881c4
	v_div_fmas_f32 v11, v11, v14, v15
	v_mul_f32_e32 v14, v4, v4
	s_delay_alu instid0(VALU_DEP_3) | instskip(SKIP_1) | instid1(VALU_DEP_4)
	v_fmaak_f32 v26, v17, v26, 0xbe2aaa9d
	v_dual_lshlrev_b32 v9, 30, v9 :: v_dual_bitop2_b32 v15, 1, v9 bitop3:0x40
	v_div_fixup_f32 v11, v11, v5, 0x40a00000
	s_delay_alu instid0(VALU_DEP_4) | instskip(SKIP_1) | instid1(VALU_DEP_4)
	v_fmaak_f32 v24, s0, v14, 0x3c0881c4
	v_cmp_gt_f32_e64 s0, 0xf800000, v5
	v_cmp_eq_u32_e64 s2, 0, v15
	v_and_b32_e32 v9, 0x80000000, v9
	v_dual_mul_f32 v16, v11, v11 :: v_dual_lshlrev_b32 v13, 30, v13
	s_delay_alu instid0(VALU_DEP_4) | instskip(SKIP_1) | instid1(VALU_DEP_3)
	v_cndmask_b32_e64 v5, v5, v23, s0
	v_fmaak_f32 v24, v14, v24, 0xbe2aaa9d
	v_dual_mul_f32 v26, v17, v26 :: v_dual_fmaak_f32 v19, 0, v16, 0x3d513fd3
	v_fmaak_f32 v20, 0, v16, 0x3a15c4d9
	v_fmaak_f32 v22, 0, v16, 0x3a47c962
	v_sqrt_f32_e32 v30, v5
	v_fmaak_f32 v21, 0, v16, 0x42947983
	v_dual_fmaak_f32 v19, v16, v19, 0x409f6dae :: v_dual_mul_f32 v24, v14, v24
	v_fmaak_f32 v20, v16, v20, 0x3d8cfeeb
	v_fmaak_f32 v22, v16, v22, 0x3d95ca45
	;; [unrolled: 1-line block ×3, first 2 shown]
	s_delay_alu instid0(TRANS32_DEP_1) | instskip(SKIP_4) | instid1(VALU_DEP_4)
	v_add_nc_u32_e32 v35, 1, v30
	v_fmaak_f32 v19, v16, v19, 0x4297a5cd
	v_fmaak_f32 v20, v16, v20, 0x3f8d754e
	;; [unrolled: 1-line block ×3, first 2 shown]
	v_dual_fmaak_f32 v27, s1, v17, 0xbab64f3b :: v_dual_fmac_f32 v12, v12, v26
	v_fmaak_f32 v19, v16, v19, 0x43b763ca
	s_delay_alu instid0(VALU_DEP_4) | instskip(NEXT) | instid1(VALU_DEP_4)
	v_fmaak_f32 v20, v16, v20, 0x40a25d18
	v_fmaak_f32 v22, v16, v22, 0x40a39628
	v_fmac_f32_e32 v4, v4, v24
	s_delay_alu instid0(VALU_DEP_4) | instskip(NEXT) | instid1(VALU_DEP_4)
	v_fmaak_f32 v19, v16, v19, 0x4431b6ce
	v_fmaak_f32 v20, v16, v20, 0x410665cf
	s_delay_alu instid0(VALU_DEP_4) | instskip(NEXT) | instid1(VALU_DEP_3)
	v_fmaak_f32 v22, v16, v22, 0x4106c8e4
	v_fmaak_f32 v19, v16, v19, 0x44155f56
	s_delay_alu instid0(VALU_DEP_3) | instskip(NEXT) | instid1(VALU_DEP_3)
	v_fmaak_f32 v20, v16, v20, 0x40a6b6ea
	v_fmaak_f32 v22, v16, v22, 0x40a6dd51
	s_delay_alu instid0(VALU_DEP_3) | instskip(NEXT) | instid1(VALU_DEP_3)
	v_fmaak_f32 v19, v16, v19, 0x4353b052
	v_fma_f32 v20, v16, v20, 1.0
	s_delay_alu instid0(VALU_DEP_3) | instskip(NEXT) | instid1(VALU_DEP_1)
	v_fma_f32 v22, v16, v22, 1.0
	v_div_scale_f32 v33, vcc_lo, v22, v20, v22
	v_fmaak_f32 v21, v16, v21, 0x44840e5d
	s_delay_alu instid0(VALU_DEP_1) | instskip(NEXT) | instid1(VALU_DEP_1)
	v_fmaak_f32 v21, v16, v21, 0x459bd349
	v_fmaak_f32 v21, v16, v21, 0x46156947
	s_delay_alu instid0(VALU_DEP_1) | instskip(NEXT) | instid1(VALU_DEP_1)
	v_fmaak_f32 v21, v16, v21, 0x45f9e855
	v_fmaak_f32 v21, v16, v21, 0x4530a316
	s_delay_alu instid0(VALU_DEP_1) | instskip(SKIP_2) | instid1(VALU_DEP_2)
	v_fmaak_f32 v21, v16, v21, 0x43a80bfb
	v_fmaak_f32 v16, v16, v19, 0x41c9a7fa
	v_div_scale_f32 v19, null, v20, v20, v22
	v_div_scale_f32 v23, null, v21, v21, v16
	s_delay_alu instid0(VALU_DEP_2) | instskip(NEXT) | instid1(VALU_DEP_1)
	v_rcp_f32_e32 v28, v19
	v_rcp_f32_e32 v29, v23
	s_delay_alu instid0(TRANS32_DEP_2) | instskip(NEXT) | instid1(TRANS32_DEP_1)
	v_fma_f32 v31, -v19, v28, 1.0
	v_fma_f32 v32, -v23, v29, 1.0
	s_delay_alu instid0(VALU_DEP_2) | instskip(SKIP_1) | instid1(VALU_DEP_3)
	v_fmac_f32_e32 v28, v31, v28
	v_div_scale_f32 v31, s1, v16, v21, v16
	v_dual_fmac_f32 v29, v32, v29 :: v_dual_add_nc_u32 v32, -1, v30
	s_delay_alu instid0(VALU_DEP_1) | instskip(NEXT) | instid1(VALU_DEP_1)
	v_dual_mul_f32 v34, v33, v28 :: v_dual_mul_f32 v36, v31, v29
	v_fma_f32 v24, -v19, v34, v33
	v_fmaak_f32 v25, v14, v25, 0x3d2aabf7
	s_delay_alu instid0(VALU_DEP_4) | instskip(NEXT) | instid1(VALU_DEP_2)
	v_fma_f32 v26, -v32, v30, v5
	v_dual_fmac_f32 v34, v24, v28 :: v_dual_fmaak_f32 v25, v14, v25, 0xbf000004
	s_delay_alu instid0(VALU_DEP_1) | instskip(SKIP_1) | instid1(VALU_DEP_2)
	v_fma_f32 v14, v14, v25, 1.0
	v_fma_f32 v25, -v23, v36, v31
	v_dual_fma_f32 v24, -v35, v30, v5 :: v_dual_cndmask_b32 v4, v14, v4, s2
	s_delay_alu instid0(VALU_DEP_2) | instskip(SKIP_2) | instid1(VALU_DEP_4)
	v_fmac_f32_e32 v36, v25, v29
	v_cmp_eq_u32_e64 s2, 0, v18
	v_fma_f32 v14, -v19, v34, v33
	v_xor3_b32 v3, v3, v9, v4
	s_delay_alu instid0(VALU_DEP_2) | instskip(SKIP_3) | instid1(VALU_DEP_1)
	v_div_fmas_f32 v14, v14, v28, v34
	s_mov_b32 vcc_lo, s1
	v_cmp_lt_f32_e64 s1, 0, v24
	v_fma_f32 v15, -v23, v36, v31
	v_div_fmas_f32 v15, v15, v29, v36
	v_cmp_ge_f32_e32 vcc_lo, 0, v26
	s_delay_alu instid0(VALU_DEP_2) | instskip(NEXT) | instid1(VALU_DEP_1)
	v_div_fixup_f32 v4, v15, v21, v16
	v_dual_mul_f32 v4, v11, v4 :: v_dual_fmaak_f32 v27, v17, v27, 0x3d2aabf7
	s_delay_alu instid0(VALU_DEP_1) | instskip(NEXT) | instid1(VALU_DEP_1)
	v_fmaak_f32 v27, v17, v27, 0xbf000004
	v_fma_f32 v17, v17, v27, 1.0
	s_delay_alu instid0(VALU_DEP_1) | instskip(SKIP_1) | instid1(VALU_DEP_2)
	v_dual_cndmask_b32 v12, -v12, v17, s2 :: v_dual_cndmask_b32 v17, v30, v32, vcc_lo
	v_cmp_class_f32_e64 vcc_lo, v2, 0x1f8
	v_bitop3_b32 v2, v13, v12, 0x80000000 bitop3:0x6c
	s_delay_alu instid0(VALU_DEP_3) | instskip(SKIP_2) | instid1(VALU_DEP_4)
	v_cndmask_b32_e64 v9, v17, v35, s1
	v_cndmask_b32_e32 v3, 0x7fc00000, v3, vcc_lo
	v_div_fixup_f32 v12, v14, v20, v22
	v_cndmask_b32_e32 v2, 0x7fc00000, v2, vcc_lo
	s_delay_alu instid0(VALU_DEP_4) | instskip(SKIP_1) | instid1(VALU_DEP_2)
	v_mul_f32_e32 v11, 0x37800000, v9
	v_cmp_class_f32_e64 vcc_lo, v5, 0x260
	v_dual_mul_f32 v2, v4, v2 :: v_dual_cndmask_b32 v4, v9, v11, s0
	s_delay_alu instid0(VALU_DEP_1) | instskip(NEXT) | instid1(VALU_DEP_1)
	v_fmac_f32_e32 v2, v12, v3
	v_dual_cndmask_b32 v3, v4, v5 :: v_dual_mul_f32 v2, 0x3f4c422a, v2
	s_delay_alu instid0(VALU_DEP_1) | instskip(NEXT) | instid1(VALU_DEP_1)
	v_div_scale_f32 v4, null, v3, v3, v2
	v_rcp_f32_e32 v5, v4
	v_nop
	s_delay_alu instid0(TRANS32_DEP_1) | instskip(NEXT) | instid1(VALU_DEP_1)
	v_fma_f32 v9, -v4, v5, 1.0
	v_fmac_f32_e32 v5, v9, v5
	v_div_scale_f32 v9, vcc_lo, v2, v3, v2
	s_delay_alu instid0(VALU_DEP_1) | instskip(NEXT) | instid1(VALU_DEP_1)
	v_mul_f32_e32 v11, v9, v5
	v_fma_f32 v12, -v4, v11, v9
	s_delay_alu instid0(VALU_DEP_1) | instskip(NEXT) | instid1(VALU_DEP_1)
	v_fmac_f32_e32 v11, v12, v5
	v_fma_f32 v4, -v4, v11, v9
	s_delay_alu instid0(VALU_DEP_1) | instskip(NEXT) | instid1(VALU_DEP_1)
	v_div_fmas_f32 v4, v4, v5, v11
	v_div_fixup_f32 v9, v4, v3, v2
.LBB13_64:
	s_or_b32 exec_lo, exec_lo, s3
	v_lshl_add_u64 v[0:1], s[4:5], 2, v[0:1]
	v_mov_b32_e32 v11, 0
	s_delay_alu instid0(VALU_DEP_1)
	v_add_nc_u64_e32 v[0:1], v[0:1], v[10:11]
	flat_store_b128 v[0:1], v[6:9]
	s_wait_dscnt 0x0
	s_set_pc_i64 s[30:31]
.Lfunc_end13:
	.size	_ZN2at6native25elementwise_kernel_helperILb0EZZZNS0_12_GLOBAL__N_121bessel_y1_kernel_cudaERNS_18TensorIteratorBaseEENKUlvE_clEvENKUlvE0_clEvEUlfE_NS0_6memory8policies10vectorizedILi4ESt5arrayIPcLm2EELi4EEEEEvT0_T1_, .Lfunc_end13-_ZN2at6native25elementwise_kernel_helperILb0EZZZNS0_12_GLOBAL__N_121bessel_y1_kernel_cudaERNS_18TensorIteratorBaseEENKUlvE_clEvENKUlvE0_clEvEUlfE_NS0_6memory8policies10vectorizedILi4ESt5arrayIPcLm2EELi4EEEEEvT0_T1_
                                        ; -- End function
	.set .L_ZN2at6native25elementwise_kernel_helperILb0EZZZNS0_12_GLOBAL__N_121bessel_y1_kernel_cudaERNS_18TensorIteratorBaseEENKUlvE_clEvENKUlvE0_clEvEUlfE_NS0_6memory8policies10vectorizedILi4ESt5arrayIPcLm2EELi4EEEEEvT0_T1_.num_vgpr, 37
	.set .L_ZN2at6native25elementwise_kernel_helperILb0EZZZNS0_12_GLOBAL__N_121bessel_y1_kernel_cudaERNS_18TensorIteratorBaseEENKUlvE_clEvENKUlvE0_clEvEUlfE_NS0_6memory8policies10vectorizedILi4ESt5arrayIPcLm2EELi4EEEEEvT0_T1_.num_agpr, 0
	.set .L_ZN2at6native25elementwise_kernel_helperILb0EZZZNS0_12_GLOBAL__N_121bessel_y1_kernel_cudaERNS_18TensorIteratorBaseEENKUlvE_clEvENKUlvE0_clEvEUlfE_NS0_6memory8policies10vectorizedILi4ESt5arrayIPcLm2EELi4EEEEEvT0_T1_.numbered_sgpr, 32
	.set .L_ZN2at6native25elementwise_kernel_helperILb0EZZZNS0_12_GLOBAL__N_121bessel_y1_kernel_cudaERNS_18TensorIteratorBaseEENKUlvE_clEvENKUlvE0_clEvEUlfE_NS0_6memory8policies10vectorizedILi4ESt5arrayIPcLm2EELi4EEEEEvT0_T1_.num_named_barrier, 0
	.set .L_ZN2at6native25elementwise_kernel_helperILb0EZZZNS0_12_GLOBAL__N_121bessel_y1_kernel_cudaERNS_18TensorIteratorBaseEENKUlvE_clEvENKUlvE0_clEvEUlfE_NS0_6memory8policies10vectorizedILi4ESt5arrayIPcLm2EELi4EEEEEvT0_T1_.private_seg_size, 0
	.set .L_ZN2at6native25elementwise_kernel_helperILb0EZZZNS0_12_GLOBAL__N_121bessel_y1_kernel_cudaERNS_18TensorIteratorBaseEENKUlvE_clEvENKUlvE0_clEvEUlfE_NS0_6memory8policies10vectorizedILi4ESt5arrayIPcLm2EELi4EEEEEvT0_T1_.uses_vcc, 1
	.set .L_ZN2at6native25elementwise_kernel_helperILb0EZZZNS0_12_GLOBAL__N_121bessel_y1_kernel_cudaERNS_18TensorIteratorBaseEENKUlvE_clEvENKUlvE0_clEvEUlfE_NS0_6memory8policies10vectorizedILi4ESt5arrayIPcLm2EELi4EEEEEvT0_T1_.uses_flat_scratch, 0
	.set .L_ZN2at6native25elementwise_kernel_helperILb0EZZZNS0_12_GLOBAL__N_121bessel_y1_kernel_cudaERNS_18TensorIteratorBaseEENKUlvE_clEvENKUlvE0_clEvEUlfE_NS0_6memory8policies10vectorizedILi4ESt5arrayIPcLm2EELi4EEEEEvT0_T1_.has_dyn_sized_stack, 0
	.set .L_ZN2at6native25elementwise_kernel_helperILb0EZZZNS0_12_GLOBAL__N_121bessel_y1_kernel_cudaERNS_18TensorIteratorBaseEENKUlvE_clEvENKUlvE0_clEvEUlfE_NS0_6memory8policies10vectorizedILi4ESt5arrayIPcLm2EELi4EEEEEvT0_T1_.has_recursion, 0
	.set .L_ZN2at6native25elementwise_kernel_helperILb0EZZZNS0_12_GLOBAL__N_121bessel_y1_kernel_cudaERNS_18TensorIteratorBaseEENKUlvE_clEvENKUlvE0_clEvEUlfE_NS0_6memory8policies10vectorizedILi4ESt5arrayIPcLm2EELi4EEEEEvT0_T1_.has_indirect_call, 0
	.section	.AMDGPU.csdata,"",@progbits
; Function info:
; codeLenInByte = 14360
; TotalNumSgprs: 34
; NumVgprs: 37
; ScratchSize: 0
; MemoryBound: 0
	.section	.text._ZN2at6native29vectorized_elementwise_kernelILi16EZZZNS0_12_GLOBAL__N_121bessel_y1_kernel_cudaERNS_18TensorIteratorBaseEENKUlvE_clEvENKUlvE0_clEvEUlfE_St5arrayIPcLm2EEEEviT0_T1_,"axG",@progbits,_ZN2at6native29vectorized_elementwise_kernelILi16EZZZNS0_12_GLOBAL__N_121bessel_y1_kernel_cudaERNS_18TensorIteratorBaseEENKUlvE_clEvENKUlvE0_clEvEUlfE_St5arrayIPcLm2EEEEviT0_T1_,comdat
	.globl	_ZN2at6native29vectorized_elementwise_kernelILi16EZZZNS0_12_GLOBAL__N_121bessel_y1_kernel_cudaERNS_18TensorIteratorBaseEENKUlvE_clEvENKUlvE0_clEvEUlfE_St5arrayIPcLm2EEEEviT0_T1_ ; -- Begin function _ZN2at6native29vectorized_elementwise_kernelILi16EZZZNS0_12_GLOBAL__N_121bessel_y1_kernel_cudaERNS_18TensorIteratorBaseEENKUlvE_clEvENKUlvE0_clEvEUlfE_St5arrayIPcLm2EEEEviT0_T1_
	.p2align	8
	.type	_ZN2at6native29vectorized_elementwise_kernelILi16EZZZNS0_12_GLOBAL__N_121bessel_y1_kernel_cudaERNS_18TensorIteratorBaseEENKUlvE_clEvENKUlvE0_clEvEUlfE_St5arrayIPcLm2EEEEviT0_T1_,@function
_ZN2at6native29vectorized_elementwise_kernelILi16EZZZNS0_12_GLOBAL__N_121bessel_y1_kernel_cudaERNS_18TensorIteratorBaseEENKUlvE_clEvENKUlvE0_clEvEUlfE_St5arrayIPcLm2EEEEviT0_T1_: ; @_ZN2at6native29vectorized_elementwise_kernelILi16EZZZNS0_12_GLOBAL__N_121bessel_y1_kernel_cudaERNS_18TensorIteratorBaseEENKUlvE_clEvENKUlvE0_clEvEUlfE_St5arrayIPcLm2EEEEviT0_T1_
; %bb.0:
	s_clause 0x1
	s_load_b32 s2, s[0:1], 0x0
	s_load_b128 s[8:11], s[0:1], 0x8
	s_wait_xcnt 0x0
	s_bfe_u32 s0, ttmp6, 0x4000c
	s_and_b32 s1, ttmp6, 15
	s_add_co_i32 s0, s0, 1
	s_getreg_b32 s3, hwreg(HW_REG_IB_STS2, 6, 4)
	s_mul_i32 s0, ttmp9, s0
	v_mov_b32_e32 v37, v0
	s_add_co_i32 s1, s1, s0
	s_cmp_eq_u32 s3, 0
	s_mov_b32 s32, 0
	s_cselect_b32 s0, ttmp9, s1
	s_delay_alu instid0(SALU_CYCLE_1)
	s_lshl_b32 s0, s0, 10
	s_wait_kmcnt 0x0
	s_sub_co_i32 s12, s2, s0
	s_mov_b32 s0, -1
	s_cmp_gt_i32 s12, 0x3ff
	s_cbranch_scc1 .LBB14_3
; %bb.1:
	s_and_not1_b32 vcc_lo, exec_lo, s0
	s_cbranch_vccz .LBB14_4
.LBB14_2:
	s_endpgm
.LBB14_3:
	v_dual_mov_b32 v31, v37 :: v_dual_mov_b32 v0, s8
	v_dual_mov_b32 v1, s9 :: v_dual_mov_b32 v2, s10
	v_mov_b32_e32 v3, s11
	s_get_pc_i64 s[0:1]
	s_add_nc_u64 s[0:1], s[0:1], _ZN2at6native25elementwise_kernel_helperILb0EZZZNS0_12_GLOBAL__N_121bessel_y1_kernel_cudaERNS_18TensorIteratorBaseEENKUlvE_clEvENKUlvE0_clEvEUlfE_NS0_6memory8policies10vectorizedILi4ESt5arrayIPcLm2EELi4EEEEEvT0_T1_@rel64+4
	s_delay_alu instid0(SALU_CYCLE_1)
	s_swap_pc_i64 s[30:31], s[0:1]
	s_cbranch_execnz .LBB14_2
.LBB14_4:
	v_dual_mov_b32 v31, v37 :: v_dual_mov_b32 v0, s8
	v_dual_mov_b32 v1, s9 :: v_dual_mov_b32 v2, s10
	;; [unrolled: 1-line block ×3, first 2 shown]
	s_get_pc_i64 s[0:1]
	s_add_nc_u64 s[0:1], s[0:1], _ZN2at6native25elementwise_kernel_helperILb0EZZZNS0_12_GLOBAL__N_121bessel_y1_kernel_cudaERNS_18TensorIteratorBaseEENKUlvE_clEvENKUlvE0_clEvEUlfE_NS0_6memory8policies11unroll_baseILi256ESt5arrayIPcLm2EE23TrivialOffsetCalculatorILi1EjESF_NS8_15LoadWithoutCastENS8_16StoreWithoutCastELi4ELi1EEEEEvT0_T1_@rel64+4
	s_delay_alu instid0(SALU_CYCLE_1)
	s_swap_pc_i64 s[30:31], s[0:1]
	s_endpgm
	.section	.rodata,"a",@progbits
	.p2align	6, 0x0
	.amdhsa_kernel _ZN2at6native29vectorized_elementwise_kernelILi16EZZZNS0_12_GLOBAL__N_121bessel_y1_kernel_cudaERNS_18TensorIteratorBaseEENKUlvE_clEvENKUlvE0_clEvEUlfE_St5arrayIPcLm2EEEEviT0_T1_
		.amdhsa_group_segment_fixed_size 0
		.amdhsa_private_segment_fixed_size 0
		.amdhsa_kernarg_size 24
		.amdhsa_user_sgpr_count 2
		.amdhsa_user_sgpr_dispatch_ptr 0
		.amdhsa_user_sgpr_queue_ptr 0
		.amdhsa_user_sgpr_kernarg_segment_ptr 1
		.amdhsa_user_sgpr_dispatch_id 0
		.amdhsa_user_sgpr_kernarg_preload_length 0
		.amdhsa_user_sgpr_kernarg_preload_offset 0
		.amdhsa_user_sgpr_private_segment_size 0
		.amdhsa_wavefront_size32 1
		.amdhsa_uses_dynamic_stack 0
		.amdhsa_enable_private_segment 0
		.amdhsa_system_sgpr_workgroup_id_x 1
		.amdhsa_system_sgpr_workgroup_id_y 0
		.amdhsa_system_sgpr_workgroup_id_z 0
		.amdhsa_system_sgpr_workgroup_info 0
		.amdhsa_system_vgpr_workitem_id 0
		.amdhsa_next_free_vgpr 50
		.amdhsa_next_free_sgpr 33
		.amdhsa_named_barrier_count 0
		.amdhsa_reserve_vcc 1
		.amdhsa_float_round_mode_32 0
		.amdhsa_float_round_mode_16_64 0
		.amdhsa_float_denorm_mode_32 3
		.amdhsa_float_denorm_mode_16_64 3
		.amdhsa_fp16_overflow 0
		.amdhsa_memory_ordered 1
		.amdhsa_forward_progress 1
		.amdhsa_inst_pref_size 2
		.amdhsa_round_robin_scheduling 0
		.amdhsa_exception_fp_ieee_invalid_op 0
		.amdhsa_exception_fp_denorm_src 0
		.amdhsa_exception_fp_ieee_div_zero 0
		.amdhsa_exception_fp_ieee_overflow 0
		.amdhsa_exception_fp_ieee_underflow 0
		.amdhsa_exception_fp_ieee_inexact 0
		.amdhsa_exception_int_div_zero 0
	.end_amdhsa_kernel
	.section	.text._ZN2at6native29vectorized_elementwise_kernelILi16EZZZNS0_12_GLOBAL__N_121bessel_y1_kernel_cudaERNS_18TensorIteratorBaseEENKUlvE_clEvENKUlvE0_clEvEUlfE_St5arrayIPcLm2EEEEviT0_T1_,"axG",@progbits,_ZN2at6native29vectorized_elementwise_kernelILi16EZZZNS0_12_GLOBAL__N_121bessel_y1_kernel_cudaERNS_18TensorIteratorBaseEENKUlvE_clEvENKUlvE0_clEvEUlfE_St5arrayIPcLm2EEEEviT0_T1_,comdat
.Lfunc_end14:
	.size	_ZN2at6native29vectorized_elementwise_kernelILi16EZZZNS0_12_GLOBAL__N_121bessel_y1_kernel_cudaERNS_18TensorIteratorBaseEENKUlvE_clEvENKUlvE0_clEvEUlfE_St5arrayIPcLm2EEEEviT0_T1_, .Lfunc_end14-_ZN2at6native29vectorized_elementwise_kernelILi16EZZZNS0_12_GLOBAL__N_121bessel_y1_kernel_cudaERNS_18TensorIteratorBaseEENKUlvE_clEvENKUlvE0_clEvEUlfE_St5arrayIPcLm2EEEEviT0_T1_
                                        ; -- End function
	.set _ZN2at6native29vectorized_elementwise_kernelILi16EZZZNS0_12_GLOBAL__N_121bessel_y1_kernel_cudaERNS_18TensorIteratorBaseEENKUlvE_clEvENKUlvE0_clEvEUlfE_St5arrayIPcLm2EEEEviT0_T1_.num_vgpr, max(38, .L_ZN2at6native25elementwise_kernel_helperILb0EZZZNS0_12_GLOBAL__N_121bessel_y1_kernel_cudaERNS_18TensorIteratorBaseEENKUlvE_clEvENKUlvE0_clEvEUlfE_NS0_6memory8policies10vectorizedILi4ESt5arrayIPcLm2EELi4EEEEEvT0_T1_.num_vgpr, .L_ZN2at6native25elementwise_kernel_helperILb0EZZZNS0_12_GLOBAL__N_121bessel_y1_kernel_cudaERNS_18TensorIteratorBaseEENKUlvE_clEvENKUlvE0_clEvEUlfE_NS0_6memory8policies11unroll_baseILi256ESt5arrayIPcLm2EE23TrivialOffsetCalculatorILi1EjESF_NS8_15LoadWithoutCastENS8_16StoreWithoutCastELi4ELi1EEEEEvT0_T1_.num_vgpr)
	.set _ZN2at6native29vectorized_elementwise_kernelILi16EZZZNS0_12_GLOBAL__N_121bessel_y1_kernel_cudaERNS_18TensorIteratorBaseEENKUlvE_clEvENKUlvE0_clEvEUlfE_St5arrayIPcLm2EEEEviT0_T1_.num_agpr, max(0, .L_ZN2at6native25elementwise_kernel_helperILb0EZZZNS0_12_GLOBAL__N_121bessel_y1_kernel_cudaERNS_18TensorIteratorBaseEENKUlvE_clEvENKUlvE0_clEvEUlfE_NS0_6memory8policies10vectorizedILi4ESt5arrayIPcLm2EELi4EEEEEvT0_T1_.num_agpr, .L_ZN2at6native25elementwise_kernel_helperILb0EZZZNS0_12_GLOBAL__N_121bessel_y1_kernel_cudaERNS_18TensorIteratorBaseEENKUlvE_clEvENKUlvE0_clEvEUlfE_NS0_6memory8policies11unroll_baseILi256ESt5arrayIPcLm2EE23TrivialOffsetCalculatorILi1EjESF_NS8_15LoadWithoutCastENS8_16StoreWithoutCastELi4ELi1EEEEEvT0_T1_.num_agpr)
	.set _ZN2at6native29vectorized_elementwise_kernelILi16EZZZNS0_12_GLOBAL__N_121bessel_y1_kernel_cudaERNS_18TensorIteratorBaseEENKUlvE_clEvENKUlvE0_clEvEUlfE_St5arrayIPcLm2EEEEviT0_T1_.numbered_sgpr, max(33, .L_ZN2at6native25elementwise_kernel_helperILb0EZZZNS0_12_GLOBAL__N_121bessel_y1_kernel_cudaERNS_18TensorIteratorBaseEENKUlvE_clEvENKUlvE0_clEvEUlfE_NS0_6memory8policies10vectorizedILi4ESt5arrayIPcLm2EELi4EEEEEvT0_T1_.numbered_sgpr, .L_ZN2at6native25elementwise_kernel_helperILb0EZZZNS0_12_GLOBAL__N_121bessel_y1_kernel_cudaERNS_18TensorIteratorBaseEENKUlvE_clEvENKUlvE0_clEvEUlfE_NS0_6memory8policies11unroll_baseILi256ESt5arrayIPcLm2EE23TrivialOffsetCalculatorILi1EjESF_NS8_15LoadWithoutCastENS8_16StoreWithoutCastELi4ELi1EEEEEvT0_T1_.numbered_sgpr)
	.set _ZN2at6native29vectorized_elementwise_kernelILi16EZZZNS0_12_GLOBAL__N_121bessel_y1_kernel_cudaERNS_18TensorIteratorBaseEENKUlvE_clEvENKUlvE0_clEvEUlfE_St5arrayIPcLm2EEEEviT0_T1_.num_named_barrier, max(0, .L_ZN2at6native25elementwise_kernel_helperILb0EZZZNS0_12_GLOBAL__N_121bessel_y1_kernel_cudaERNS_18TensorIteratorBaseEENKUlvE_clEvENKUlvE0_clEvEUlfE_NS0_6memory8policies10vectorizedILi4ESt5arrayIPcLm2EELi4EEEEEvT0_T1_.num_named_barrier, .L_ZN2at6native25elementwise_kernel_helperILb0EZZZNS0_12_GLOBAL__N_121bessel_y1_kernel_cudaERNS_18TensorIteratorBaseEENKUlvE_clEvENKUlvE0_clEvEUlfE_NS0_6memory8policies11unroll_baseILi256ESt5arrayIPcLm2EE23TrivialOffsetCalculatorILi1EjESF_NS8_15LoadWithoutCastENS8_16StoreWithoutCastELi4ELi1EEEEEvT0_T1_.num_named_barrier)
	.set _ZN2at6native29vectorized_elementwise_kernelILi16EZZZNS0_12_GLOBAL__N_121bessel_y1_kernel_cudaERNS_18TensorIteratorBaseEENKUlvE_clEvENKUlvE0_clEvEUlfE_St5arrayIPcLm2EEEEviT0_T1_.private_seg_size, 0+max(.L_ZN2at6native25elementwise_kernel_helperILb0EZZZNS0_12_GLOBAL__N_121bessel_y1_kernel_cudaERNS_18TensorIteratorBaseEENKUlvE_clEvENKUlvE0_clEvEUlfE_NS0_6memory8policies10vectorizedILi4ESt5arrayIPcLm2EELi4EEEEEvT0_T1_.private_seg_size, .L_ZN2at6native25elementwise_kernel_helperILb0EZZZNS0_12_GLOBAL__N_121bessel_y1_kernel_cudaERNS_18TensorIteratorBaseEENKUlvE_clEvENKUlvE0_clEvEUlfE_NS0_6memory8policies11unroll_baseILi256ESt5arrayIPcLm2EE23TrivialOffsetCalculatorILi1EjESF_NS8_15LoadWithoutCastENS8_16StoreWithoutCastELi4ELi1EEEEEvT0_T1_.private_seg_size)
	.set _ZN2at6native29vectorized_elementwise_kernelILi16EZZZNS0_12_GLOBAL__N_121bessel_y1_kernel_cudaERNS_18TensorIteratorBaseEENKUlvE_clEvENKUlvE0_clEvEUlfE_St5arrayIPcLm2EEEEviT0_T1_.uses_vcc, or(1, .L_ZN2at6native25elementwise_kernel_helperILb0EZZZNS0_12_GLOBAL__N_121bessel_y1_kernel_cudaERNS_18TensorIteratorBaseEENKUlvE_clEvENKUlvE0_clEvEUlfE_NS0_6memory8policies10vectorizedILi4ESt5arrayIPcLm2EELi4EEEEEvT0_T1_.uses_vcc, .L_ZN2at6native25elementwise_kernel_helperILb0EZZZNS0_12_GLOBAL__N_121bessel_y1_kernel_cudaERNS_18TensorIteratorBaseEENKUlvE_clEvENKUlvE0_clEvEUlfE_NS0_6memory8policies11unroll_baseILi256ESt5arrayIPcLm2EE23TrivialOffsetCalculatorILi1EjESF_NS8_15LoadWithoutCastENS8_16StoreWithoutCastELi4ELi1EEEEEvT0_T1_.uses_vcc)
	.set _ZN2at6native29vectorized_elementwise_kernelILi16EZZZNS0_12_GLOBAL__N_121bessel_y1_kernel_cudaERNS_18TensorIteratorBaseEENKUlvE_clEvENKUlvE0_clEvEUlfE_St5arrayIPcLm2EEEEviT0_T1_.uses_flat_scratch, or(0, .L_ZN2at6native25elementwise_kernel_helperILb0EZZZNS0_12_GLOBAL__N_121bessel_y1_kernel_cudaERNS_18TensorIteratorBaseEENKUlvE_clEvENKUlvE0_clEvEUlfE_NS0_6memory8policies10vectorizedILi4ESt5arrayIPcLm2EELi4EEEEEvT0_T1_.uses_flat_scratch, .L_ZN2at6native25elementwise_kernel_helperILb0EZZZNS0_12_GLOBAL__N_121bessel_y1_kernel_cudaERNS_18TensorIteratorBaseEENKUlvE_clEvENKUlvE0_clEvEUlfE_NS0_6memory8policies11unroll_baseILi256ESt5arrayIPcLm2EE23TrivialOffsetCalculatorILi1EjESF_NS8_15LoadWithoutCastENS8_16StoreWithoutCastELi4ELi1EEEEEvT0_T1_.uses_flat_scratch)
	.set _ZN2at6native29vectorized_elementwise_kernelILi16EZZZNS0_12_GLOBAL__N_121bessel_y1_kernel_cudaERNS_18TensorIteratorBaseEENKUlvE_clEvENKUlvE0_clEvEUlfE_St5arrayIPcLm2EEEEviT0_T1_.has_dyn_sized_stack, or(0, .L_ZN2at6native25elementwise_kernel_helperILb0EZZZNS0_12_GLOBAL__N_121bessel_y1_kernel_cudaERNS_18TensorIteratorBaseEENKUlvE_clEvENKUlvE0_clEvEUlfE_NS0_6memory8policies10vectorizedILi4ESt5arrayIPcLm2EELi4EEEEEvT0_T1_.has_dyn_sized_stack, .L_ZN2at6native25elementwise_kernel_helperILb0EZZZNS0_12_GLOBAL__N_121bessel_y1_kernel_cudaERNS_18TensorIteratorBaseEENKUlvE_clEvENKUlvE0_clEvEUlfE_NS0_6memory8policies11unroll_baseILi256ESt5arrayIPcLm2EE23TrivialOffsetCalculatorILi1EjESF_NS8_15LoadWithoutCastENS8_16StoreWithoutCastELi4ELi1EEEEEvT0_T1_.has_dyn_sized_stack)
	.set _ZN2at6native29vectorized_elementwise_kernelILi16EZZZNS0_12_GLOBAL__N_121bessel_y1_kernel_cudaERNS_18TensorIteratorBaseEENKUlvE_clEvENKUlvE0_clEvEUlfE_St5arrayIPcLm2EEEEviT0_T1_.has_recursion, or(0, .L_ZN2at6native25elementwise_kernel_helperILb0EZZZNS0_12_GLOBAL__N_121bessel_y1_kernel_cudaERNS_18TensorIteratorBaseEENKUlvE_clEvENKUlvE0_clEvEUlfE_NS0_6memory8policies10vectorizedILi4ESt5arrayIPcLm2EELi4EEEEEvT0_T1_.has_recursion, .L_ZN2at6native25elementwise_kernel_helperILb0EZZZNS0_12_GLOBAL__N_121bessel_y1_kernel_cudaERNS_18TensorIteratorBaseEENKUlvE_clEvENKUlvE0_clEvEUlfE_NS0_6memory8policies11unroll_baseILi256ESt5arrayIPcLm2EE23TrivialOffsetCalculatorILi1EjESF_NS8_15LoadWithoutCastENS8_16StoreWithoutCastELi4ELi1EEEEEvT0_T1_.has_recursion)
	.set _ZN2at6native29vectorized_elementwise_kernelILi16EZZZNS0_12_GLOBAL__N_121bessel_y1_kernel_cudaERNS_18TensorIteratorBaseEENKUlvE_clEvENKUlvE0_clEvEUlfE_St5arrayIPcLm2EEEEviT0_T1_.has_indirect_call, or(0, .L_ZN2at6native25elementwise_kernel_helperILb0EZZZNS0_12_GLOBAL__N_121bessel_y1_kernel_cudaERNS_18TensorIteratorBaseEENKUlvE_clEvENKUlvE0_clEvEUlfE_NS0_6memory8policies10vectorizedILi4ESt5arrayIPcLm2EELi4EEEEEvT0_T1_.has_indirect_call, .L_ZN2at6native25elementwise_kernel_helperILb0EZZZNS0_12_GLOBAL__N_121bessel_y1_kernel_cudaERNS_18TensorIteratorBaseEENKUlvE_clEvENKUlvE0_clEvEUlfE_NS0_6memory8policies11unroll_baseILi256ESt5arrayIPcLm2EE23TrivialOffsetCalculatorILi1EjESF_NS8_15LoadWithoutCastENS8_16StoreWithoutCastELi4ELi1EEEEEvT0_T1_.has_indirect_call)
	.section	.AMDGPU.csdata,"",@progbits
; Kernel info:
; codeLenInByte = 212
; TotalNumSgprs: 35
; NumVgprs: 50
; ScratchSize: 0
; MemoryBound: 0
; FloatMode: 240
; IeeeMode: 1
; LDSByteSize: 0 bytes/workgroup (compile time only)
; SGPRBlocks: 0
; VGPRBlocks: 3
; NumSGPRsForWavesPerEU: 35
; NumVGPRsForWavesPerEU: 50
; NamedBarCnt: 0
; Occupancy: 16
; WaveLimiterHint : 0
; COMPUTE_PGM_RSRC2:SCRATCH_EN: 0
; COMPUTE_PGM_RSRC2:USER_SGPR: 2
; COMPUTE_PGM_RSRC2:TRAP_HANDLER: 0
; COMPUTE_PGM_RSRC2:TGID_X_EN: 1
; COMPUTE_PGM_RSRC2:TGID_Y_EN: 0
; COMPUTE_PGM_RSRC2:TGID_Z_EN: 0
; COMPUTE_PGM_RSRC2:TIDIG_COMP_CNT: 0
	.section	.text._ZN2at6native29vectorized_elementwise_kernelILi8EZZZNS0_12_GLOBAL__N_121bessel_y1_kernel_cudaERNS_18TensorIteratorBaseEENKUlvE_clEvENKUlvE0_clEvEUlfE_St5arrayIPcLm2EEEEviT0_T1_,"axG",@progbits,_ZN2at6native29vectorized_elementwise_kernelILi8EZZZNS0_12_GLOBAL__N_121bessel_y1_kernel_cudaERNS_18TensorIteratorBaseEENKUlvE_clEvENKUlvE0_clEvEUlfE_St5arrayIPcLm2EEEEviT0_T1_,comdat
	.globl	_ZN2at6native29vectorized_elementwise_kernelILi8EZZZNS0_12_GLOBAL__N_121bessel_y1_kernel_cudaERNS_18TensorIteratorBaseEENKUlvE_clEvENKUlvE0_clEvEUlfE_St5arrayIPcLm2EEEEviT0_T1_ ; -- Begin function _ZN2at6native29vectorized_elementwise_kernelILi8EZZZNS0_12_GLOBAL__N_121bessel_y1_kernel_cudaERNS_18TensorIteratorBaseEENKUlvE_clEvENKUlvE0_clEvEUlfE_St5arrayIPcLm2EEEEviT0_T1_
	.p2align	8
	.type	_ZN2at6native29vectorized_elementwise_kernelILi8EZZZNS0_12_GLOBAL__N_121bessel_y1_kernel_cudaERNS_18TensorIteratorBaseEENKUlvE_clEvENKUlvE0_clEvEUlfE_St5arrayIPcLm2EEEEviT0_T1_,@function
_ZN2at6native29vectorized_elementwise_kernelILi8EZZZNS0_12_GLOBAL__N_121bessel_y1_kernel_cudaERNS_18TensorIteratorBaseEENKUlvE_clEvENKUlvE0_clEvEUlfE_St5arrayIPcLm2EEEEviT0_T1_: ; @_ZN2at6native29vectorized_elementwise_kernelILi8EZZZNS0_12_GLOBAL__N_121bessel_y1_kernel_cudaERNS_18TensorIteratorBaseEENKUlvE_clEvENKUlvE0_clEvEUlfE_St5arrayIPcLm2EEEEviT0_T1_
; %bb.0:
	s_clause 0x1
	s_load_b32 s2, s[0:1], 0x0
	s_load_b128 s[8:11], s[0:1], 0x8
	s_wait_xcnt 0x0
	s_bfe_u32 s0, ttmp6, 0x4000c
	s_and_b32 s1, ttmp6, 15
	s_add_co_i32 s0, s0, 1
	s_getreg_b32 s3, hwreg(HW_REG_IB_STS2, 6, 4)
	s_mul_i32 s0, ttmp9, s0
	v_mov_b32_e32 v37, v0
	s_add_co_i32 s1, s1, s0
	s_cmp_eq_u32 s3, 0
	s_mov_b32 s32, 0
	s_cselect_b32 s0, ttmp9, s1
	s_delay_alu instid0(SALU_CYCLE_1)
	s_lshl_b32 s0, s0, 10
	s_wait_kmcnt 0x0
	s_sub_co_i32 s12, s2, s0
	s_mov_b32 s0, -1
	s_cmp_gt_i32 s12, 0x3ff
	s_cbranch_scc1 .LBB15_3
; %bb.1:
	s_and_not1_b32 vcc_lo, exec_lo, s0
	s_cbranch_vccz .LBB15_4
.LBB15_2:
	s_endpgm
.LBB15_3:
	v_dual_mov_b32 v31, v37 :: v_dual_mov_b32 v0, s8
	v_dual_mov_b32 v1, s9 :: v_dual_mov_b32 v2, s10
	v_mov_b32_e32 v3, s11
	s_get_pc_i64 s[0:1]
	s_add_nc_u64 s[0:1], s[0:1], _ZN2at6native25elementwise_kernel_helperILb0EZZZNS0_12_GLOBAL__N_121bessel_y1_kernel_cudaERNS_18TensorIteratorBaseEENKUlvE_clEvENKUlvE0_clEvEUlfE_NS0_6memory8policies10vectorizedILi4ESt5arrayIPcLm2EELi4EEEEEvT0_T1_@rel64+4
	s_delay_alu instid0(SALU_CYCLE_1)
	s_swap_pc_i64 s[30:31], s[0:1]
	s_cbranch_execnz .LBB15_2
.LBB15_4:
	v_dual_mov_b32 v31, v37 :: v_dual_mov_b32 v0, s8
	v_dual_mov_b32 v1, s9 :: v_dual_mov_b32 v2, s10
	v_dual_mov_b32 v3, s11 :: v_dual_mov_b32 v4, s12
	s_get_pc_i64 s[0:1]
	s_add_nc_u64 s[0:1], s[0:1], _ZN2at6native25elementwise_kernel_helperILb0EZZZNS0_12_GLOBAL__N_121bessel_y1_kernel_cudaERNS_18TensorIteratorBaseEENKUlvE_clEvENKUlvE0_clEvEUlfE_NS0_6memory8policies11unroll_baseILi256ESt5arrayIPcLm2EE23TrivialOffsetCalculatorILi1EjESF_NS8_15LoadWithoutCastENS8_16StoreWithoutCastELi4ELi1EEEEEvT0_T1_@rel64+4
	s_delay_alu instid0(SALU_CYCLE_1)
	s_swap_pc_i64 s[30:31], s[0:1]
	s_endpgm
	.section	.rodata,"a",@progbits
	.p2align	6, 0x0
	.amdhsa_kernel _ZN2at6native29vectorized_elementwise_kernelILi8EZZZNS0_12_GLOBAL__N_121bessel_y1_kernel_cudaERNS_18TensorIteratorBaseEENKUlvE_clEvENKUlvE0_clEvEUlfE_St5arrayIPcLm2EEEEviT0_T1_
		.amdhsa_group_segment_fixed_size 0
		.amdhsa_private_segment_fixed_size 0
		.amdhsa_kernarg_size 24
		.amdhsa_user_sgpr_count 2
		.amdhsa_user_sgpr_dispatch_ptr 0
		.amdhsa_user_sgpr_queue_ptr 0
		.amdhsa_user_sgpr_kernarg_segment_ptr 1
		.amdhsa_user_sgpr_dispatch_id 0
		.amdhsa_user_sgpr_kernarg_preload_length 0
		.amdhsa_user_sgpr_kernarg_preload_offset 0
		.amdhsa_user_sgpr_private_segment_size 0
		.amdhsa_wavefront_size32 1
		.amdhsa_uses_dynamic_stack 0
		.amdhsa_enable_private_segment 0
		.amdhsa_system_sgpr_workgroup_id_x 1
		.amdhsa_system_sgpr_workgroup_id_y 0
		.amdhsa_system_sgpr_workgroup_id_z 0
		.amdhsa_system_sgpr_workgroup_info 0
		.amdhsa_system_vgpr_workitem_id 0
		.amdhsa_next_free_vgpr 50
		.amdhsa_next_free_sgpr 33
		.amdhsa_named_barrier_count 0
		.amdhsa_reserve_vcc 1
		.amdhsa_float_round_mode_32 0
		.amdhsa_float_round_mode_16_64 0
		.amdhsa_float_denorm_mode_32 3
		.amdhsa_float_denorm_mode_16_64 3
		.amdhsa_fp16_overflow 0
		.amdhsa_memory_ordered 1
		.amdhsa_forward_progress 1
		.amdhsa_inst_pref_size 2
		.amdhsa_round_robin_scheduling 0
		.amdhsa_exception_fp_ieee_invalid_op 0
		.amdhsa_exception_fp_denorm_src 0
		.amdhsa_exception_fp_ieee_div_zero 0
		.amdhsa_exception_fp_ieee_overflow 0
		.amdhsa_exception_fp_ieee_underflow 0
		.amdhsa_exception_fp_ieee_inexact 0
		.amdhsa_exception_int_div_zero 0
	.end_amdhsa_kernel
	.section	.text._ZN2at6native29vectorized_elementwise_kernelILi8EZZZNS0_12_GLOBAL__N_121bessel_y1_kernel_cudaERNS_18TensorIteratorBaseEENKUlvE_clEvENKUlvE0_clEvEUlfE_St5arrayIPcLm2EEEEviT0_T1_,"axG",@progbits,_ZN2at6native29vectorized_elementwise_kernelILi8EZZZNS0_12_GLOBAL__N_121bessel_y1_kernel_cudaERNS_18TensorIteratorBaseEENKUlvE_clEvENKUlvE0_clEvEUlfE_St5arrayIPcLm2EEEEviT0_T1_,comdat
.Lfunc_end15:
	.size	_ZN2at6native29vectorized_elementwise_kernelILi8EZZZNS0_12_GLOBAL__N_121bessel_y1_kernel_cudaERNS_18TensorIteratorBaseEENKUlvE_clEvENKUlvE0_clEvEUlfE_St5arrayIPcLm2EEEEviT0_T1_, .Lfunc_end15-_ZN2at6native29vectorized_elementwise_kernelILi8EZZZNS0_12_GLOBAL__N_121bessel_y1_kernel_cudaERNS_18TensorIteratorBaseEENKUlvE_clEvENKUlvE0_clEvEUlfE_St5arrayIPcLm2EEEEviT0_T1_
                                        ; -- End function
	.set _ZN2at6native29vectorized_elementwise_kernelILi8EZZZNS0_12_GLOBAL__N_121bessel_y1_kernel_cudaERNS_18TensorIteratorBaseEENKUlvE_clEvENKUlvE0_clEvEUlfE_St5arrayIPcLm2EEEEviT0_T1_.num_vgpr, max(38, .L_ZN2at6native25elementwise_kernel_helperILb0EZZZNS0_12_GLOBAL__N_121bessel_y1_kernel_cudaERNS_18TensorIteratorBaseEENKUlvE_clEvENKUlvE0_clEvEUlfE_NS0_6memory8policies10vectorizedILi4ESt5arrayIPcLm2EELi4EEEEEvT0_T1_.num_vgpr, .L_ZN2at6native25elementwise_kernel_helperILb0EZZZNS0_12_GLOBAL__N_121bessel_y1_kernel_cudaERNS_18TensorIteratorBaseEENKUlvE_clEvENKUlvE0_clEvEUlfE_NS0_6memory8policies11unroll_baseILi256ESt5arrayIPcLm2EE23TrivialOffsetCalculatorILi1EjESF_NS8_15LoadWithoutCastENS8_16StoreWithoutCastELi4ELi1EEEEEvT0_T1_.num_vgpr)
	.set _ZN2at6native29vectorized_elementwise_kernelILi8EZZZNS0_12_GLOBAL__N_121bessel_y1_kernel_cudaERNS_18TensorIteratorBaseEENKUlvE_clEvENKUlvE0_clEvEUlfE_St5arrayIPcLm2EEEEviT0_T1_.num_agpr, max(0, .L_ZN2at6native25elementwise_kernel_helperILb0EZZZNS0_12_GLOBAL__N_121bessel_y1_kernel_cudaERNS_18TensorIteratorBaseEENKUlvE_clEvENKUlvE0_clEvEUlfE_NS0_6memory8policies10vectorizedILi4ESt5arrayIPcLm2EELi4EEEEEvT0_T1_.num_agpr, .L_ZN2at6native25elementwise_kernel_helperILb0EZZZNS0_12_GLOBAL__N_121bessel_y1_kernel_cudaERNS_18TensorIteratorBaseEENKUlvE_clEvENKUlvE0_clEvEUlfE_NS0_6memory8policies11unroll_baseILi256ESt5arrayIPcLm2EE23TrivialOffsetCalculatorILi1EjESF_NS8_15LoadWithoutCastENS8_16StoreWithoutCastELi4ELi1EEEEEvT0_T1_.num_agpr)
	.set _ZN2at6native29vectorized_elementwise_kernelILi8EZZZNS0_12_GLOBAL__N_121bessel_y1_kernel_cudaERNS_18TensorIteratorBaseEENKUlvE_clEvENKUlvE0_clEvEUlfE_St5arrayIPcLm2EEEEviT0_T1_.numbered_sgpr, max(33, .L_ZN2at6native25elementwise_kernel_helperILb0EZZZNS0_12_GLOBAL__N_121bessel_y1_kernel_cudaERNS_18TensorIteratorBaseEENKUlvE_clEvENKUlvE0_clEvEUlfE_NS0_6memory8policies10vectorizedILi4ESt5arrayIPcLm2EELi4EEEEEvT0_T1_.numbered_sgpr, .L_ZN2at6native25elementwise_kernel_helperILb0EZZZNS0_12_GLOBAL__N_121bessel_y1_kernel_cudaERNS_18TensorIteratorBaseEENKUlvE_clEvENKUlvE0_clEvEUlfE_NS0_6memory8policies11unroll_baseILi256ESt5arrayIPcLm2EE23TrivialOffsetCalculatorILi1EjESF_NS8_15LoadWithoutCastENS8_16StoreWithoutCastELi4ELi1EEEEEvT0_T1_.numbered_sgpr)
	.set _ZN2at6native29vectorized_elementwise_kernelILi8EZZZNS0_12_GLOBAL__N_121bessel_y1_kernel_cudaERNS_18TensorIteratorBaseEENKUlvE_clEvENKUlvE0_clEvEUlfE_St5arrayIPcLm2EEEEviT0_T1_.num_named_barrier, max(0, .L_ZN2at6native25elementwise_kernel_helperILb0EZZZNS0_12_GLOBAL__N_121bessel_y1_kernel_cudaERNS_18TensorIteratorBaseEENKUlvE_clEvENKUlvE0_clEvEUlfE_NS0_6memory8policies10vectorizedILi4ESt5arrayIPcLm2EELi4EEEEEvT0_T1_.num_named_barrier, .L_ZN2at6native25elementwise_kernel_helperILb0EZZZNS0_12_GLOBAL__N_121bessel_y1_kernel_cudaERNS_18TensorIteratorBaseEENKUlvE_clEvENKUlvE0_clEvEUlfE_NS0_6memory8policies11unroll_baseILi256ESt5arrayIPcLm2EE23TrivialOffsetCalculatorILi1EjESF_NS8_15LoadWithoutCastENS8_16StoreWithoutCastELi4ELi1EEEEEvT0_T1_.num_named_barrier)
	.set _ZN2at6native29vectorized_elementwise_kernelILi8EZZZNS0_12_GLOBAL__N_121bessel_y1_kernel_cudaERNS_18TensorIteratorBaseEENKUlvE_clEvENKUlvE0_clEvEUlfE_St5arrayIPcLm2EEEEviT0_T1_.private_seg_size, 0+max(.L_ZN2at6native25elementwise_kernel_helperILb0EZZZNS0_12_GLOBAL__N_121bessel_y1_kernel_cudaERNS_18TensorIteratorBaseEENKUlvE_clEvENKUlvE0_clEvEUlfE_NS0_6memory8policies10vectorizedILi4ESt5arrayIPcLm2EELi4EEEEEvT0_T1_.private_seg_size, .L_ZN2at6native25elementwise_kernel_helperILb0EZZZNS0_12_GLOBAL__N_121bessel_y1_kernel_cudaERNS_18TensorIteratorBaseEENKUlvE_clEvENKUlvE0_clEvEUlfE_NS0_6memory8policies11unroll_baseILi256ESt5arrayIPcLm2EE23TrivialOffsetCalculatorILi1EjESF_NS8_15LoadWithoutCastENS8_16StoreWithoutCastELi4ELi1EEEEEvT0_T1_.private_seg_size)
	.set _ZN2at6native29vectorized_elementwise_kernelILi8EZZZNS0_12_GLOBAL__N_121bessel_y1_kernel_cudaERNS_18TensorIteratorBaseEENKUlvE_clEvENKUlvE0_clEvEUlfE_St5arrayIPcLm2EEEEviT0_T1_.uses_vcc, or(1, .L_ZN2at6native25elementwise_kernel_helperILb0EZZZNS0_12_GLOBAL__N_121bessel_y1_kernel_cudaERNS_18TensorIteratorBaseEENKUlvE_clEvENKUlvE0_clEvEUlfE_NS0_6memory8policies10vectorizedILi4ESt5arrayIPcLm2EELi4EEEEEvT0_T1_.uses_vcc, .L_ZN2at6native25elementwise_kernel_helperILb0EZZZNS0_12_GLOBAL__N_121bessel_y1_kernel_cudaERNS_18TensorIteratorBaseEENKUlvE_clEvENKUlvE0_clEvEUlfE_NS0_6memory8policies11unroll_baseILi256ESt5arrayIPcLm2EE23TrivialOffsetCalculatorILi1EjESF_NS8_15LoadWithoutCastENS8_16StoreWithoutCastELi4ELi1EEEEEvT0_T1_.uses_vcc)
	.set _ZN2at6native29vectorized_elementwise_kernelILi8EZZZNS0_12_GLOBAL__N_121bessel_y1_kernel_cudaERNS_18TensorIteratorBaseEENKUlvE_clEvENKUlvE0_clEvEUlfE_St5arrayIPcLm2EEEEviT0_T1_.uses_flat_scratch, or(0, .L_ZN2at6native25elementwise_kernel_helperILb0EZZZNS0_12_GLOBAL__N_121bessel_y1_kernel_cudaERNS_18TensorIteratorBaseEENKUlvE_clEvENKUlvE0_clEvEUlfE_NS0_6memory8policies10vectorizedILi4ESt5arrayIPcLm2EELi4EEEEEvT0_T1_.uses_flat_scratch, .L_ZN2at6native25elementwise_kernel_helperILb0EZZZNS0_12_GLOBAL__N_121bessel_y1_kernel_cudaERNS_18TensorIteratorBaseEENKUlvE_clEvENKUlvE0_clEvEUlfE_NS0_6memory8policies11unroll_baseILi256ESt5arrayIPcLm2EE23TrivialOffsetCalculatorILi1EjESF_NS8_15LoadWithoutCastENS8_16StoreWithoutCastELi4ELi1EEEEEvT0_T1_.uses_flat_scratch)
	.set _ZN2at6native29vectorized_elementwise_kernelILi8EZZZNS0_12_GLOBAL__N_121bessel_y1_kernel_cudaERNS_18TensorIteratorBaseEENKUlvE_clEvENKUlvE0_clEvEUlfE_St5arrayIPcLm2EEEEviT0_T1_.has_dyn_sized_stack, or(0, .L_ZN2at6native25elementwise_kernel_helperILb0EZZZNS0_12_GLOBAL__N_121bessel_y1_kernel_cudaERNS_18TensorIteratorBaseEENKUlvE_clEvENKUlvE0_clEvEUlfE_NS0_6memory8policies10vectorizedILi4ESt5arrayIPcLm2EELi4EEEEEvT0_T1_.has_dyn_sized_stack, .L_ZN2at6native25elementwise_kernel_helperILb0EZZZNS0_12_GLOBAL__N_121bessel_y1_kernel_cudaERNS_18TensorIteratorBaseEENKUlvE_clEvENKUlvE0_clEvEUlfE_NS0_6memory8policies11unroll_baseILi256ESt5arrayIPcLm2EE23TrivialOffsetCalculatorILi1EjESF_NS8_15LoadWithoutCastENS8_16StoreWithoutCastELi4ELi1EEEEEvT0_T1_.has_dyn_sized_stack)
	.set _ZN2at6native29vectorized_elementwise_kernelILi8EZZZNS0_12_GLOBAL__N_121bessel_y1_kernel_cudaERNS_18TensorIteratorBaseEENKUlvE_clEvENKUlvE0_clEvEUlfE_St5arrayIPcLm2EEEEviT0_T1_.has_recursion, or(0, .L_ZN2at6native25elementwise_kernel_helperILb0EZZZNS0_12_GLOBAL__N_121bessel_y1_kernel_cudaERNS_18TensorIteratorBaseEENKUlvE_clEvENKUlvE0_clEvEUlfE_NS0_6memory8policies10vectorizedILi4ESt5arrayIPcLm2EELi4EEEEEvT0_T1_.has_recursion, .L_ZN2at6native25elementwise_kernel_helperILb0EZZZNS0_12_GLOBAL__N_121bessel_y1_kernel_cudaERNS_18TensorIteratorBaseEENKUlvE_clEvENKUlvE0_clEvEUlfE_NS0_6memory8policies11unroll_baseILi256ESt5arrayIPcLm2EE23TrivialOffsetCalculatorILi1EjESF_NS8_15LoadWithoutCastENS8_16StoreWithoutCastELi4ELi1EEEEEvT0_T1_.has_recursion)
	.set _ZN2at6native29vectorized_elementwise_kernelILi8EZZZNS0_12_GLOBAL__N_121bessel_y1_kernel_cudaERNS_18TensorIteratorBaseEENKUlvE_clEvENKUlvE0_clEvEUlfE_St5arrayIPcLm2EEEEviT0_T1_.has_indirect_call, or(0, .L_ZN2at6native25elementwise_kernel_helperILb0EZZZNS0_12_GLOBAL__N_121bessel_y1_kernel_cudaERNS_18TensorIteratorBaseEENKUlvE_clEvENKUlvE0_clEvEUlfE_NS0_6memory8policies10vectorizedILi4ESt5arrayIPcLm2EELi4EEEEEvT0_T1_.has_indirect_call, .L_ZN2at6native25elementwise_kernel_helperILb0EZZZNS0_12_GLOBAL__N_121bessel_y1_kernel_cudaERNS_18TensorIteratorBaseEENKUlvE_clEvENKUlvE0_clEvEUlfE_NS0_6memory8policies11unroll_baseILi256ESt5arrayIPcLm2EE23TrivialOffsetCalculatorILi1EjESF_NS8_15LoadWithoutCastENS8_16StoreWithoutCastELi4ELi1EEEEEvT0_T1_.has_indirect_call)
	.section	.AMDGPU.csdata,"",@progbits
; Kernel info:
; codeLenInByte = 212
; TotalNumSgprs: 35
; NumVgprs: 50
; ScratchSize: 0
; MemoryBound: 0
; FloatMode: 240
; IeeeMode: 1
; LDSByteSize: 0 bytes/workgroup (compile time only)
; SGPRBlocks: 0
; VGPRBlocks: 3
; NumSGPRsForWavesPerEU: 35
; NumVGPRsForWavesPerEU: 50
; NamedBarCnt: 0
; Occupancy: 16
; WaveLimiterHint : 0
; COMPUTE_PGM_RSRC2:SCRATCH_EN: 0
; COMPUTE_PGM_RSRC2:USER_SGPR: 2
; COMPUTE_PGM_RSRC2:TRAP_HANDLER: 0
; COMPUTE_PGM_RSRC2:TGID_X_EN: 1
; COMPUTE_PGM_RSRC2:TGID_Y_EN: 0
; COMPUTE_PGM_RSRC2:TGID_Z_EN: 0
; COMPUTE_PGM_RSRC2:TIDIG_COMP_CNT: 0
	.section	.text._ZN2at6native29vectorized_elementwise_kernelILi4EZZZNS0_12_GLOBAL__N_121bessel_y1_kernel_cudaERNS_18TensorIteratorBaseEENKUlvE_clEvENKUlvE0_clEvEUlfE_St5arrayIPcLm2EEEEviT0_T1_,"axG",@progbits,_ZN2at6native29vectorized_elementwise_kernelILi4EZZZNS0_12_GLOBAL__N_121bessel_y1_kernel_cudaERNS_18TensorIteratorBaseEENKUlvE_clEvENKUlvE0_clEvEUlfE_St5arrayIPcLm2EEEEviT0_T1_,comdat
	.globl	_ZN2at6native29vectorized_elementwise_kernelILi4EZZZNS0_12_GLOBAL__N_121bessel_y1_kernel_cudaERNS_18TensorIteratorBaseEENKUlvE_clEvENKUlvE0_clEvEUlfE_St5arrayIPcLm2EEEEviT0_T1_ ; -- Begin function _ZN2at6native29vectorized_elementwise_kernelILi4EZZZNS0_12_GLOBAL__N_121bessel_y1_kernel_cudaERNS_18TensorIteratorBaseEENKUlvE_clEvENKUlvE0_clEvEUlfE_St5arrayIPcLm2EEEEviT0_T1_
	.p2align	8
	.type	_ZN2at6native29vectorized_elementwise_kernelILi4EZZZNS0_12_GLOBAL__N_121bessel_y1_kernel_cudaERNS_18TensorIteratorBaseEENKUlvE_clEvENKUlvE0_clEvEUlfE_St5arrayIPcLm2EEEEviT0_T1_,@function
_ZN2at6native29vectorized_elementwise_kernelILi4EZZZNS0_12_GLOBAL__N_121bessel_y1_kernel_cudaERNS_18TensorIteratorBaseEENKUlvE_clEvENKUlvE0_clEvEUlfE_St5arrayIPcLm2EEEEviT0_T1_: ; @_ZN2at6native29vectorized_elementwise_kernelILi4EZZZNS0_12_GLOBAL__N_121bessel_y1_kernel_cudaERNS_18TensorIteratorBaseEENKUlvE_clEvENKUlvE0_clEvEUlfE_St5arrayIPcLm2EEEEviT0_T1_
; %bb.0:
	s_clause 0x1
	s_load_b32 s2, s[0:1], 0x0
	s_load_b128 s[8:11], s[0:1], 0x8
	s_wait_xcnt 0x0
	s_bfe_u32 s0, ttmp6, 0x4000c
	s_and_b32 s1, ttmp6, 15
	s_add_co_i32 s0, s0, 1
	s_getreg_b32 s3, hwreg(HW_REG_IB_STS2, 6, 4)
	s_mul_i32 s0, ttmp9, s0
	v_mov_b32_e32 v37, v0
	s_add_co_i32 s1, s1, s0
	s_cmp_eq_u32 s3, 0
	s_mov_b32 s32, 0
	s_cselect_b32 s0, ttmp9, s1
	s_delay_alu instid0(SALU_CYCLE_1)
	s_lshl_b32 s0, s0, 10
	s_wait_kmcnt 0x0
	s_sub_co_i32 s12, s2, s0
	s_mov_b32 s0, -1
	s_cmp_gt_i32 s12, 0x3ff
	s_cbranch_scc1 .LBB16_3
; %bb.1:
	s_and_not1_b32 vcc_lo, exec_lo, s0
	s_cbranch_vccz .LBB16_4
.LBB16_2:
	s_endpgm
.LBB16_3:
	v_dual_mov_b32 v31, v37 :: v_dual_mov_b32 v0, s8
	v_dual_mov_b32 v1, s9 :: v_dual_mov_b32 v2, s10
	v_mov_b32_e32 v3, s11
	s_get_pc_i64 s[0:1]
	s_add_nc_u64 s[0:1], s[0:1], _ZN2at6native25elementwise_kernel_helperILb0EZZZNS0_12_GLOBAL__N_121bessel_y1_kernel_cudaERNS_18TensorIteratorBaseEENKUlvE_clEvENKUlvE0_clEvEUlfE_NS0_6memory8policies10vectorizedILi4ESt5arrayIPcLm2EELi4EEEEEvT0_T1_@rel64+4
	s_delay_alu instid0(SALU_CYCLE_1)
	s_swap_pc_i64 s[30:31], s[0:1]
	s_cbranch_execnz .LBB16_2
.LBB16_4:
	v_dual_mov_b32 v31, v37 :: v_dual_mov_b32 v0, s8
	v_dual_mov_b32 v1, s9 :: v_dual_mov_b32 v2, s10
	;; [unrolled: 1-line block ×3, first 2 shown]
	s_get_pc_i64 s[0:1]
	s_add_nc_u64 s[0:1], s[0:1], _ZN2at6native25elementwise_kernel_helperILb0EZZZNS0_12_GLOBAL__N_121bessel_y1_kernel_cudaERNS_18TensorIteratorBaseEENKUlvE_clEvENKUlvE0_clEvEUlfE_NS0_6memory8policies11unroll_baseILi256ESt5arrayIPcLm2EE23TrivialOffsetCalculatorILi1EjESF_NS8_15LoadWithoutCastENS8_16StoreWithoutCastELi4ELi1EEEEEvT0_T1_@rel64+4
	s_delay_alu instid0(SALU_CYCLE_1)
	s_swap_pc_i64 s[30:31], s[0:1]
	s_endpgm
	.section	.rodata,"a",@progbits
	.p2align	6, 0x0
	.amdhsa_kernel _ZN2at6native29vectorized_elementwise_kernelILi4EZZZNS0_12_GLOBAL__N_121bessel_y1_kernel_cudaERNS_18TensorIteratorBaseEENKUlvE_clEvENKUlvE0_clEvEUlfE_St5arrayIPcLm2EEEEviT0_T1_
		.amdhsa_group_segment_fixed_size 0
		.amdhsa_private_segment_fixed_size 0
		.amdhsa_kernarg_size 24
		.amdhsa_user_sgpr_count 2
		.amdhsa_user_sgpr_dispatch_ptr 0
		.amdhsa_user_sgpr_queue_ptr 0
		.amdhsa_user_sgpr_kernarg_segment_ptr 1
		.amdhsa_user_sgpr_dispatch_id 0
		.amdhsa_user_sgpr_kernarg_preload_length 0
		.amdhsa_user_sgpr_kernarg_preload_offset 0
		.amdhsa_user_sgpr_private_segment_size 0
		.amdhsa_wavefront_size32 1
		.amdhsa_uses_dynamic_stack 0
		.amdhsa_enable_private_segment 0
		.amdhsa_system_sgpr_workgroup_id_x 1
		.amdhsa_system_sgpr_workgroup_id_y 0
		.amdhsa_system_sgpr_workgroup_id_z 0
		.amdhsa_system_sgpr_workgroup_info 0
		.amdhsa_system_vgpr_workitem_id 0
		.amdhsa_next_free_vgpr 50
		.amdhsa_next_free_sgpr 33
		.amdhsa_named_barrier_count 0
		.amdhsa_reserve_vcc 1
		.amdhsa_float_round_mode_32 0
		.amdhsa_float_round_mode_16_64 0
		.amdhsa_float_denorm_mode_32 3
		.amdhsa_float_denorm_mode_16_64 3
		.amdhsa_fp16_overflow 0
		.amdhsa_memory_ordered 1
		.amdhsa_forward_progress 1
		.amdhsa_inst_pref_size 2
		.amdhsa_round_robin_scheduling 0
		.amdhsa_exception_fp_ieee_invalid_op 0
		.amdhsa_exception_fp_denorm_src 0
		.amdhsa_exception_fp_ieee_div_zero 0
		.amdhsa_exception_fp_ieee_overflow 0
		.amdhsa_exception_fp_ieee_underflow 0
		.amdhsa_exception_fp_ieee_inexact 0
		.amdhsa_exception_int_div_zero 0
	.end_amdhsa_kernel
	.section	.text._ZN2at6native29vectorized_elementwise_kernelILi4EZZZNS0_12_GLOBAL__N_121bessel_y1_kernel_cudaERNS_18TensorIteratorBaseEENKUlvE_clEvENKUlvE0_clEvEUlfE_St5arrayIPcLm2EEEEviT0_T1_,"axG",@progbits,_ZN2at6native29vectorized_elementwise_kernelILi4EZZZNS0_12_GLOBAL__N_121bessel_y1_kernel_cudaERNS_18TensorIteratorBaseEENKUlvE_clEvENKUlvE0_clEvEUlfE_St5arrayIPcLm2EEEEviT0_T1_,comdat
.Lfunc_end16:
	.size	_ZN2at6native29vectorized_elementwise_kernelILi4EZZZNS0_12_GLOBAL__N_121bessel_y1_kernel_cudaERNS_18TensorIteratorBaseEENKUlvE_clEvENKUlvE0_clEvEUlfE_St5arrayIPcLm2EEEEviT0_T1_, .Lfunc_end16-_ZN2at6native29vectorized_elementwise_kernelILi4EZZZNS0_12_GLOBAL__N_121bessel_y1_kernel_cudaERNS_18TensorIteratorBaseEENKUlvE_clEvENKUlvE0_clEvEUlfE_St5arrayIPcLm2EEEEviT0_T1_
                                        ; -- End function
	.set _ZN2at6native29vectorized_elementwise_kernelILi4EZZZNS0_12_GLOBAL__N_121bessel_y1_kernel_cudaERNS_18TensorIteratorBaseEENKUlvE_clEvENKUlvE0_clEvEUlfE_St5arrayIPcLm2EEEEviT0_T1_.num_vgpr, max(38, .L_ZN2at6native25elementwise_kernel_helperILb0EZZZNS0_12_GLOBAL__N_121bessel_y1_kernel_cudaERNS_18TensorIteratorBaseEENKUlvE_clEvENKUlvE0_clEvEUlfE_NS0_6memory8policies10vectorizedILi4ESt5arrayIPcLm2EELi4EEEEEvT0_T1_.num_vgpr, .L_ZN2at6native25elementwise_kernel_helperILb0EZZZNS0_12_GLOBAL__N_121bessel_y1_kernel_cudaERNS_18TensorIteratorBaseEENKUlvE_clEvENKUlvE0_clEvEUlfE_NS0_6memory8policies11unroll_baseILi256ESt5arrayIPcLm2EE23TrivialOffsetCalculatorILi1EjESF_NS8_15LoadWithoutCastENS8_16StoreWithoutCastELi4ELi1EEEEEvT0_T1_.num_vgpr)
	.set _ZN2at6native29vectorized_elementwise_kernelILi4EZZZNS0_12_GLOBAL__N_121bessel_y1_kernel_cudaERNS_18TensorIteratorBaseEENKUlvE_clEvENKUlvE0_clEvEUlfE_St5arrayIPcLm2EEEEviT0_T1_.num_agpr, max(0, .L_ZN2at6native25elementwise_kernel_helperILb0EZZZNS0_12_GLOBAL__N_121bessel_y1_kernel_cudaERNS_18TensorIteratorBaseEENKUlvE_clEvENKUlvE0_clEvEUlfE_NS0_6memory8policies10vectorizedILi4ESt5arrayIPcLm2EELi4EEEEEvT0_T1_.num_agpr, .L_ZN2at6native25elementwise_kernel_helperILb0EZZZNS0_12_GLOBAL__N_121bessel_y1_kernel_cudaERNS_18TensorIteratorBaseEENKUlvE_clEvENKUlvE0_clEvEUlfE_NS0_6memory8policies11unroll_baseILi256ESt5arrayIPcLm2EE23TrivialOffsetCalculatorILi1EjESF_NS8_15LoadWithoutCastENS8_16StoreWithoutCastELi4ELi1EEEEEvT0_T1_.num_agpr)
	.set _ZN2at6native29vectorized_elementwise_kernelILi4EZZZNS0_12_GLOBAL__N_121bessel_y1_kernel_cudaERNS_18TensorIteratorBaseEENKUlvE_clEvENKUlvE0_clEvEUlfE_St5arrayIPcLm2EEEEviT0_T1_.numbered_sgpr, max(33, .L_ZN2at6native25elementwise_kernel_helperILb0EZZZNS0_12_GLOBAL__N_121bessel_y1_kernel_cudaERNS_18TensorIteratorBaseEENKUlvE_clEvENKUlvE0_clEvEUlfE_NS0_6memory8policies10vectorizedILi4ESt5arrayIPcLm2EELi4EEEEEvT0_T1_.numbered_sgpr, .L_ZN2at6native25elementwise_kernel_helperILb0EZZZNS0_12_GLOBAL__N_121bessel_y1_kernel_cudaERNS_18TensorIteratorBaseEENKUlvE_clEvENKUlvE0_clEvEUlfE_NS0_6memory8policies11unroll_baseILi256ESt5arrayIPcLm2EE23TrivialOffsetCalculatorILi1EjESF_NS8_15LoadWithoutCastENS8_16StoreWithoutCastELi4ELi1EEEEEvT0_T1_.numbered_sgpr)
	.set _ZN2at6native29vectorized_elementwise_kernelILi4EZZZNS0_12_GLOBAL__N_121bessel_y1_kernel_cudaERNS_18TensorIteratorBaseEENKUlvE_clEvENKUlvE0_clEvEUlfE_St5arrayIPcLm2EEEEviT0_T1_.num_named_barrier, max(0, .L_ZN2at6native25elementwise_kernel_helperILb0EZZZNS0_12_GLOBAL__N_121bessel_y1_kernel_cudaERNS_18TensorIteratorBaseEENKUlvE_clEvENKUlvE0_clEvEUlfE_NS0_6memory8policies10vectorizedILi4ESt5arrayIPcLm2EELi4EEEEEvT0_T1_.num_named_barrier, .L_ZN2at6native25elementwise_kernel_helperILb0EZZZNS0_12_GLOBAL__N_121bessel_y1_kernel_cudaERNS_18TensorIteratorBaseEENKUlvE_clEvENKUlvE0_clEvEUlfE_NS0_6memory8policies11unroll_baseILi256ESt5arrayIPcLm2EE23TrivialOffsetCalculatorILi1EjESF_NS8_15LoadWithoutCastENS8_16StoreWithoutCastELi4ELi1EEEEEvT0_T1_.num_named_barrier)
	.set _ZN2at6native29vectorized_elementwise_kernelILi4EZZZNS0_12_GLOBAL__N_121bessel_y1_kernel_cudaERNS_18TensorIteratorBaseEENKUlvE_clEvENKUlvE0_clEvEUlfE_St5arrayIPcLm2EEEEviT0_T1_.private_seg_size, 0+max(.L_ZN2at6native25elementwise_kernel_helperILb0EZZZNS0_12_GLOBAL__N_121bessel_y1_kernel_cudaERNS_18TensorIteratorBaseEENKUlvE_clEvENKUlvE0_clEvEUlfE_NS0_6memory8policies10vectorizedILi4ESt5arrayIPcLm2EELi4EEEEEvT0_T1_.private_seg_size, .L_ZN2at6native25elementwise_kernel_helperILb0EZZZNS0_12_GLOBAL__N_121bessel_y1_kernel_cudaERNS_18TensorIteratorBaseEENKUlvE_clEvENKUlvE0_clEvEUlfE_NS0_6memory8policies11unroll_baseILi256ESt5arrayIPcLm2EE23TrivialOffsetCalculatorILi1EjESF_NS8_15LoadWithoutCastENS8_16StoreWithoutCastELi4ELi1EEEEEvT0_T1_.private_seg_size)
	.set _ZN2at6native29vectorized_elementwise_kernelILi4EZZZNS0_12_GLOBAL__N_121bessel_y1_kernel_cudaERNS_18TensorIteratorBaseEENKUlvE_clEvENKUlvE0_clEvEUlfE_St5arrayIPcLm2EEEEviT0_T1_.uses_vcc, or(1, .L_ZN2at6native25elementwise_kernel_helperILb0EZZZNS0_12_GLOBAL__N_121bessel_y1_kernel_cudaERNS_18TensorIteratorBaseEENKUlvE_clEvENKUlvE0_clEvEUlfE_NS0_6memory8policies10vectorizedILi4ESt5arrayIPcLm2EELi4EEEEEvT0_T1_.uses_vcc, .L_ZN2at6native25elementwise_kernel_helperILb0EZZZNS0_12_GLOBAL__N_121bessel_y1_kernel_cudaERNS_18TensorIteratorBaseEENKUlvE_clEvENKUlvE0_clEvEUlfE_NS0_6memory8policies11unroll_baseILi256ESt5arrayIPcLm2EE23TrivialOffsetCalculatorILi1EjESF_NS8_15LoadWithoutCastENS8_16StoreWithoutCastELi4ELi1EEEEEvT0_T1_.uses_vcc)
	.set _ZN2at6native29vectorized_elementwise_kernelILi4EZZZNS0_12_GLOBAL__N_121bessel_y1_kernel_cudaERNS_18TensorIteratorBaseEENKUlvE_clEvENKUlvE0_clEvEUlfE_St5arrayIPcLm2EEEEviT0_T1_.uses_flat_scratch, or(0, .L_ZN2at6native25elementwise_kernel_helperILb0EZZZNS0_12_GLOBAL__N_121bessel_y1_kernel_cudaERNS_18TensorIteratorBaseEENKUlvE_clEvENKUlvE0_clEvEUlfE_NS0_6memory8policies10vectorizedILi4ESt5arrayIPcLm2EELi4EEEEEvT0_T1_.uses_flat_scratch, .L_ZN2at6native25elementwise_kernel_helperILb0EZZZNS0_12_GLOBAL__N_121bessel_y1_kernel_cudaERNS_18TensorIteratorBaseEENKUlvE_clEvENKUlvE0_clEvEUlfE_NS0_6memory8policies11unroll_baseILi256ESt5arrayIPcLm2EE23TrivialOffsetCalculatorILi1EjESF_NS8_15LoadWithoutCastENS8_16StoreWithoutCastELi4ELi1EEEEEvT0_T1_.uses_flat_scratch)
	.set _ZN2at6native29vectorized_elementwise_kernelILi4EZZZNS0_12_GLOBAL__N_121bessel_y1_kernel_cudaERNS_18TensorIteratorBaseEENKUlvE_clEvENKUlvE0_clEvEUlfE_St5arrayIPcLm2EEEEviT0_T1_.has_dyn_sized_stack, or(0, .L_ZN2at6native25elementwise_kernel_helperILb0EZZZNS0_12_GLOBAL__N_121bessel_y1_kernel_cudaERNS_18TensorIteratorBaseEENKUlvE_clEvENKUlvE0_clEvEUlfE_NS0_6memory8policies10vectorizedILi4ESt5arrayIPcLm2EELi4EEEEEvT0_T1_.has_dyn_sized_stack, .L_ZN2at6native25elementwise_kernel_helperILb0EZZZNS0_12_GLOBAL__N_121bessel_y1_kernel_cudaERNS_18TensorIteratorBaseEENKUlvE_clEvENKUlvE0_clEvEUlfE_NS0_6memory8policies11unroll_baseILi256ESt5arrayIPcLm2EE23TrivialOffsetCalculatorILi1EjESF_NS8_15LoadWithoutCastENS8_16StoreWithoutCastELi4ELi1EEEEEvT0_T1_.has_dyn_sized_stack)
	.set _ZN2at6native29vectorized_elementwise_kernelILi4EZZZNS0_12_GLOBAL__N_121bessel_y1_kernel_cudaERNS_18TensorIteratorBaseEENKUlvE_clEvENKUlvE0_clEvEUlfE_St5arrayIPcLm2EEEEviT0_T1_.has_recursion, or(0, .L_ZN2at6native25elementwise_kernel_helperILb0EZZZNS0_12_GLOBAL__N_121bessel_y1_kernel_cudaERNS_18TensorIteratorBaseEENKUlvE_clEvENKUlvE0_clEvEUlfE_NS0_6memory8policies10vectorizedILi4ESt5arrayIPcLm2EELi4EEEEEvT0_T1_.has_recursion, .L_ZN2at6native25elementwise_kernel_helperILb0EZZZNS0_12_GLOBAL__N_121bessel_y1_kernel_cudaERNS_18TensorIteratorBaseEENKUlvE_clEvENKUlvE0_clEvEUlfE_NS0_6memory8policies11unroll_baseILi256ESt5arrayIPcLm2EE23TrivialOffsetCalculatorILi1EjESF_NS8_15LoadWithoutCastENS8_16StoreWithoutCastELi4ELi1EEEEEvT0_T1_.has_recursion)
	.set _ZN2at6native29vectorized_elementwise_kernelILi4EZZZNS0_12_GLOBAL__N_121bessel_y1_kernel_cudaERNS_18TensorIteratorBaseEENKUlvE_clEvENKUlvE0_clEvEUlfE_St5arrayIPcLm2EEEEviT0_T1_.has_indirect_call, or(0, .L_ZN2at6native25elementwise_kernel_helperILb0EZZZNS0_12_GLOBAL__N_121bessel_y1_kernel_cudaERNS_18TensorIteratorBaseEENKUlvE_clEvENKUlvE0_clEvEUlfE_NS0_6memory8policies10vectorizedILi4ESt5arrayIPcLm2EELi4EEEEEvT0_T1_.has_indirect_call, .L_ZN2at6native25elementwise_kernel_helperILb0EZZZNS0_12_GLOBAL__N_121bessel_y1_kernel_cudaERNS_18TensorIteratorBaseEENKUlvE_clEvENKUlvE0_clEvEUlfE_NS0_6memory8policies11unroll_baseILi256ESt5arrayIPcLm2EE23TrivialOffsetCalculatorILi1EjESF_NS8_15LoadWithoutCastENS8_16StoreWithoutCastELi4ELi1EEEEEvT0_T1_.has_indirect_call)
	.section	.AMDGPU.csdata,"",@progbits
; Kernel info:
; codeLenInByte = 212
; TotalNumSgprs: 35
; NumVgprs: 50
; ScratchSize: 0
; MemoryBound: 0
; FloatMode: 240
; IeeeMode: 1
; LDSByteSize: 0 bytes/workgroup (compile time only)
; SGPRBlocks: 0
; VGPRBlocks: 3
; NumSGPRsForWavesPerEU: 35
; NumVGPRsForWavesPerEU: 50
; NamedBarCnt: 0
; Occupancy: 16
; WaveLimiterHint : 0
; COMPUTE_PGM_RSRC2:SCRATCH_EN: 0
; COMPUTE_PGM_RSRC2:USER_SGPR: 2
; COMPUTE_PGM_RSRC2:TRAP_HANDLER: 0
; COMPUTE_PGM_RSRC2:TGID_X_EN: 1
; COMPUTE_PGM_RSRC2:TGID_Y_EN: 0
; COMPUTE_PGM_RSRC2:TGID_Z_EN: 0
; COMPUTE_PGM_RSRC2:TIDIG_COMP_CNT: 0
	.section	.text._ZN2at6native29vectorized_elementwise_kernelILi2EZZZNS0_12_GLOBAL__N_121bessel_y1_kernel_cudaERNS_18TensorIteratorBaseEENKUlvE_clEvENKUlvE0_clEvEUlfE_St5arrayIPcLm2EEEEviT0_T1_,"axG",@progbits,_ZN2at6native29vectorized_elementwise_kernelILi2EZZZNS0_12_GLOBAL__N_121bessel_y1_kernel_cudaERNS_18TensorIteratorBaseEENKUlvE_clEvENKUlvE0_clEvEUlfE_St5arrayIPcLm2EEEEviT0_T1_,comdat
	.globl	_ZN2at6native29vectorized_elementwise_kernelILi2EZZZNS0_12_GLOBAL__N_121bessel_y1_kernel_cudaERNS_18TensorIteratorBaseEENKUlvE_clEvENKUlvE0_clEvEUlfE_St5arrayIPcLm2EEEEviT0_T1_ ; -- Begin function _ZN2at6native29vectorized_elementwise_kernelILi2EZZZNS0_12_GLOBAL__N_121bessel_y1_kernel_cudaERNS_18TensorIteratorBaseEENKUlvE_clEvENKUlvE0_clEvEUlfE_St5arrayIPcLm2EEEEviT0_T1_
	.p2align	8
	.type	_ZN2at6native29vectorized_elementwise_kernelILi2EZZZNS0_12_GLOBAL__N_121bessel_y1_kernel_cudaERNS_18TensorIteratorBaseEENKUlvE_clEvENKUlvE0_clEvEUlfE_St5arrayIPcLm2EEEEviT0_T1_,@function
_ZN2at6native29vectorized_elementwise_kernelILi2EZZZNS0_12_GLOBAL__N_121bessel_y1_kernel_cudaERNS_18TensorIteratorBaseEENKUlvE_clEvENKUlvE0_clEvEUlfE_St5arrayIPcLm2EEEEviT0_T1_: ; @_ZN2at6native29vectorized_elementwise_kernelILi2EZZZNS0_12_GLOBAL__N_121bessel_y1_kernel_cudaERNS_18TensorIteratorBaseEENKUlvE_clEvENKUlvE0_clEvEUlfE_St5arrayIPcLm2EEEEviT0_T1_
; %bb.0:
	s_clause 0x1
	s_load_b32 s2, s[0:1], 0x0
	s_load_b128 s[4:7], s[0:1], 0x8
	s_wait_xcnt 0x0
	s_bfe_u32 s0, ttmp6, 0x4000c
	s_and_b32 s1, ttmp6, 15
	s_add_co_i32 s0, s0, 1
	s_getreg_b32 s3, hwreg(HW_REG_IB_STS2, 6, 4)
	s_mul_i32 s0, ttmp9, s0
	s_mov_b32 s32, 0
	s_add_co_i32 s1, s1, s0
	s_cmp_eq_u32 s3, 0
	s_cselect_b32 s0, ttmp9, s1
	s_mov_b32 s1, -1
	s_lshl_b32 s0, s0, 10
	s_wait_kmcnt 0x0
	s_sub_co_i32 s3, s2, s0
	s_delay_alu instid0(SALU_CYCLE_1)
	s_cmp_gt_i32 s3, 0x3ff
	s_cbranch_scc0 .LBB17_10
; %bb.1:
	s_ashr_i32 s1, s0, 31
                                        ; implicit-def: $vgpr4
	s_delay_alu instid0(SALU_CYCLE_1) | instskip(NEXT) | instid1(SALU_CYCLE_1)
	s_lshl_b64 s[8:9], s[0:1], 2
	s_add_nc_u64 s[0:1], s[6:7], s[8:9]
	s_clause 0x1
	global_load_b64 v[6:7], v0, s[0:1] scale_offset
	global_load_b64 v[2:3], v0, s[0:1] offset:2048 scale_offset
	s_wait_xcnt 0x0
	s_mov_b32 s0, exec_lo
	s_wait_loadcnt 0x1
	v_cmpx_ge_f32_e32 0x40a00000, v6
	s_xor_b32 s10, exec_lo, s0
	s_cbranch_execz .LBB17_7
; %bb.2:
	v_mov_b32_e32 v4, 0xff800000
	s_mov_b32 s11, exec_lo
	v_cmpx_neq_f32_e32 0, v6
	s_cbranch_execz .LBB17_6
; %bb.3:
	v_mov_b32_e32 v4, 0x7fc00000
	s_mov_b32 s12, exec_lo
	v_cmpx_nge_f32_e32 0, v6
	s_cbranch_execz .LBB17_5
; %bb.4:
	v_mul_f32_e32 v4, v6, v6
	v_mov_b64_e32 v[8:9], 0x4c8c277d4e9695f3
	v_mov_b64_e32 v[12:13], 0x508bc61dd316b96b
	v_mov_b64_e32 v[14:15], 0x5461faf856d04aa6
	v_mov_b64_e32 v[16:17], 0x548a37dcce5691e2
	v_dual_fmaak_f32 v1, 0, v4, 0x4414934d :: v_dual_mul_f32 v10, 0, v4
	v_fmaak_f32 v5, 0, v4, 0x441b3589
	v_mov_b64_e32 v[18:19], 0x5832585252d295d0
	v_cmp_gt_f32_e64 s0, 0x800000, v6
	s_delay_alu instid0(VALU_DEP_4) | instskip(SKIP_2) | instid1(VALU_DEP_3)
	v_fmaak_f32 v1, v4, v1, 0x48660b06
	v_div_scale_f32 v24, s2, -1.0, v6, -1.0
	v_fmaak_f32 v5, v4, v5, 0x487af6d0
	v_mul_f32_e32 v11, v4, v1
	s_delay_alu instid0(VALU_DEP_2) | instskip(NEXT) | instid1(VALU_DEP_2)
	v_fmaak_f32 v1, v4, v5, 0x4c9f4aa7
	v_pk_add_f32 v[8:9], v[10:11], v[8:9]
	s_delay_alu instid0(VALU_DEP_2) | instskip(NEXT) | instid1(VALU_DEP_2)
	v_fmaak_f32 v1, v4, v1, 0x50a509fc
	v_pk_fma_f32 v[8:9], v[4:5], v[8:9], v[12:13] op_sel_hi:[0,1,1]
	v_mov_b64_e32 v[12:13], 0x580d1937d9e700d2
	s_delay_alu instid0(VALU_DEP_3) | instskip(NEXT) | instid1(VALU_DEP_3)
	v_mul_f32_e32 v11, v4, v1
	v_pk_fma_f32 v[8:9], v[4:5], v[8:9], v[14:15] op_sel_hi:[0,1,1]
	v_mov_b64_e32 v[14:15], 0x5b741f1e5c33cd68
	s_delay_alu instid0(VALU_DEP_3) | instskip(SKIP_1) | instid1(VALU_DEP_4)
	v_pk_add_f32 v[10:11], v[10:11], v[16:17]
	v_mov_b64_e32 v[16:17], 0x5b9f0600d6845497
	v_pk_fma_f32 v[8:9], v[4:5], v[8:9], v[12:13] op_sel_hi:[0,1,1]
	v_mov_b64_e32 v[12:13], 0x5e5c878ddd2cf20b
	s_delay_alu instid0(VALU_DEP_4) | instskip(SKIP_1) | instid1(VALU_DEP_4)
	v_pk_fma_f32 v[10:11], v[4:5], v[10:11], v[18:19] op_sel_hi:[0,1,1]
	v_mov_b64_e32 v[18:19], 0x5e93bcac59515a15
	v_pk_fma_f32 v[8:9], v[4:5], v[8:9], v[14:15] op_sel_hi:[0,1,1]
	v_div_scale_f32 v15, null, v6, v6, -1.0
	s_delay_alu instid0(VALU_DEP_4) | instskip(NEXT) | instid1(VALU_DEP_3)
	v_pk_fma_f32 v[10:11], v[4:5], v[10:11], v[16:17] op_sel_hi:[0,1,1]
	v_pk_fma_f32 v[8:9], v[4:5], v[8:9], v[12:13] op_sel_hi:[0,1,1]
	v_cndmask_b32_e64 v12, 0, 32, s0
	s_delay_alu instid0(VALU_DEP_2) | instskip(NEXT) | instid1(VALU_DEP_2)
	v_div_scale_f32 v1, null, v9, v9, v8
	v_ldexp_f32 v12, v6, v12
	s_delay_alu instid0(VALU_DEP_2) | instskip(NEXT) | instid1(VALU_DEP_1)
	v_rcp_f32_e32 v13, v1
	v_log_f32_e32 v21, v12
	s_delay_alu instid0(TRANS32_DEP_2) | instskip(NEXT) | instid1(VALU_DEP_1)
	v_fma_f32 v16, -v1, v13, 1.0
	v_fmac_f32_e32 v13, v16, v13
	v_pk_fma_f32 v[10:11], v[4:5], v[10:11], v[18:19] op_sel_hi:[0,1,1]
	v_rcp_f32_e32 v16, v15
	v_div_scale_f32 v18, vcc_lo, v8, v9, v8
	s_delay_alu instid0(VALU_DEP_2) | instskip(SKIP_1) | instid1(TRANS32_DEP_1)
	v_div_scale_f32 v5, null, v11, v11, v10
	v_div_scale_f32 v19, s1, v10, v11, v10
	v_fma_f32 v12, -v15, v16, 1.0
	s_delay_alu instid0(VALU_DEP_3) | instskip(NEXT) | instid1(VALU_DEP_1)
	v_rcp_f32_e32 v14, v5
	v_dual_fmac_f32 v16, v12, v16 :: v_dual_mul_f32 v25, 0x3f317217, v21
	s_delay_alu instid0(TRANS32_DEP_1) | instskip(NEXT) | instid1(VALU_DEP_1)
	v_fma_f32 v17, -v5, v14, 1.0
	v_dual_fmac_f32 v14, v17, v14 :: v_dual_mul_f32 v17, v18, v13
	s_delay_alu instid0(VALU_DEP_1) | instskip(NEXT) | instid1(VALU_DEP_1)
	v_dual_mul_f32 v20, v19, v14 :: v_dual_fma_f32 v22, -v1, v17, v18
	v_dual_fma_f32 v23, -v5, v20, v19 :: v_dual_fmac_f32 v17, v22, v13
	s_delay_alu instid0(VALU_DEP_1) | instskip(SKIP_2) | instid1(VALU_DEP_3)
	v_dual_fmac_f32 v20, v23, v14 :: v_dual_fma_f32 v1, -v1, v17, v18
	v_mul_f32_e32 v18, v24, v16
	v_fma_f32 v22, 0x3f317217, v21, -v25
	v_fma_f32 v5, -v5, v20, v19
	s_delay_alu instid0(VALU_DEP_4) | instskip(SKIP_2) | instid1(VALU_DEP_3)
	v_div_fmas_f32 v1, v1, v13, v17
	s_mov_b32 vcc_lo, s1
	v_mov_b64_e32 v[12:13], 0xc16ae95ac244dfb3
	v_div_fmas_f32 v5, v5, v14, v20
	v_fma_f32 v14, -v15, v18, v24
	v_div_fixup_f32 v1, v1, v9, v8
	v_cmp_gt_f32_e64 vcc_lo, 0x7f800000, |v21|
	s_delay_alu instid0(VALU_DEP_4) | instskip(SKIP_3) | instid1(VALU_DEP_4)
	v_div_fixup_f32 v10, v5, v11, v10
	v_pk_add_f32 v[4:5], v[4:5], v[12:13] op_sel_hi:[0,1]
	v_fmac_f32_e32 v18, v14, v16
	v_cndmask_b32_e64 v11, 0, 0x41b17218, s0
	v_mul_f32_e32 v10, v6, v10
	s_delay_alu instid0(VALU_DEP_1) | instskip(NEXT) | instid1(VALU_DEP_1)
	v_mul_f32_e32 v5, v5, v10
	v_dual_fmamk_f32 v17, v21, 0x3377d1cf, v22 :: v_dual_mul_f32 v4, v4, v5
	s_delay_alu instid0(VALU_DEP_1) | instskip(NEXT) | instid1(VALU_DEP_1)
	v_fmac_f32_e32 v17, 0x3f317217, v21
	v_dual_fma_f32 v12, -v15, v18, v24 :: v_dual_cndmask_b32 v13, v21, v17, vcc_lo
	s_mov_b32 vcc_lo, s2
	s_delay_alu instid0(VALU_DEP_1) | instskip(NEXT) | instid1(VALU_DEP_2)
	v_div_fmas_f32 v10, v12, v16, v18
	v_sub_f32_e32 v11, v13, v11
	s_delay_alu instid0(VALU_DEP_2) | instskip(NEXT) | instid1(VALU_DEP_1)
	v_div_fixup_f32 v5, v10, v6, -1.0
	v_fmac_f32_e32 v5, v11, v4
	s_delay_alu instid0(VALU_DEP_1) | instskip(NEXT) | instid1(VALU_DEP_1)
	v_mul_f32_e32 v4, 0x3f22f983, v5
	v_fmac_f32_e32 v4, v6, v1
.LBB17_5:
	s_or_b32 exec_lo, exec_lo, s12
.LBB17_6:
	s_delay_alu instid0(SALU_CYCLE_1)
	s_or_b32 exec_lo, exec_lo, s11
.LBB17_7:
	s_and_not1_saveexec_b32 s10, s10
	s_cbranch_execz .LBB17_19
; %bb.8:
	v_add_f32_e32 v1, 0xc016cbe4, v6
                                        ; implicit-def: $vgpr8
                                        ; implicit-def: $vgpr5
	s_delay_alu instid0(VALU_DEP_1) | instskip(SKIP_1) | instid1(VALU_DEP_2)
	v_and_b32_e32 v4, 0x7fffffff, v1
	v_cmp_ngt_f32_e64 s2, 0x48000000, |v1|
	v_lshrrev_b32_e32 v9, 23, v4
	s_and_saveexec_b32 s0, s2
	s_delay_alu instid0(SALU_CYCLE_1)
	s_xor_b32 s11, exec_lo, s0
	s_cbranch_execz .LBB17_12
; %bb.9:
	s_mov_b32 s0, 0x7fffff
	v_mov_b32_e32 v11, 0
	v_and_or_b32 v10, v4, s0, 0x800000
	s_mov_b64 s[0:1], 0xfe5163ab
	v_add_nc_u32_e32 v5, 0xffffff88, v9
	s_delay_alu instid0(VALU_DEP_2) | instskip(NEXT) | instid1(VALU_DEP_2)
	v_mul_u64_e32 v[12:13], s[0:1], v[10:11]
	v_cmp_lt_u32_e32 vcc_lo, 63, v5
	v_cndmask_b32_e64 v8, 0, 0xffffffc0, vcc_lo
	s_delay_alu instid0(VALU_DEP_3) | instskip(SKIP_2) | instid1(VALU_DEP_3)
	v_dual_mov_b32 v14, v13 :: v_dual_mov_b32 v15, v11
	v_dual_mov_b32 v17, v11 :: v_dual_mov_b32 v19, v11
	;; [unrolled: 1-line block ×3, first 2 shown]
	v_mad_nc_u64_u32 v[14:15], 0x3c439041, v10, v[14:15]
	v_dual_add_nc_u32 v5, v8, v5 :: v_dual_mov_b32 v25, v11
	s_delay_alu instid0(VALU_DEP_1) | instskip(NEXT) | instid1(VALU_DEP_3)
	v_cmp_lt_u32_e64 s0, 31, v5
	v_mov_b32_e32 v16, v15
	s_delay_alu instid0(VALU_DEP_2) | instskip(NEXT) | instid1(VALU_DEP_2)
	v_cndmask_b32_e64 v8, 0, 0xffffffe0, s0
	v_mad_nc_u64_u32 v[16:17], 0xdb629599, v10, v[16:17]
	s_delay_alu instid0(VALU_DEP_2) | instskip(NEXT) | instid1(VALU_DEP_1)
	v_add_nc_u32_e32 v5, v8, v5
	v_cmp_lt_u32_e64 s1, 31, v5
	s_delay_alu instid0(VALU_DEP_3) | instskip(NEXT) | instid1(VALU_DEP_2)
	v_mov_b32_e32 v18, v17
	v_cndmask_b32_e64 v8, 0, 0xffffffe0, s1
	v_cndmask_b32_e32 v12, v16, v12, vcc_lo
	s_delay_alu instid0(VALU_DEP_3) | instskip(NEXT) | instid1(VALU_DEP_1)
	v_mad_nc_u64_u32 v[18:19], 0xf534ddc0, v10, v[18:19]
	v_dual_cndmask_b32 v8, v18, v14 :: v_dual_add_nc_u32 v5, v8, v5
	s_delay_alu instid0(VALU_DEP_2) | instskip(NEXT) | instid1(VALU_DEP_1)
	v_mov_b32_e32 v20, v19
	v_mad_nc_u64_u32 v[20:21], 0xfc2757d1, v10, v[20:21]
	s_delay_alu instid0(VALU_DEP_1) | instskip(NEXT) | instid1(VALU_DEP_1)
	v_dual_mov_b32 v22, v21 :: v_dual_cndmask_b32 v15, v20, v16
	v_mad_nc_u64_u32 v[22:23], 0x4e441529, v10, v[22:23]
	s_delay_alu instid0(VALU_DEP_1) | instskip(NEXT) | instid1(VALU_DEP_1)
	v_dual_mov_b32 v24, v23 :: v_dual_cndmask_b32 v13, v22, v18
	v_mad_nc_u64_u32 v[10:11], 0xa2f9836e, v10, v[24:25]
	s_delay_alu instid0(VALU_DEP_1) | instskip(SKIP_1) | instid1(VALU_DEP_2)
	v_dual_cndmask_b32 v10, v10, v20 :: v_dual_cndmask_b32 v11, v11, v22
	v_cmp_eq_u32_e32 vcc_lo, 0, v5
	v_dual_cndmask_b32 v14, v10, v13, s0 :: v_dual_cndmask_b32 v10, v11, v10, s0
	v_dual_cndmask_b32 v11, v13, v15, s0 :: v_dual_sub_nc_u32 v13, 32, v5
	v_cndmask_b32_e64 v15, v15, v8, s0
	s_delay_alu instid0(VALU_DEP_3) | instskip(NEXT) | instid1(VALU_DEP_1)
	v_dual_cndmask_b32 v8, v8, v12, s0 :: v_dual_cndmask_b32 v10, v10, v14, s1
	v_dual_cndmask_b32 v14, v14, v11, s1 :: v_dual_cndmask_b32 v8, v15, v8, s1
	s_delay_alu instid0(VALU_DEP_1) | instskip(NEXT) | instid1(VALU_DEP_1)
	v_alignbit_b32 v17, v10, v14, v13
	v_dual_cndmask_b32 v11, v11, v15, s1 :: v_dual_cndmask_b32 v5, v17, v10, vcc_lo
	s_delay_alu instid0(VALU_DEP_1) | instskip(NEXT) | instid1(VALU_DEP_4)
	v_alignbit_b32 v16, v14, v11, v13
	v_alignbit_b32 v13, v11, v8, v13
	s_delay_alu instid0(VALU_DEP_3) | instskip(NEXT) | instid1(VALU_DEP_2)
	v_bfe_u32 v12, v5, 29, 1
	v_dual_cndmask_b32 v10, v16, v14 :: v_dual_cndmask_b32 v11, v13, v11
	s_delay_alu instid0(VALU_DEP_2) | instskip(NEXT) | instid1(VALU_DEP_2)
	v_sub_nc_u32_e32 v15, 0, v12
	v_alignbit_b32 v14, v5, v10, 30
	s_delay_alu instid0(VALU_DEP_3) | instskip(SKIP_1) | instid1(VALU_DEP_3)
	v_alignbit_b32 v10, v10, v11, 30
	v_alignbit_b32 v8, v11, v8, 30
	v_xor_b32_e32 v14, v14, v15
	s_delay_alu instid0(VALU_DEP_2) | instskip(NEXT) | instid1(VALU_DEP_2)
	v_xor_b32_e32 v8, v8, v15
	v_clz_i32_u32_e32 v13, v14
	s_delay_alu instid0(VALU_DEP_1) | instskip(SKIP_1) | instid1(VALU_DEP_2)
	v_min_u32_e32 v13, 32, v13
	v_dual_lshrrev_b32 v15, 29, v5 :: v_dual_bitop2_b32 v10, v10, v15 bitop3:0x14
	v_dual_sub_nc_u32 v11, 31, v13 :: v_dual_lshlrev_b32 v16, 23, v13
	s_delay_alu instid0(VALU_DEP_1) | instskip(SKIP_1) | instid1(VALU_DEP_4)
	v_alignbit_b32 v14, v14, v10, v11
	v_alignbit_b32 v8, v10, v8, v11
	v_lshlrev_b32_e32 v10, 31, v15
	s_delay_alu instid0(VALU_DEP_2) | instskip(NEXT) | instid1(VALU_DEP_2)
	v_alignbit_b32 v11, v14, v8, 9
	v_or_b32_e32 v15, 0.5, v10
	v_or_b32_e32 v10, 0x33000000, v10
	v_lshrrev_b32_e32 v14, 9, v14
	s_delay_alu instid0(VALU_DEP_4) | instskip(NEXT) | instid1(VALU_DEP_4)
	v_clz_i32_u32_e32 v17, v11
	v_sub_nc_u32_e32 v15, v15, v16
	s_delay_alu instid0(VALU_DEP_2) | instskip(NEXT) | instid1(VALU_DEP_2)
	v_min_u32_e32 v16, 32, v17
	v_or_b32_e32 v14, v14, v15
	s_delay_alu instid0(VALU_DEP_2) | instskip(SKIP_1) | instid1(VALU_DEP_2)
	v_not_b32_e32 v15, v16
	v_add_lshl_u32 v13, v16, v13, 23
	v_alignbit_b32 v8, v11, v8, v15
	s_delay_alu instid0(VALU_DEP_1) | instskip(SKIP_1) | instid1(VALU_DEP_2)
	v_dual_sub_nc_u32 v10, v10, v13 :: v_dual_lshrrev_b32 v8, 9, v8
	v_mul_f32_e32 v17, 0x3fc90fda, v14
	v_or_b32_e32 v8, v10, v8
	s_delay_alu instid0(VALU_DEP_2) | instskip(NEXT) | instid1(VALU_DEP_1)
	v_fma_f32 v11, 0x3fc90fda, v14, -v17
	v_fmamk_f32 v11, v14, 0x33a22168, v11
	s_delay_alu instid0(VALU_DEP_1) | instskip(NEXT) | instid1(VALU_DEP_1)
	v_dual_fmac_f32 v11, 0x3fc90fda, v8 :: v_dual_lshrrev_b32 v8, 30, v5
	v_dual_add_f32 v5, v17, v11 :: v_dual_add_nc_u32 v8, v12, v8
	s_or_saveexec_b32 s0, s11
	v_mul_f32_e64 v12, 0x3f22f983, |v1|
	s_xor_b32 exec_lo, exec_lo, s0
	s_branch .LBB17_13
.LBB17_10:
	s_and_b32 vcc_lo, exec_lo, s1
	s_cbranch_vccz .LBB17_68
; %bb.11:
	s_wait_xcnt 0x0
	v_dual_mov_b32 v31, v0 :: v_dual_mov_b32 v0, s4
	v_dual_mov_b32 v1, s5 :: v_dual_mov_b32 v2, s6
	;; [unrolled: 1-line block ×3, first 2 shown]
	s_get_pc_i64 s[0:1]
	s_add_nc_u64 s[0:1], s[0:1], _ZN2at6native25elementwise_kernel_helperILb0EZZZNS0_12_GLOBAL__N_121bessel_y1_kernel_cudaERNS_18TensorIteratorBaseEENKUlvE_clEvENKUlvE0_clEvEUlfE_NS0_6memory8policies11unroll_baseILi256ESt5arrayIPcLm2EE23TrivialOffsetCalculatorILi1EjESF_NS8_15LoadWithoutCastENS8_16StoreWithoutCastELi4ELi1EEEEEvT0_T1_@rel64+4
	s_delay_alu instid0(SALU_CYCLE_1)
	s_swap_pc_i64 s[30:31], s[0:1]
	s_endpgm
.LBB17_12:
	s_or_saveexec_b32 s0, s11
	v_mul_f32_e64 v12, 0x3f22f983, |v1|
	s_xor_b32 exec_lo, exec_lo, s0
.LBB17_13:
	s_delay_alu instid0(VALU_DEP_1) | instskip(NEXT) | instid1(VALU_DEP_1)
	v_rndne_f32_e32 v8, v12
	v_fma_f32 v5, 0xbfc90fda, v8, |v1|
	s_delay_alu instid0(VALU_DEP_1) | instskip(NEXT) | instid1(VALU_DEP_1)
	v_fmamk_f32 v5, v8, 0xb3a22168, v5
	v_fmamk_f32 v5, v8, 0xa7c234c4, v5
	v_cvt_i32_f32_e32 v8, v8
; %bb.14:
	s_or_b32 exec_lo, exec_lo, s0
                                        ; implicit-def: $vgpr11
                                        ; implicit-def: $vgpr10
	s_and_saveexec_b32 s0, s2
	s_delay_alu instid0(SALU_CYCLE_1)
	s_xor_b32 s2, exec_lo, s0
	s_cbranch_execz .LBB17_16
; %bb.15:
	s_mov_b32 s0, 0x7fffff
	v_mov_b32_e32 v11, 0
	v_and_or_b32 v10, v4, s0, 0x800000
	s_mov_b64 s[0:1], 0xfe5163ab
	v_add_nc_u32_e32 v9, 0xffffff88, v9
	s_delay_alu instid0(VALU_DEP_2) | instskip(NEXT) | instid1(VALU_DEP_2)
	v_mul_u64_e32 v[12:13], s[0:1], v[10:11]
	v_cmp_lt_u32_e32 vcc_lo, 63, v9
	s_delay_alu instid0(VALU_DEP_2) | instskip(SKIP_2) | instid1(VALU_DEP_3)
	v_dual_mov_b32 v14, v13 :: v_dual_mov_b32 v15, v11
	v_dual_mov_b32 v17, v11 :: v_dual_mov_b32 v19, v11
	;; [unrolled: 1-line block ×3, first 2 shown]
	v_mad_nc_u64_u32 v[14:15], 0x3c439041, v10, v[14:15]
	v_cndmask_b32_e64 v13, 0, 0xffffffc0, vcc_lo
	s_delay_alu instid0(VALU_DEP_1) | instskip(NEXT) | instid1(VALU_DEP_3)
	v_dual_mov_b32 v25, v11 :: v_dual_add_nc_u32 v9, v13, v9
	v_mov_b32_e32 v16, v15
	s_delay_alu instid0(VALU_DEP_2) | instskip(NEXT) | instid1(VALU_DEP_2)
	v_cmp_lt_u32_e64 s0, 31, v9
	v_mad_nc_u64_u32 v[16:17], 0xdb629599, v10, v[16:17]
	s_delay_alu instid0(VALU_DEP_2) | instskip(NEXT) | instid1(VALU_DEP_1)
	v_cndmask_b32_e64 v13, 0, 0xffffffe0, s0
	v_add_nc_u32_e32 v9, v13, v9
	s_delay_alu instid0(VALU_DEP_3) | instskip(NEXT) | instid1(VALU_DEP_2)
	v_mov_b32_e32 v18, v17
	v_cmp_lt_u32_e64 s1, 31, v9
	v_cndmask_b32_e32 v12, v16, v12, vcc_lo
	s_delay_alu instid0(VALU_DEP_3) | instskip(NEXT) | instid1(VALU_DEP_3)
	v_mad_nc_u64_u32 v[18:19], 0xf534ddc0, v10, v[18:19]
	v_cndmask_b32_e64 v13, 0, 0xffffffe0, s1
	s_delay_alu instid0(VALU_DEP_1) | instskip(NEXT) | instid1(VALU_DEP_3)
	v_dual_add_nc_u32 v9, v13, v9 :: v_dual_cndmask_b32 v13, v18, v14, vcc_lo
	v_mov_b32_e32 v20, v19
	s_delay_alu instid0(VALU_DEP_1) | instskip(NEXT) | instid1(VALU_DEP_1)
	v_mad_nc_u64_u32 v[20:21], 0xfc2757d1, v10, v[20:21]
	v_dual_mov_b32 v22, v21 :: v_dual_cndmask_b32 v17, v20, v16
	s_delay_alu instid0(VALU_DEP_1) | instskip(NEXT) | instid1(VALU_DEP_1)
	v_mad_nc_u64_u32 v[22:23], 0x4e441529, v10, v[22:23]
	v_dual_mov_b32 v24, v23 :: v_dual_cndmask_b32 v15, v22, v18
	s_delay_alu instid0(VALU_DEP_1) | instskip(NEXT) | instid1(VALU_DEP_1)
	v_mad_nc_u64_u32 v[10:11], 0xa2f9836e, v10, v[24:25]
	v_dual_cndmask_b32 v10, v10, v20 :: v_dual_cndmask_b32 v11, v11, v22
	v_cmp_eq_u32_e32 vcc_lo, 0, v9
	s_delay_alu instid0(VALU_DEP_2) | instskip(SKIP_2) | instid1(VALU_DEP_3)
	v_dual_cndmask_b32 v14, v10, v15, s0 :: v_dual_cndmask_b32 v10, v11, v10, s0
	v_cndmask_b32_e64 v11, v15, v17, s0
	v_sub_nc_u32_e32 v15, 32, v9
	v_dual_cndmask_b32 v17, v17, v13, s0 :: v_dual_cndmask_b32 v10, v10, v14, s1
	s_delay_alu instid0(VALU_DEP_3) | instskip(NEXT) | instid1(VALU_DEP_1)
	v_cndmask_b32_e64 v14, v14, v11, s1
	v_alignbit_b32 v18, v10, v14, v15
	s_delay_alu instid0(VALU_DEP_1) | instskip(NEXT) | instid1(VALU_DEP_1)
	v_dual_cndmask_b32 v11, v11, v17, s1 :: v_dual_cndmask_b32 v9, v18, v10, vcc_lo
	v_alignbit_b32 v16, v14, v11, v15
	v_cndmask_b32_e64 v10, v13, v12, s0
	s_delay_alu instid0(VALU_DEP_3) | instskip(NEXT) | instid1(VALU_DEP_3)
	v_bfe_u32 v13, v9, 29, 1
	v_cndmask_b32_e32 v12, v16, v14, vcc_lo
	s_delay_alu instid0(VALU_DEP_2) | instskip(NEXT) | instid1(VALU_DEP_2)
	v_dual_cndmask_b32 v10, v17, v10, s1 :: v_dual_sub_nc_u32 v16, 0, v13
	v_alignbit_b32 v14, v9, v12, 30
	s_delay_alu instid0(VALU_DEP_2) | instskip(NEXT) | instid1(VALU_DEP_1)
	v_alignbit_b32 v15, v11, v10, v15
	v_dual_cndmask_b32 v11, v15, v11, vcc_lo :: v_dual_bitop2_b32 v14, v14, v16 bitop3:0x14
	s_delay_alu instid0(VALU_DEP_1) | instskip(NEXT) | instid1(VALU_DEP_2)
	v_clz_i32_u32_e32 v15, v14
	v_alignbit_b32 v12, v12, v11, 30
	v_alignbit_b32 v10, v11, v10, 30
	s_delay_alu instid0(VALU_DEP_3) | instskip(NEXT) | instid1(VALU_DEP_3)
	v_min_u32_e32 v15, 32, v15
	v_xor_b32_e32 v11, v12, v16
	s_delay_alu instid0(VALU_DEP_3) | instskip(NEXT) | instid1(VALU_DEP_3)
	v_dual_lshrrev_b32 v16, 29, v9 :: v_dual_bitop2_b32 v10, v10, v16 bitop3:0x14
	v_dual_lshrrev_b32 v9, 30, v9 :: v_dual_sub_nc_u32 v12, 31, v15
	v_lshlrev_b32_e32 v17, 23, v15
	s_delay_alu instid0(VALU_DEP_2) | instskip(NEXT) | instid1(VALU_DEP_4)
	v_alignbit_b32 v14, v14, v11, v12
	v_alignbit_b32 v10, v11, v10, v12
	v_lshlrev_b32_e32 v11, 31, v16
	s_delay_alu instid0(VALU_DEP_2) | instskip(NEXT) | instid1(VALU_DEP_2)
	v_alignbit_b32 v12, v14, v10, 9
	v_dual_lshrrev_b32 v14, 9, v14 :: v_dual_bitop2_b32 v16, 0.5, v11 bitop3:0x54
	v_or_b32_e32 v11, 0x33000000, v11
	s_delay_alu instid0(VALU_DEP_3) | instskip(NEXT) | instid1(VALU_DEP_3)
	v_clz_i32_u32_e32 v18, v12
	v_sub_nc_u32_e32 v16, v16, v17
	s_delay_alu instid0(VALU_DEP_2) | instskip(NEXT) | instid1(VALU_DEP_1)
	v_min_u32_e32 v17, 32, v18
	v_add_lshl_u32 v15, v17, v15, 23
	s_delay_alu instid0(VALU_DEP_1) | instskip(SKIP_1) | instid1(VALU_DEP_1)
	v_dual_sub_nc_u32 v11, v11, v15 :: v_dual_bitop2_b32 v14, v14, v16 bitop3:0x54
	v_not_b32_e32 v16, v17
	v_alignbit_b32 v10, v12, v10, v16
	s_delay_alu instid0(VALU_DEP_1) | instskip(NEXT) | instid1(VALU_DEP_4)
	v_lshrrev_b32_e32 v10, 9, v10
	v_mul_f32_e32 v18, 0x3fc90fda, v14
	s_delay_alu instid0(VALU_DEP_2) | instskip(NEXT) | instid1(VALU_DEP_2)
	v_or_b32_e32 v10, v11, v10
	v_fma_f32 v12, 0x3fc90fda, v14, -v18
	s_delay_alu instid0(VALU_DEP_1) | instskip(NEXT) | instid1(VALU_DEP_1)
	v_dual_fmamk_f32 v12, v14, 0x33a22168, v12 :: v_dual_add_nc_u32 v11, v13, v9
	v_fmac_f32_e32 v12, 0x3fc90fda, v10
	s_delay_alu instid0(VALU_DEP_1)
	v_add_f32_e32 v10, v18, v12
                                        ; implicit-def: $vgpr12
	s_and_not1_saveexec_b32 s0, s2
	s_cbranch_execnz .LBB17_17
	s_branch .LBB17_18
.LBB17_16:
	s_and_not1_saveexec_b32 s0, s2
.LBB17_17:
	v_rndne_f32_e32 v9, v12
	s_delay_alu instid0(VALU_DEP_1) | instskip(SKIP_1) | instid1(VALU_DEP_2)
	v_fma_f32 v10, 0xbfc90fda, v9, |v1|
	v_cvt_i32_f32_e32 v11, v9
	v_fmamk_f32 v10, v9, 0xb3a22168, v10
	s_delay_alu instid0(VALU_DEP_1)
	v_fmamk_f32 v10, v9, 0xa7c234c4, v10
.LBB17_18:
	s_or_b32 exec_lo, exec_lo, s0
	v_div_scale_f32 v9, null, v6, v6, 0x40a00000
	v_div_scale_f32 v14, vcc_lo, 0x40a00000, v6, 0x40a00000
	s_mov_b32 s0, 0xb94c1982
	v_rcp_f32_e32 v12, v9
	v_mul_f32_e32 v21, 0x4f800000, v6
	s_mov_b32 s1, 0x37d75334
	v_xor_b32_e32 v4, v4, v1
	v_and_b32_e32 v16, 1, v11
	s_delay_alu instid0(TRANS32_DEP_1) | instskip(NEXT) | instid1(VALU_DEP_1)
	v_fma_f32 v13, -v9, v12, 1.0
	v_fmac_f32_e32 v12, v13, v12
	s_delay_alu instid0(VALU_DEP_1) | instskip(NEXT) | instid1(VALU_DEP_1)
	v_mul_f32_e32 v13, v14, v12
	v_fma_f32 v15, -v9, v13, v14
	s_delay_alu instid0(VALU_DEP_1) | instskip(NEXT) | instid1(VALU_DEP_1)
	v_dual_fmac_f32 v13, v15, v12 :: v_dual_mul_f32 v15, v10, v10
	v_fma_f32 v9, -v9, v13, v14
	s_delay_alu instid0(VALU_DEP_2) | instskip(NEXT) | instid1(VALU_DEP_2)
	v_fmaak_f32 v24, s0, v15, 0x3c0881c4
	v_div_fmas_f32 v9, v9, v12, v13
	v_mul_f32_e32 v12, v5, v5
	s_delay_alu instid0(VALU_DEP_3) | instskip(SKIP_1) | instid1(VALU_DEP_4)
	v_fmaak_f32 v24, v15, v24, 0xbe2aaa9d
	v_dual_lshlrev_b32 v8, 30, v8 :: v_dual_bitop2_b32 v13, 1, v8 bitop3:0x40
	v_div_fixup_f32 v9, v9, v6, 0x40a00000
	s_delay_alu instid0(VALU_DEP_4) | instskip(SKIP_1) | instid1(VALU_DEP_4)
	v_fmaak_f32 v22, s0, v12, 0x3c0881c4
	v_cmp_gt_f32_e64 s0, 0xf800000, v6
	v_cmp_eq_u32_e64 s2, 0, v13
	v_and_b32_e32 v8, 0x80000000, v8
	v_dual_mul_f32 v14, v9, v9 :: v_dual_lshlrev_b32 v11, 30, v11
	s_delay_alu instid0(VALU_DEP_4) | instskip(SKIP_1) | instid1(VALU_DEP_3)
	v_cndmask_b32_e64 v6, v6, v21, s0
	v_fmaak_f32 v22, v12, v22, 0xbe2aaa9d
	v_dual_mul_f32 v24, v15, v24 :: v_dual_fmaak_f32 v17, 0, v14, 0x3d513fd3
	v_fmaak_f32 v18, 0, v14, 0x3a15c4d9
	v_fmaak_f32 v20, 0, v14, 0x3a47c962
	v_sqrt_f32_e32 v28, v6
	v_fmaak_f32 v19, 0, v14, 0x42947983
	v_dual_fmaak_f32 v17, v14, v17, 0x409f6dae :: v_dual_mul_f32 v22, v12, v22
	v_fmaak_f32 v18, v14, v18, 0x3d8cfeeb
	v_fmaak_f32 v20, v14, v20, 0x3d95ca45
	s_delay_alu instid0(VALU_DEP_4)
	v_fmaak_f32 v19, v14, v19, 0x44840e5d
	s_delay_alu instid0(TRANS32_DEP_1) | instid1(VALU_DEP_4)
	v_dual_add_nc_u32 v33, 1, v28 :: v_dual_fmac_f32 v5, v5, v22
	s_delay_alu instid0(VALU_DEP_4) | instskip(NEXT) | instid1(VALU_DEP_4)
	v_fmaak_f32 v18, v14, v18, 0x3f8d754e
	v_fmaak_f32 v20, v14, v20, 0x3f9047f6
	s_delay_alu instid0(VALU_DEP_4) | instskip(SKIP_1) | instid1(VALU_DEP_4)
	v_fmaak_f32 v19, v14, v19, 0x459bd349
	v_dual_fmaak_f32 v25, s1, v15, 0xbab64f3b :: v_dual_fmac_f32 v10, v10, v24
	v_fmaak_f32 v18, v14, v18, 0x40a25d18
	s_delay_alu instid0(VALU_DEP_4) | instskip(NEXT) | instid1(VALU_DEP_4)
	v_fmaak_f32 v20, v14, v20, 0x40a39628
	v_fmaak_f32 v19, v14, v19, 0x46156947
	s_delay_alu instid0(VALU_DEP_4) | instskip(NEXT) | instid1(VALU_DEP_4)
	v_fmaak_f32 v25, v15, v25, 0x3d2aabf7
	;; [unrolled: 3-line block ×5, first 2 shown]
	v_fmaak_f32 v19, v14, v19, 0x4530a316
	s_delay_alu instid0(VALU_DEP_4) | instskip(NEXT) | instid1(VALU_DEP_4)
	v_fma_f32 v15, v15, v25, 1.0
	v_fma_f32 v18, v14, v18, 1.0
	s_delay_alu instid0(VALU_DEP_4) | instskip(NEXT) | instid1(VALU_DEP_4)
	v_fma_f32 v20, v14, v20, 1.0
	v_fmaak_f32 v19, v14, v19, 0x43a80bfb
	s_delay_alu instid0(VALU_DEP_2) | instskip(SKIP_1) | instid1(VALU_DEP_1)
	v_div_scale_f32 v31, vcc_lo, v20, v18, v20
	v_fmaak_f32 v17, v14, v17, 0x4297a5cd
	v_fmaak_f32 v17, v14, v17, 0x43b763ca
	s_delay_alu instid0(VALU_DEP_1) | instskip(NEXT) | instid1(VALU_DEP_1)
	v_fmaak_f32 v17, v14, v17, 0x4431b6ce
	v_fmaak_f32 v17, v14, v17, 0x44155f56
	s_delay_alu instid0(VALU_DEP_1) | instskip(NEXT) | instid1(VALU_DEP_1)
	v_fmaak_f32 v17, v14, v17, 0x4353b052
	v_fmaak_f32 v14, v14, v17, 0x41c9a7fa
	v_div_scale_f32 v17, null, v18, v18, v20
	s_delay_alu instid0(VALU_DEP_2) | instskip(NEXT) | instid1(VALU_DEP_2)
	v_div_scale_f32 v21, null, v19, v19, v14
	v_rcp_f32_e32 v26, v17
	s_delay_alu instid0(VALU_DEP_1) | instskip(NEXT) | instid1(TRANS32_DEP_2)
	v_rcp_f32_e32 v27, v21
	v_fma_f32 v29, -v17, v26, 1.0
	s_delay_alu instid0(TRANS32_DEP_1) | instskip(NEXT) | instid1(VALU_DEP_1)
	v_fma_f32 v30, -v21, v27, 1.0
	v_dual_fmac_f32 v26, v29, v26 :: v_dual_fmac_f32 v27, v30, v27
	s_delay_alu instid0(VALU_DEP_1) | instskip(NEXT) | instid1(VALU_DEP_1)
	v_dual_add_nc_u32 v30, -1, v28 :: v_dual_mul_f32 v32, v31, v26
	v_fma_f32 v22, -v17, v32, v31
	v_fmaak_f32 v23, s1, v12, 0xbab64f3b
	v_div_scale_f32 v29, s1, v14, v19, v14
	s_delay_alu instid0(VALU_DEP_4) | instskip(NEXT) | instid1(VALU_DEP_3)
	v_fma_f32 v24, -v30, v28, v6
	v_dual_fmac_f32 v32, v22, v26 :: v_dual_fmaak_f32 v23, v12, v23, 0x3d2aabf7
	s_delay_alu instid0(VALU_DEP_3) | instskip(NEXT) | instid1(VALU_DEP_2)
	v_mul_f32_e32 v34, v29, v27
	v_fmaak_f32 v23, v12, v23, 0xbf000004
	s_delay_alu instid0(VALU_DEP_1) | instskip(NEXT) | instid1(VALU_DEP_3)
	v_fma_f32 v12, v12, v23, 1.0
	v_fma_f32 v23, -v21, v34, v29
	s_delay_alu instid0(VALU_DEP_2) | instskip(NEXT) | instid1(VALU_DEP_2)
	v_dual_fma_f32 v22, -v33, v28, v6 :: v_dual_cndmask_b32 v5, v12, v5, s2
	v_fmac_f32_e32 v34, v23, v27
	v_cmp_eq_u32_e64 s2, 0, v16
	v_fma_f32 v12, -v17, v32, v31
	s_delay_alu instid0(VALU_DEP_4) | instskip(NEXT) | instid1(VALU_DEP_3)
	v_xor3_b32 v4, v4, v8, v5
	v_cndmask_b32_e64 v10, -v10, v15, s2
	s_delay_alu instid0(VALU_DEP_3) | instskip(SKIP_3) | instid1(VALU_DEP_1)
	v_div_fmas_f32 v12, v12, v26, v32
	s_mov_b32 vcc_lo, s1
	v_cmp_lt_f32_e64 s1, 0, v22
	v_fma_f32 v13, -v21, v34, v29
	v_div_fmas_f32 v13, v13, v27, v34
	v_cmp_ge_f32_e32 vcc_lo, 0, v24
	s_delay_alu instid0(VALU_DEP_2)
	v_div_fixup_f32 v5, v13, v19, v14
	v_cndmask_b32_e32 v15, v28, v30, vcc_lo
	v_cmp_class_f32_e64 vcc_lo, v1, 0x1f8
	v_bitop3_b32 v1, v11, v10, 0x80000000 bitop3:0x6c
	v_div_fixup_f32 v10, v12, v18, v20
	v_mul_f32_e32 v5, v9, v5
	v_cndmask_b32_e64 v8, v15, v33, s1
	v_cndmask_b32_e32 v4, 0x7fc00000, v4, vcc_lo
	v_cndmask_b32_e32 v1, 0x7fc00000, v1, vcc_lo
	v_cmp_class_f32_e64 vcc_lo, v6, 0x260
	s_delay_alu instid0(VALU_DEP_4) | instskip(NEXT) | instid1(VALU_DEP_3)
	v_mul_f32_e32 v9, 0x37800000, v8
	v_mul_f32_e32 v1, v5, v1
	s_delay_alu instid0(VALU_DEP_1) | instskip(NEXT) | instid1(VALU_DEP_1)
	v_dual_cndmask_b32 v5, v8, v9, s0 :: v_dual_fmac_f32 v1, v10, v4
	v_dual_cndmask_b32 v4, v5, v6 :: v_dual_mul_f32 v1, 0x3f4c422a, v1
	s_delay_alu instid0(VALU_DEP_1) | instskip(NEXT) | instid1(VALU_DEP_1)
	v_div_scale_f32 v5, null, v4, v4, v1
	v_rcp_f32_e32 v6, v5
	v_nop
	s_delay_alu instid0(TRANS32_DEP_1) | instskip(NEXT) | instid1(VALU_DEP_1)
	v_fma_f32 v8, -v5, v6, 1.0
	v_fmac_f32_e32 v6, v8, v6
	v_div_scale_f32 v8, vcc_lo, v1, v4, v1
	s_delay_alu instid0(VALU_DEP_1) | instskip(NEXT) | instid1(VALU_DEP_1)
	v_mul_f32_e32 v9, v8, v6
	v_fma_f32 v10, -v5, v9, v8
	s_delay_alu instid0(VALU_DEP_1) | instskip(NEXT) | instid1(VALU_DEP_1)
	v_fmac_f32_e32 v9, v10, v6
	v_fma_f32 v5, -v5, v9, v8
	s_delay_alu instid0(VALU_DEP_1) | instskip(NEXT) | instid1(VALU_DEP_1)
	v_div_fmas_f32 v5, v5, v6, v9
	v_div_fixup_f32 v4, v5, v4, v1
.LBB17_19:
	s_or_b32 exec_lo, exec_lo, s10
	s_delay_alu instid0(SALU_CYCLE_1)
	s_mov_b32 s0, exec_lo
	v_cmpx_ge_f32_e32 0x40a00000, v7
	s_xor_b32 s10, exec_lo, s0
	s_cbranch_execz .LBB17_25
; %bb.20:
	v_mov_b32_e32 v5, 0xff800000
	s_mov_b32 s11, exec_lo
	v_cmpx_neq_f32_e32 0, v7
	s_cbranch_execz .LBB17_24
; %bb.21:
	v_mov_b32_e32 v5, 0x7fc00000
	s_mov_b32 s12, exec_lo
	v_cmpx_nge_f32_e32 0, v7
	s_cbranch_execz .LBB17_23
; %bb.22:
	v_mul_f32_e32 v6, v7, v7
	v_mov_b64_e32 v[8:9], 0x4c8c277d4e9695f3
	v_mov_b64_e32 v[12:13], 0x508bc61dd316b96b
	;; [unrolled: 1-line block ×3, first 2 shown]
	v_div_scale_f32 v24, s2, -1.0, v7, -1.0
	v_dual_fmaak_f32 v1, 0, v6, 0x4414934d :: v_dual_mul_f32 v10, 0, v6
	v_fmaak_f32 v5, 0, v6, 0x441b3589
	v_mov_b64_e32 v[16:17], 0x548a37dcce5691e2
	v_mov_b64_e32 v[18:19], 0x5832585252d295d0
	s_delay_alu instid0(VALU_DEP_4) | instskip(SKIP_2) | instid1(VALU_DEP_3)
	v_fmaak_f32 v1, v6, v1, 0x48660b06
	v_cmp_gt_f32_e64 s0, 0x800000, v7
	v_fmaak_f32 v5, v6, v5, 0x487af6d0
	v_mul_f32_e32 v11, v6, v1
	s_delay_alu instid0(VALU_DEP_2) | instskip(NEXT) | instid1(VALU_DEP_2)
	v_fmaak_f32 v1, v6, v5, 0x4c9f4aa7
	v_pk_add_f32 v[8:9], v[10:11], v[8:9]
	s_delay_alu instid0(VALU_DEP_2) | instskip(NEXT) | instid1(VALU_DEP_2)
	v_fmaak_f32 v1, v6, v1, 0x50a509fc
	v_pk_fma_f32 v[8:9], v[6:7], v[8:9], v[12:13] op_sel_hi:[0,1,1]
	v_mov_b64_e32 v[12:13], 0x580d1937d9e700d2
	s_delay_alu instid0(VALU_DEP_3) | instskip(NEXT) | instid1(VALU_DEP_3)
	v_mul_f32_e32 v11, v6, v1
	v_pk_fma_f32 v[8:9], v[6:7], v[8:9], v[14:15] op_sel_hi:[0,1,1]
	v_mov_b64_e32 v[14:15], 0x5b741f1e5c33cd68
	s_delay_alu instid0(VALU_DEP_3) | instskip(SKIP_1) | instid1(VALU_DEP_4)
	v_pk_add_f32 v[10:11], v[10:11], v[16:17]
	v_mov_b64_e32 v[16:17], 0x5b9f0600d6845497
	v_pk_fma_f32 v[8:9], v[6:7], v[8:9], v[12:13] op_sel_hi:[0,1,1]
	v_mov_b64_e32 v[12:13], 0x5e5c878ddd2cf20b
	s_delay_alu instid0(VALU_DEP_4) | instskip(SKIP_1) | instid1(VALU_DEP_4)
	v_pk_fma_f32 v[10:11], v[6:7], v[10:11], v[18:19] op_sel_hi:[0,1,1]
	v_mov_b64_e32 v[18:19], 0x5e93bcac59515a15
	v_pk_fma_f32 v[8:9], v[6:7], v[8:9], v[14:15] op_sel_hi:[0,1,1]
	v_div_scale_f32 v15, null, v7, v7, -1.0
	s_delay_alu instid0(VALU_DEP_4) | instskip(NEXT) | instid1(VALU_DEP_3)
	v_pk_fma_f32 v[10:11], v[6:7], v[10:11], v[16:17] op_sel_hi:[0,1,1]
	v_pk_fma_f32 v[8:9], v[6:7], v[8:9], v[12:13] op_sel_hi:[0,1,1]
	v_cndmask_b32_e64 v12, 0, 32, s0
	s_delay_alu instid0(VALU_DEP_2) | instskip(NEXT) | instid1(VALU_DEP_2)
	v_div_scale_f32 v1, null, v9, v9, v8
	v_ldexp_f32 v12, v7, v12
	s_delay_alu instid0(VALU_DEP_2) | instskip(NEXT) | instid1(VALU_DEP_1)
	v_rcp_f32_e32 v13, v1
	v_log_f32_e32 v21, v12
	s_delay_alu instid0(TRANS32_DEP_2) | instskip(NEXT) | instid1(VALU_DEP_1)
	v_fma_f32 v16, -v1, v13, 1.0
	v_fmac_f32_e32 v13, v16, v13
	v_pk_fma_f32 v[10:11], v[6:7], v[10:11], v[18:19] op_sel_hi:[0,1,1]
	v_div_scale_f32 v18, vcc_lo, v8, v9, v8
	v_rcp_f32_e32 v16, v15
	s_delay_alu instid0(VALU_DEP_2) | instskip(SKIP_1) | instid1(VALU_DEP_2)
	v_div_scale_f32 v5, null, v11, v11, v10
	v_div_scale_f32 v19, s1, v10, v11, v10
	v_rcp_f32_e32 v14, v5
	s_delay_alu instid0(TRANS32_DEP_2) | instskip(NEXT) | instid1(VALU_DEP_1)
	v_fma_f32 v12, -v15, v16, 1.0
	v_fmac_f32_e32 v16, v12, v16
	s_delay_alu instid0(TRANS32_DEP_1) | instskip(NEXT) | instid1(VALU_DEP_1)
	v_fma_f32 v17, -v5, v14, 1.0
	v_dual_fmac_f32 v14, v17, v14 :: v_dual_mul_f32 v17, v18, v13
	s_delay_alu instid0(VALU_DEP_1) | instskip(NEXT) | instid1(VALU_DEP_1)
	v_dual_mul_f32 v20, v19, v14 :: v_dual_fma_f32 v22, -v1, v17, v18
	v_dual_fma_f32 v23, -v5, v20, v19 :: v_dual_fmac_f32 v17, v22, v13
	s_delay_alu instid0(VALU_DEP_1) | instskip(SKIP_1) | instid1(VALU_DEP_2)
	v_dual_fmac_f32 v20, v23, v14 :: v_dual_fma_f32 v1, -v1, v17, v18
	v_mul_f32_e32 v18, v24, v16
	v_fma_f32 v5, -v5, v20, v19
	s_delay_alu instid0(VALU_DEP_3) | instskip(SKIP_2) | instid1(VALU_DEP_3)
	v_div_fmas_f32 v1, v1, v13, v17
	s_mov_b32 vcc_lo, s1
	v_mov_b64_e32 v[12:13], 0xc16ae95ac244dfb3
	v_div_fmas_f32 v5, v5, v14, v20
	v_fma_f32 v14, -v15, v18, v24
	v_mul_f32_e32 v25, 0x3f317217, v21
	v_cmp_gt_f32_e64 vcc_lo, 0x7f800000, |v21|
	v_div_fixup_f32 v1, v1, v9, v8
	v_div_fixup_f32 v5, v5, v11, v10
	v_fmac_f32_e32 v18, v14, v16
	v_fma_f32 v22, 0x3f317217, v21, -v25
	v_pk_add_f32 v[10:11], v[6:7], v[12:13] op_sel_hi:[0,1]
	v_cndmask_b32_e64 v6, 0, 0x41b17218, s0
	v_mul_f32_e32 v5, v7, v5
	v_fma_f32 v12, -v15, v18, v24
	v_fmamk_f32 v17, v21, 0x3377d1cf, v22
	s_delay_alu instid0(VALU_DEP_3) | instskip(NEXT) | instid1(VALU_DEP_2)
	v_mul_f32_e32 v5, v11, v5
	v_fmac_f32_e32 v17, 0x3f317217, v21
	s_delay_alu instid0(VALU_DEP_2) | instskip(NEXT) | instid1(VALU_DEP_2)
	v_mul_f32_e32 v5, v10, v5
	v_cndmask_b32_e32 v13, v21, v17, vcc_lo
	s_mov_b32 vcc_lo, s2
	v_div_fmas_f32 v11, v12, v16, v18
	s_delay_alu instid0(VALU_DEP_2) | instskip(NEXT) | instid1(VALU_DEP_2)
	v_sub_f32_e32 v6, v13, v6
	v_div_fixup_f32 v10, v11, v7, -1.0
	s_delay_alu instid0(VALU_DEP_1) | instskip(NEXT) | instid1(VALU_DEP_1)
	v_fmac_f32_e32 v10, v6, v5
	v_mul_f32_e32 v5, 0x3f22f983, v10
	s_delay_alu instid0(VALU_DEP_1)
	v_fmac_f32_e32 v5, v7, v1
.LBB17_23:
	s_or_b32 exec_lo, exec_lo, s12
.LBB17_24:
	s_delay_alu instid0(SALU_CYCLE_1)
	s_or_b32 exec_lo, exec_lo, s11
                                        ; implicit-def: $vgpr6_vgpr7
.LBB17_25:
	s_and_not1_saveexec_b32 s10, s10
	s_cbranch_execz .LBB17_35
; %bb.26:
	v_add_f32_e32 v1, 0xc016cbe4, v7
                                        ; implicit-def: $vgpr8
                                        ; implicit-def: $vgpr6
	s_delay_alu instid0(VALU_DEP_1) | instskip(SKIP_1) | instid1(VALU_DEP_2)
	v_and_b32_e32 v5, 0x7fffffff, v1
	v_cmp_ngt_f32_e64 s2, 0x48000000, |v1|
	v_lshrrev_b32_e32 v9, 23, v5
	s_and_saveexec_b32 s0, s2
	s_delay_alu instid0(SALU_CYCLE_1)
	s_xor_b32 s11, exec_lo, s0
	s_cbranch_execz .LBB17_28
; %bb.27:
	s_mov_b32 s0, 0x7fffff
	v_mov_b32_e32 v11, 0
	v_and_or_b32 v10, v5, s0, 0x800000
	s_mov_b64 s[0:1], 0xfe5163ab
	s_delay_alu instid0(VALU_DEP_1) | instid1(SALU_CYCLE_1)
	v_mul_u64_e32 v[12:13], s[0:1], v[10:11]
	s_delay_alu instid0(VALU_DEP_1) | instskip(SKIP_2) | instid1(VALU_DEP_3)
	v_dual_mov_b32 v14, v13 :: v_dual_mov_b32 v15, v11
	v_dual_mov_b32 v17, v11 :: v_dual_add_nc_u32 v6, 0xffffff88, v9
	v_dual_mov_b32 v25, v11 :: v_dual_mov_b32 v19, v11
	v_mad_nc_u64_u32 v[14:15], 0x3c439041, v10, v[14:15]
	v_mov_b32_e32 v21, v11
	s_delay_alu instid0(VALU_DEP_4) | instskip(SKIP_2) | instid1(VALU_DEP_1)
	v_cmp_lt_u32_e32 vcc_lo, 63, v6
	v_mov_b32_e32 v23, v11
	v_cndmask_b32_e64 v8, 0, 0xffffffc0, vcc_lo
	v_dual_mov_b32 v16, v15 :: v_dual_add_nc_u32 v6, v8, v6
	s_delay_alu instid0(VALU_DEP_1) | instskip(NEXT) | instid1(VALU_DEP_2)
	v_mad_nc_u64_u32 v[16:17], 0xdb629599, v10, v[16:17]
	v_cmp_lt_u32_e64 s0, 31, v6
	s_delay_alu instid0(VALU_DEP_1) | instskip(NEXT) | instid1(VALU_DEP_1)
	v_cndmask_b32_e64 v8, 0, 0xffffffe0, s0
	v_dual_mov_b32 v18, v17 :: v_dual_add_nc_u32 v6, v8, v6
	s_delay_alu instid0(VALU_DEP_1) | instskip(NEXT) | instid1(VALU_DEP_2)
	v_mad_nc_u64_u32 v[18:19], 0xf534ddc0, v10, v[18:19]
	v_cmp_lt_u32_e64 s1, 31, v6
	s_delay_alu instid0(VALU_DEP_1) | instskip(NEXT) | instid1(VALU_DEP_3)
	v_cndmask_b32_e64 v8, 0, 0xffffffe0, s1
	v_mov_b32_e32 v20, v19
	s_delay_alu instid0(VALU_DEP_1) | instskip(NEXT) | instid1(VALU_DEP_1)
	v_mad_nc_u64_u32 v[20:21], 0xfc2757d1, v10, v[20:21]
	v_dual_mov_b32 v22, v21 :: v_dual_cndmask_b32 v15, v20, v16
	s_delay_alu instid0(VALU_DEP_1) | instskip(NEXT) | instid1(VALU_DEP_1)
	v_mad_nc_u64_u32 v[22:23], 0x4e441529, v10, v[22:23]
	v_dual_mov_b32 v24, v23 :: v_dual_cndmask_b32 v13, v22, v18
	s_delay_alu instid0(VALU_DEP_1) | instskip(NEXT) | instid1(VALU_DEP_1)
	v_mad_nc_u64_u32 v[10:11], 0xa2f9836e, v10, v[24:25]
	v_dual_cndmask_b32 v10, v10, v20 :: v_dual_cndmask_b32 v11, v11, v22
	v_add_nc_u32_e32 v6, v8, v6
	v_cndmask_b32_e32 v8, v18, v14, vcc_lo
	s_delay_alu instid0(VALU_DEP_3) | instskip(NEXT) | instid1(VALU_DEP_3)
	v_dual_cndmask_b32 v14, v10, v13, s0 :: v_dual_cndmask_b32 v10, v11, v10, s0
	v_dual_cndmask_b32 v11, v13, v15, s0 :: v_dual_sub_nc_u32 v13, 32, v6
	s_delay_alu instid0(VALU_DEP_2) | instskip(NEXT) | instid1(VALU_DEP_2)
	v_dual_cndmask_b32 v15, v15, v8, s0 :: v_dual_cndmask_b32 v10, v10, v14, s1
	v_cndmask_b32_e64 v14, v14, v11, s1
	s_delay_alu instid0(VALU_DEP_2) | instskip(NEXT) | instid1(VALU_DEP_2)
	v_cndmask_b32_e64 v11, v11, v15, s1
	v_alignbit_b32 v17, v10, v14, v13
	v_cndmask_b32_e32 v12, v16, v12, vcc_lo
	v_cmp_eq_u32_e32 vcc_lo, 0, v6
	s_delay_alu instid0(VALU_DEP_4) | instskip(NEXT) | instid1(VALU_DEP_3)
	v_alignbit_b32 v16, v14, v11, v13
	v_dual_cndmask_b32 v6, v17, v10, vcc_lo :: v_dual_cndmask_b32 v8, v8, v12, s0
	s_delay_alu instid0(VALU_DEP_2) | instskip(NEXT) | instid1(VALU_DEP_2)
	v_cndmask_b32_e32 v10, v16, v14, vcc_lo
	v_bfe_u32 v12, v6, 29, 1
	s_delay_alu instid0(VALU_DEP_3) | instskip(NEXT) | instid1(VALU_DEP_3)
	v_cndmask_b32_e64 v8, v15, v8, s1
	v_alignbit_b32 v14, v6, v10, 30
	s_delay_alu instid0(VALU_DEP_3) | instskip(NEXT) | instid1(VALU_DEP_3)
	v_sub_nc_u32_e32 v15, 0, v12
	v_alignbit_b32 v13, v11, v8, v13
	s_delay_alu instid0(VALU_DEP_2) | instskip(NEXT) | instid1(VALU_DEP_2)
	v_xor_b32_e32 v14, v14, v15
	v_cndmask_b32_e32 v11, v13, v11, vcc_lo
	s_delay_alu instid0(VALU_DEP_2) | instskip(NEXT) | instid1(VALU_DEP_2)
	v_clz_i32_u32_e32 v13, v14
	v_alignbit_b32 v10, v10, v11, 30
	v_alignbit_b32 v8, v11, v8, 30
	s_delay_alu instid0(VALU_DEP_3) | instskip(NEXT) | instid1(VALU_DEP_3)
	v_min_u32_e32 v13, 32, v13
	v_xor_b32_e32 v10, v10, v15
	s_delay_alu instid0(VALU_DEP_3) | instskip(NEXT) | instid1(VALU_DEP_3)
	v_dual_lshrrev_b32 v15, 29, v6 :: v_dual_bitop2_b32 v8, v8, v15 bitop3:0x14
	v_dual_sub_nc_u32 v11, 31, v13 :: v_dual_lshlrev_b32 v16, 23, v13
	s_delay_alu instid0(VALU_DEP_1) | instskip(NEXT) | instid1(VALU_DEP_3)
	v_alignbit_b32 v14, v14, v10, v11
	v_alignbit_b32 v8, v10, v8, v11
	s_delay_alu instid0(VALU_DEP_4) | instskip(NEXT) | instid1(VALU_DEP_2)
	v_lshlrev_b32_e32 v10, 31, v15
	v_alignbit_b32 v11, v14, v8, 9
	s_delay_alu instid0(VALU_DEP_2) | instskip(SKIP_2) | instid1(VALU_DEP_4)
	v_or_b32_e32 v15, 0.5, v10
	v_lshrrev_b32_e32 v14, 9, v14
	v_or_b32_e32 v10, 0x33000000, v10
	v_clz_i32_u32_e32 v17, v11
	s_delay_alu instid0(VALU_DEP_4) | instskip(NEXT) | instid1(VALU_DEP_2)
	v_sub_nc_u32_e32 v15, v15, v16
	v_min_u32_e32 v16, 32, v17
	s_delay_alu instid0(VALU_DEP_2) | instskip(NEXT) | instid1(VALU_DEP_2)
	v_or_b32_e32 v14, v14, v15
	v_not_b32_e32 v15, v16
	v_add_lshl_u32 v13, v16, v13, 23
	s_delay_alu instid0(VALU_DEP_2) | instskip(NEXT) | instid1(VALU_DEP_1)
	v_alignbit_b32 v8, v11, v8, v15
	v_dual_sub_nc_u32 v10, v10, v13 :: v_dual_lshrrev_b32 v8, 9, v8
	v_mul_f32_e32 v17, 0x3fc90fda, v14
	s_delay_alu instid0(VALU_DEP_2) | instskip(NEXT) | instid1(VALU_DEP_2)
	v_or_b32_e32 v8, v10, v8
	v_fma_f32 v11, 0x3fc90fda, v14, -v17
	s_delay_alu instid0(VALU_DEP_1) | instskip(NEXT) | instid1(VALU_DEP_1)
	v_fmamk_f32 v11, v14, 0x33a22168, v11
	v_dual_fmac_f32 v11, 0x3fc90fda, v8 :: v_dual_lshrrev_b32 v8, 30, v6
	s_delay_alu instid0(VALU_DEP_1)
	v_dual_add_nc_u32 v8, v12, v8 :: v_dual_add_f32 v6, v17, v11
	s_or_saveexec_b32 s0, s11
	v_mul_f32_e64 v12, 0x3f22f983, |v1|
	s_xor_b32 exec_lo, exec_lo, s0
	s_branch .LBB17_29
.LBB17_28:
	s_or_saveexec_b32 s0, s11
	v_mul_f32_e64 v12, 0x3f22f983, |v1|
	s_xor_b32 exec_lo, exec_lo, s0
.LBB17_29:
	s_delay_alu instid0(VALU_DEP_1) | instskip(NEXT) | instid1(VALU_DEP_1)
	v_rndne_f32_e32 v8, v12
	v_fma_f32 v6, 0xbfc90fda, v8, |v1|
	s_delay_alu instid0(VALU_DEP_1) | instskip(NEXT) | instid1(VALU_DEP_1)
	v_fmamk_f32 v6, v8, 0xb3a22168, v6
	v_fmamk_f32 v6, v8, 0xa7c234c4, v6
	v_cvt_i32_f32_e32 v8, v8
; %bb.30:
	s_or_b32 exec_lo, exec_lo, s0
                                        ; implicit-def: $vgpr11
                                        ; implicit-def: $vgpr10
	s_and_saveexec_b32 s0, s2
	s_delay_alu instid0(SALU_CYCLE_1)
	s_xor_b32 s2, exec_lo, s0
	s_cbranch_execz .LBB17_32
; %bb.31:
	s_mov_b32 s0, 0x7fffff
	v_mov_b32_e32 v11, 0
	v_and_or_b32 v10, v5, s0, 0x800000
	s_mov_b64 s[0:1], 0xfe5163ab
	v_add_nc_u32_e32 v9, 0xffffff88, v9
	s_delay_alu instid0(VALU_DEP_2) | instskip(NEXT) | instid1(VALU_DEP_2)
	v_mul_u64_e32 v[12:13], s[0:1], v[10:11]
	v_cmp_lt_u32_e32 vcc_lo, 63, v9
	s_delay_alu instid0(VALU_DEP_2) | instskip(SKIP_2) | instid1(VALU_DEP_3)
	v_dual_mov_b32 v14, v13 :: v_dual_mov_b32 v15, v11
	v_dual_mov_b32 v17, v11 :: v_dual_mov_b32 v19, v11
	;; [unrolled: 1-line block ×3, first 2 shown]
	v_mad_nc_u64_u32 v[14:15], 0x3c439041, v10, v[14:15]
	v_cndmask_b32_e64 v13, 0, 0xffffffc0, vcc_lo
	s_delay_alu instid0(VALU_DEP_1) | instskip(NEXT) | instid1(VALU_DEP_3)
	v_dual_mov_b32 v25, v11 :: v_dual_add_nc_u32 v9, v13, v9
	v_mov_b32_e32 v16, v15
	s_delay_alu instid0(VALU_DEP_2) | instskip(NEXT) | instid1(VALU_DEP_2)
	v_cmp_lt_u32_e64 s0, 31, v9
	v_mad_nc_u64_u32 v[16:17], 0xdb629599, v10, v[16:17]
	s_delay_alu instid0(VALU_DEP_2) | instskip(NEXT) | instid1(VALU_DEP_1)
	v_cndmask_b32_e64 v13, 0, 0xffffffe0, s0
	v_add_nc_u32_e32 v9, v13, v9
	s_delay_alu instid0(VALU_DEP_3) | instskip(NEXT) | instid1(VALU_DEP_2)
	v_mov_b32_e32 v18, v17
	v_cmp_lt_u32_e64 s1, 31, v9
	v_cndmask_b32_e32 v12, v16, v12, vcc_lo
	s_delay_alu instid0(VALU_DEP_3) | instskip(NEXT) | instid1(VALU_DEP_3)
	v_mad_nc_u64_u32 v[18:19], 0xf534ddc0, v10, v[18:19]
	v_cndmask_b32_e64 v13, 0, 0xffffffe0, s1
	s_delay_alu instid0(VALU_DEP_1) | instskip(NEXT) | instid1(VALU_DEP_3)
	v_dual_add_nc_u32 v9, v13, v9 :: v_dual_cndmask_b32 v13, v18, v14, vcc_lo
	v_mov_b32_e32 v20, v19
	s_delay_alu instid0(VALU_DEP_1) | instskip(NEXT) | instid1(VALU_DEP_1)
	v_mad_nc_u64_u32 v[20:21], 0xfc2757d1, v10, v[20:21]
	v_dual_mov_b32 v22, v21 :: v_dual_cndmask_b32 v17, v20, v16
	s_delay_alu instid0(VALU_DEP_1) | instskip(NEXT) | instid1(VALU_DEP_1)
	v_mad_nc_u64_u32 v[22:23], 0x4e441529, v10, v[22:23]
	v_dual_mov_b32 v24, v23 :: v_dual_cndmask_b32 v15, v22, v18
	s_delay_alu instid0(VALU_DEP_1) | instskip(NEXT) | instid1(VALU_DEP_1)
	v_mad_nc_u64_u32 v[10:11], 0xa2f9836e, v10, v[24:25]
	v_dual_cndmask_b32 v10, v10, v20 :: v_dual_cndmask_b32 v11, v11, v22
	v_cmp_eq_u32_e32 vcc_lo, 0, v9
	s_delay_alu instid0(VALU_DEP_2) | instskip(SKIP_2) | instid1(VALU_DEP_3)
	v_dual_cndmask_b32 v14, v10, v15, s0 :: v_dual_cndmask_b32 v10, v11, v10, s0
	v_cndmask_b32_e64 v11, v15, v17, s0
	v_sub_nc_u32_e32 v15, 32, v9
	v_dual_cndmask_b32 v17, v17, v13, s0 :: v_dual_cndmask_b32 v10, v10, v14, s1
	s_delay_alu instid0(VALU_DEP_3) | instskip(NEXT) | instid1(VALU_DEP_1)
	v_cndmask_b32_e64 v14, v14, v11, s1
	v_alignbit_b32 v18, v10, v14, v15
	s_delay_alu instid0(VALU_DEP_1) | instskip(NEXT) | instid1(VALU_DEP_1)
	v_dual_cndmask_b32 v11, v11, v17, s1 :: v_dual_cndmask_b32 v9, v18, v10, vcc_lo
	v_alignbit_b32 v16, v14, v11, v15
	v_cndmask_b32_e64 v10, v13, v12, s0
	s_delay_alu instid0(VALU_DEP_3) | instskip(NEXT) | instid1(VALU_DEP_3)
	v_bfe_u32 v13, v9, 29, 1
	v_cndmask_b32_e32 v12, v16, v14, vcc_lo
	s_delay_alu instid0(VALU_DEP_2) | instskip(NEXT) | instid1(VALU_DEP_2)
	v_dual_cndmask_b32 v10, v17, v10, s1 :: v_dual_sub_nc_u32 v16, 0, v13
	v_alignbit_b32 v14, v9, v12, 30
	s_delay_alu instid0(VALU_DEP_2) | instskip(NEXT) | instid1(VALU_DEP_1)
	v_alignbit_b32 v15, v11, v10, v15
	v_dual_cndmask_b32 v11, v15, v11, vcc_lo :: v_dual_bitop2_b32 v14, v14, v16 bitop3:0x14
	s_delay_alu instid0(VALU_DEP_1) | instskip(NEXT) | instid1(VALU_DEP_2)
	v_clz_i32_u32_e32 v15, v14
	v_alignbit_b32 v12, v12, v11, 30
	v_alignbit_b32 v10, v11, v10, 30
	s_delay_alu instid0(VALU_DEP_3) | instskip(NEXT) | instid1(VALU_DEP_3)
	v_min_u32_e32 v15, 32, v15
	v_xor_b32_e32 v11, v12, v16
	s_delay_alu instid0(VALU_DEP_3) | instskip(NEXT) | instid1(VALU_DEP_3)
	v_dual_lshrrev_b32 v16, 29, v9 :: v_dual_bitop2_b32 v10, v10, v16 bitop3:0x14
	v_dual_lshrrev_b32 v9, 30, v9 :: v_dual_sub_nc_u32 v12, 31, v15
	v_lshlrev_b32_e32 v17, 23, v15
	s_delay_alu instid0(VALU_DEP_2) | instskip(NEXT) | instid1(VALU_DEP_4)
	v_alignbit_b32 v14, v14, v11, v12
	v_alignbit_b32 v10, v11, v10, v12
	v_lshlrev_b32_e32 v11, 31, v16
	s_delay_alu instid0(VALU_DEP_2) | instskip(NEXT) | instid1(VALU_DEP_2)
	v_alignbit_b32 v12, v14, v10, 9
	v_dual_lshrrev_b32 v14, 9, v14 :: v_dual_bitop2_b32 v16, 0.5, v11 bitop3:0x54
	v_or_b32_e32 v11, 0x33000000, v11
	s_delay_alu instid0(VALU_DEP_3) | instskip(NEXT) | instid1(VALU_DEP_3)
	v_clz_i32_u32_e32 v18, v12
	v_sub_nc_u32_e32 v16, v16, v17
	s_delay_alu instid0(VALU_DEP_2) | instskip(NEXT) | instid1(VALU_DEP_1)
	v_min_u32_e32 v17, 32, v18
	v_add_lshl_u32 v15, v17, v15, 23
	s_delay_alu instid0(VALU_DEP_1) | instskip(SKIP_1) | instid1(VALU_DEP_1)
	v_dual_sub_nc_u32 v11, v11, v15 :: v_dual_bitop2_b32 v14, v14, v16 bitop3:0x54
	v_not_b32_e32 v16, v17
	v_alignbit_b32 v10, v12, v10, v16
	s_delay_alu instid0(VALU_DEP_1) | instskip(NEXT) | instid1(VALU_DEP_4)
	v_lshrrev_b32_e32 v10, 9, v10
	v_mul_f32_e32 v18, 0x3fc90fda, v14
	s_delay_alu instid0(VALU_DEP_2) | instskip(NEXT) | instid1(VALU_DEP_2)
	v_or_b32_e32 v10, v11, v10
	v_fma_f32 v12, 0x3fc90fda, v14, -v18
	s_delay_alu instid0(VALU_DEP_1) | instskip(NEXT) | instid1(VALU_DEP_1)
	v_dual_fmamk_f32 v12, v14, 0x33a22168, v12 :: v_dual_add_nc_u32 v11, v13, v9
	v_fmac_f32_e32 v12, 0x3fc90fda, v10
	s_delay_alu instid0(VALU_DEP_1)
	v_add_f32_e32 v10, v18, v12
                                        ; implicit-def: $vgpr12
	s_and_not1_saveexec_b32 s0, s2
	s_cbranch_execnz .LBB17_33
	s_branch .LBB17_34
.LBB17_32:
	s_and_not1_saveexec_b32 s0, s2
.LBB17_33:
	v_rndne_f32_e32 v9, v12
	s_delay_alu instid0(VALU_DEP_1) | instskip(SKIP_1) | instid1(VALU_DEP_2)
	v_fma_f32 v10, 0xbfc90fda, v9, |v1|
	v_cvt_i32_f32_e32 v11, v9
	v_fmamk_f32 v10, v9, 0xb3a22168, v10
	s_delay_alu instid0(VALU_DEP_1)
	v_fmamk_f32 v10, v9, 0xa7c234c4, v10
.LBB17_34:
	s_or_b32 exec_lo, exec_lo, s0
	v_div_scale_f32 v9, null, v7, v7, 0x40a00000
	v_div_scale_f32 v14, vcc_lo, 0x40a00000, v7, 0x40a00000
	s_mov_b32 s0, 0xb94c1982
	v_rcp_f32_e32 v12, v9
	v_mul_f32_e32 v21, 0x4f800000, v7
	s_mov_b32 s1, 0x37d75334
	v_xor_b32_e32 v5, v5, v1
	s_delay_alu instid0(TRANS32_DEP_1) | instskip(NEXT) | instid1(VALU_DEP_1)
	v_fma_f32 v13, -v9, v12, 1.0
	v_fmac_f32_e32 v12, v13, v12
	s_delay_alu instid0(VALU_DEP_1) | instskip(NEXT) | instid1(VALU_DEP_1)
	v_mul_f32_e32 v13, v14, v12
	v_fma_f32 v15, -v9, v13, v14
	s_delay_alu instid0(VALU_DEP_1) | instskip(NEXT) | instid1(VALU_DEP_1)
	v_dual_fmac_f32 v13, v15, v12 :: v_dual_mul_f32 v15, v10, v10
	v_fma_f32 v9, -v9, v13, v14
	s_delay_alu instid0(VALU_DEP_2) | instskip(NEXT) | instid1(VALU_DEP_2)
	v_fmaak_f32 v24, s0, v15, 0x3c0881c4
	v_div_fmas_f32 v9, v9, v12, v13
	v_mul_f32_e32 v12, v6, v6
	s_delay_alu instid0(VALU_DEP_3) | instskip(SKIP_1) | instid1(VALU_DEP_4)
	v_fmaak_f32 v24, v15, v24, 0xbe2aaa9d
	v_dual_lshlrev_b32 v8, 30, v8 :: v_dual_bitop2_b32 v13, 1, v8 bitop3:0x40
	v_div_fixup_f32 v9, v9, v7, 0x40a00000
	s_delay_alu instid0(VALU_DEP_4) | instskip(SKIP_4) | instid1(VALU_DEP_4)
	v_fmaak_f32 v22, s0, v12, 0x3c0881c4
	v_cmp_gt_f32_e64 s0, 0xf800000, v7
	v_and_b32_e32 v16, 1, v11
	v_cmp_eq_u32_e64 s2, 0, v13
	v_dual_mul_f32 v14, v9, v9 :: v_dual_lshlrev_b32 v11, 30, v11
	v_cndmask_b32_e64 v7, v7, v21, s0
	v_fmaak_f32 v22, v12, v22, 0xbe2aaa9d
	v_and_b32_e32 v8, 0x80000000, v8
	s_delay_alu instid0(VALU_DEP_4) | instskip(SKIP_3) | instid1(VALU_DEP_3)
	v_fmaak_f32 v18, 0, v14, 0x3a15c4d9
	v_dual_fmaak_f32 v17, 0, v14, 0x3d513fd3 :: v_dual_mul_f32 v24, v15, v24
	v_sqrt_f32_e32 v28, v7
	v_fmaak_f32 v20, 0, v14, 0x3a47c962
	v_fmaak_f32 v18, v14, v18, 0x3d8cfeeb
	;; [unrolled: 1-line block ×3, first 2 shown]
	v_dual_fmaak_f32 v17, v14, v17, 0x409f6dae :: v_dual_mul_f32 v22, v12, v22
	v_fmaak_f32 v23, s1, v12, 0xbab64f3b
	s_delay_alu instid0(TRANS32_DEP_1) | instskip(SKIP_4) | instid1(VALU_DEP_4)
	v_add_nc_u32_e32 v33, 1, v28
	v_fmaak_f32 v20, v14, v20, 0x3d95ca45
	v_fmaak_f32 v18, v14, v18, 0x3f8d754e
	;; [unrolled: 1-line block ×3, first 2 shown]
	v_dual_fmaak_f32 v25, s1, v15, 0xbab64f3b :: v_dual_fmac_f32 v10, v10, v24
	v_fmaak_f32 v20, v14, v20, 0x3f9047f6
	s_delay_alu instid0(VALU_DEP_4) | instskip(NEXT) | instid1(VALU_DEP_4)
	v_fmaak_f32 v18, v14, v18, 0x40a25d18
	v_fmaak_f32 v17, v14, v17, 0x43b763ca
	s_delay_alu instid0(VALU_DEP_4) | instskip(NEXT) | instid1(VALU_DEP_4)
	v_dual_fmac_f32 v6, v6, v22 :: v_dual_fmaak_f32 v25, v15, v25, 0x3d2aabf7
	v_fmaak_f32 v20, v14, v20, 0x40a39628
	s_delay_alu instid0(VALU_DEP_4) | instskip(NEXT) | instid1(VALU_DEP_4)
	v_fmaak_f32 v18, v14, v18, 0x410665cf
	v_fmaak_f32 v17, v14, v17, 0x4431b6ce
	s_delay_alu instid0(VALU_DEP_4) | instskip(NEXT) | instid1(VALU_DEP_4)
	v_fmaak_f32 v25, v15, v25, 0xbf000004
	;; [unrolled: 3-line block ×3, first 2 shown]
	v_fmaak_f32 v17, v14, v17, 0x44155f56
	s_delay_alu instid0(VALU_DEP_4) | instskip(NEXT) | instid1(VALU_DEP_4)
	v_fma_f32 v15, v15, v25, 1.0
	v_fmaak_f32 v20, v14, v20, 0x40a6dd51
	s_delay_alu instid0(VALU_DEP_4) | instskip(NEXT) | instid1(VALU_DEP_4)
	v_fma_f32 v18, v14, v18, 1.0
	v_fmaak_f32 v17, v14, v17, 0x4353b052
	s_delay_alu instid0(VALU_DEP_3) | instskip(NEXT) | instid1(VALU_DEP_1)
	v_fma_f32 v20, v14, v20, 1.0
	v_div_scale_f32 v31, vcc_lo, v20, v18, v20
	v_fmaak_f32 v19, v14, v19, 0x44840e5d
	s_delay_alu instid0(VALU_DEP_1) | instskip(NEXT) | instid1(VALU_DEP_1)
	v_fmaak_f32 v19, v14, v19, 0x459bd349
	v_fmaak_f32 v19, v14, v19, 0x46156947
	s_delay_alu instid0(VALU_DEP_1) | instskip(NEXT) | instid1(VALU_DEP_1)
	v_fmaak_f32 v19, v14, v19, 0x45f9e855
	v_fmaak_f32 v19, v14, v19, 0x4530a316
	s_delay_alu instid0(VALU_DEP_1) | instskip(SKIP_2) | instid1(VALU_DEP_2)
	v_fmaak_f32 v19, v14, v19, 0x43a80bfb
	v_fmaak_f32 v14, v14, v17, 0x41c9a7fa
	v_div_scale_f32 v17, null, v18, v18, v20
	v_div_scale_f32 v21, null, v19, v19, v14
	s_delay_alu instid0(VALU_DEP_2) | instskip(NEXT) | instid1(VALU_DEP_1)
	v_rcp_f32_e32 v26, v17
	v_rcp_f32_e32 v27, v21
	s_delay_alu instid0(TRANS32_DEP_2) | instskip(NEXT) | instid1(TRANS32_DEP_1)
	v_fma_f32 v29, -v17, v26, 1.0
	v_fma_f32 v30, -v21, v27, 1.0
	s_delay_alu instid0(VALU_DEP_2) | instskip(SKIP_1) | instid1(VALU_DEP_3)
	v_fmac_f32_e32 v26, v29, v26
	v_div_scale_f32 v29, s1, v14, v19, v14
	v_dual_fmac_f32 v27, v30, v27 :: v_dual_add_nc_u32 v30, -1, v28
	s_delay_alu instid0(VALU_DEP_1) | instskip(NEXT) | instid1(VALU_DEP_2)
	v_dual_mul_f32 v32, v31, v26 :: v_dual_mul_f32 v34, v29, v27
	v_fma_f32 v24, -v30, v28, v7
	s_delay_alu instid0(VALU_DEP_2) | instskip(NEXT) | instid1(VALU_DEP_1)
	v_fma_f32 v22, -v17, v32, v31
	v_dual_fmaak_f32 v23, v12, v23, 0x3d2aabf7 :: v_dual_fmac_f32 v32, v22, v26
	s_delay_alu instid0(VALU_DEP_1) | instskip(NEXT) | instid1(VALU_DEP_1)
	v_fmaak_f32 v23, v12, v23, 0xbf000004
	v_fma_f32 v12, v12, v23, 1.0
	v_fma_f32 v23, -v21, v34, v29
	s_delay_alu instid0(VALU_DEP_1) | instskip(SKIP_3) | instid1(VALU_DEP_4)
	v_dual_cndmask_b32 v6, v12, v6, s2 :: v_dual_fmac_f32 v34, v23, v27
	v_fma_f32 v12, -v17, v32, v31
	v_cmp_eq_u32_e64 s2, 0, v16
	v_fma_f32 v22, -v33, v28, v7
	v_xor3_b32 v5, v5, v8, v6
	v_fma_f32 v13, -v21, v34, v29
	v_div_fmas_f32 v12, v12, v26, v32
	s_mov_b32 vcc_lo, s1
	v_cndmask_b32_e64 v10, -v10, v15, s2
	v_cmp_lt_f32_e64 s1, 0, v22
	v_div_fmas_f32 v13, v13, v27, v34
	v_cmp_ge_f32_e32 vcc_lo, 0, v24
	s_delay_alu instid0(VALU_DEP_2) | instskip(SKIP_4) | instid1(VALU_DEP_4)
	v_div_fixup_f32 v6, v13, v19, v14
	v_cndmask_b32_e32 v15, v28, v30, vcc_lo
	v_cmp_class_f32_e64 vcc_lo, v1, 0x1f8
	v_bitop3_b32 v1, v11, v10, 0x80000000 bitop3:0x6c
	v_div_fixup_f32 v10, v12, v18, v20
	v_dual_mul_f32 v6, v9, v6 :: v_dual_cndmask_b32 v8, v15, v33, s1
	v_cndmask_b32_e32 v5, 0x7fc00000, v5, vcc_lo
	s_delay_alu instid0(VALU_DEP_4) | instskip(SKIP_1) | instid1(VALU_DEP_4)
	v_cndmask_b32_e32 v1, 0x7fc00000, v1, vcc_lo
	v_cmp_class_f32_e64 vcc_lo, v7, 0x260
	v_mul_f32_e32 v9, 0x37800000, v8
	s_delay_alu instid0(VALU_DEP_3) | instskip(NEXT) | instid1(VALU_DEP_2)
	v_mul_f32_e32 v1, v6, v1
	v_cndmask_b32_e64 v6, v8, v9, s0
	s_delay_alu instid0(VALU_DEP_2) | instskip(NEXT) | instid1(VALU_DEP_2)
	v_fmac_f32_e32 v1, v10, v5
	v_cndmask_b32_e32 v5, v6, v7, vcc_lo
	s_delay_alu instid0(VALU_DEP_2) | instskip(NEXT) | instid1(VALU_DEP_1)
	v_mul_f32_e32 v1, 0x3f4c422a, v1
	v_div_scale_f32 v6, null, v5, v5, v1
	s_delay_alu instid0(VALU_DEP_1) | instskip(SKIP_1) | instid1(TRANS32_DEP_1)
	v_rcp_f32_e32 v7, v6
	v_nop
	v_fma_f32 v8, -v6, v7, 1.0
	s_delay_alu instid0(VALU_DEP_1) | instskip(SKIP_1) | instid1(VALU_DEP_1)
	v_fmac_f32_e32 v7, v8, v7
	v_div_scale_f32 v8, vcc_lo, v1, v5, v1
	v_mul_f32_e32 v9, v8, v7
	s_delay_alu instid0(VALU_DEP_1) | instskip(NEXT) | instid1(VALU_DEP_1)
	v_fma_f32 v10, -v6, v9, v8
	v_fmac_f32_e32 v9, v10, v7
	s_delay_alu instid0(VALU_DEP_1) | instskip(NEXT) | instid1(VALU_DEP_1)
	v_fma_f32 v6, -v6, v9, v8
	v_div_fmas_f32 v6, v6, v7, v9
	s_delay_alu instid0(VALU_DEP_1)
	v_div_fixup_f32 v5, v6, v5, v1
.LBB17_35:
	s_or_b32 exec_lo, exec_lo, s10
                                        ; implicit-def: $vgpr6
	s_delay_alu instid0(SALU_CYCLE_1)
	s_mov_b32 s0, exec_lo
	s_wait_loadcnt 0x0
	v_cmpx_ge_f32_e32 0x40a00000, v2
	s_xor_b32 s10, exec_lo, s0
	s_cbranch_execz .LBB17_41
; %bb.36:
	v_mov_b32_e32 v6, 0xff800000
	s_mov_b32 s11, exec_lo
	v_cmpx_neq_f32_e32 0, v2
	s_cbranch_execz .LBB17_40
; %bb.37:
	v_mov_b32_e32 v6, 0x7fc00000
	s_mov_b32 s12, exec_lo
	v_cmpx_nge_f32_e32 0, v2
	s_cbranch_execz .LBB17_39
; %bb.38:
	v_mul_f32_e32 v6, v2, v2
	v_mov_b64_e32 v[8:9], 0x4c8c277d4e9695f3
	v_mov_b64_e32 v[12:13], 0x508bc61dd316b96b
	;; [unrolled: 1-line block ×3, first 2 shown]
	v_div_scale_f32 v24, s2, -1.0, v2, -1.0
	v_dual_fmaak_f32 v1, 0, v6, 0x4414934d :: v_dual_mul_f32 v10, 0, v6
	v_fmaak_f32 v7, 0, v6, 0x441b3589
	v_mov_b64_e32 v[16:17], 0x548a37dcce5691e2
	v_mov_b64_e32 v[18:19], 0x5832585252d295d0
	s_delay_alu instid0(VALU_DEP_4) | instskip(SKIP_2) | instid1(VALU_DEP_3)
	v_fmaak_f32 v1, v6, v1, 0x48660b06
	v_cmp_gt_f32_e64 s0, 0x800000, v2
	v_fmaak_f32 v7, v6, v7, 0x487af6d0
	v_mul_f32_e32 v11, v6, v1
	s_delay_alu instid0(VALU_DEP_2) | instskip(NEXT) | instid1(VALU_DEP_2)
	v_fmaak_f32 v1, v6, v7, 0x4c9f4aa7
	v_pk_add_f32 v[8:9], v[10:11], v[8:9]
	s_delay_alu instid0(VALU_DEP_2) | instskip(NEXT) | instid1(VALU_DEP_2)
	v_fmaak_f32 v1, v6, v1, 0x50a509fc
	v_pk_fma_f32 v[8:9], v[6:7], v[8:9], v[12:13] op_sel_hi:[0,1,1]
	v_mov_b64_e32 v[12:13], 0x580d1937d9e700d2
	s_delay_alu instid0(VALU_DEP_3) | instskip(NEXT) | instid1(VALU_DEP_3)
	v_mul_f32_e32 v11, v6, v1
	v_pk_fma_f32 v[8:9], v[6:7], v[8:9], v[14:15] op_sel_hi:[0,1,1]
	v_mov_b64_e32 v[14:15], 0x5b741f1e5c33cd68
	s_delay_alu instid0(VALU_DEP_3) | instskip(SKIP_1) | instid1(VALU_DEP_4)
	v_pk_add_f32 v[10:11], v[10:11], v[16:17]
	v_mov_b64_e32 v[16:17], 0x5b9f0600d6845497
	v_pk_fma_f32 v[8:9], v[6:7], v[8:9], v[12:13] op_sel_hi:[0,1,1]
	v_mov_b64_e32 v[12:13], 0x5e5c878ddd2cf20b
	s_delay_alu instid0(VALU_DEP_4) | instskip(SKIP_1) | instid1(VALU_DEP_4)
	v_pk_fma_f32 v[10:11], v[6:7], v[10:11], v[18:19] op_sel_hi:[0,1,1]
	v_mov_b64_e32 v[18:19], 0x5e93bcac59515a15
	v_pk_fma_f32 v[8:9], v[6:7], v[8:9], v[14:15] op_sel_hi:[0,1,1]
	v_div_scale_f32 v15, null, v2, v2, -1.0
	s_delay_alu instid0(VALU_DEP_4) | instskip(NEXT) | instid1(VALU_DEP_3)
	v_pk_fma_f32 v[10:11], v[6:7], v[10:11], v[16:17] op_sel_hi:[0,1,1]
	v_pk_fma_f32 v[8:9], v[6:7], v[8:9], v[12:13] op_sel_hi:[0,1,1]
	v_cndmask_b32_e64 v12, 0, 32, s0
	s_delay_alu instid0(VALU_DEP_2) | instskip(NEXT) | instid1(VALU_DEP_2)
	v_div_scale_f32 v1, null, v9, v9, v8
	v_ldexp_f32 v12, v2, v12
	s_delay_alu instid0(VALU_DEP_2) | instskip(NEXT) | instid1(VALU_DEP_1)
	v_rcp_f32_e32 v13, v1
	v_log_f32_e32 v21, v12
	s_delay_alu instid0(TRANS32_DEP_2) | instskip(NEXT) | instid1(VALU_DEP_1)
	v_fma_f32 v16, -v1, v13, 1.0
	v_fmac_f32_e32 v13, v16, v13
	v_pk_fma_f32 v[10:11], v[6:7], v[10:11], v[18:19] op_sel_hi:[0,1,1]
	v_div_scale_f32 v18, vcc_lo, v8, v9, v8
	v_rcp_f32_e32 v16, v15
	s_delay_alu instid0(VALU_DEP_2) | instskip(SKIP_1) | instid1(VALU_DEP_2)
	v_div_scale_f32 v7, null, v11, v11, v10
	v_div_scale_f32 v19, s1, v10, v11, v10
	v_rcp_f32_e32 v14, v7
	s_delay_alu instid0(TRANS32_DEP_2) | instskip(NEXT) | instid1(VALU_DEP_1)
	v_fma_f32 v12, -v15, v16, 1.0
	v_fmac_f32_e32 v16, v12, v16
	s_delay_alu instid0(TRANS32_DEP_1) | instskip(NEXT) | instid1(VALU_DEP_1)
	v_fma_f32 v17, -v7, v14, 1.0
	v_dual_fmac_f32 v14, v17, v14 :: v_dual_mul_f32 v17, v18, v13
	s_delay_alu instid0(VALU_DEP_1) | instskip(NEXT) | instid1(VALU_DEP_1)
	v_dual_mul_f32 v20, v19, v14 :: v_dual_fma_f32 v22, -v1, v17, v18
	v_dual_fma_f32 v23, -v7, v20, v19 :: v_dual_fmac_f32 v17, v22, v13
	s_delay_alu instid0(VALU_DEP_1) | instskip(SKIP_1) | instid1(VALU_DEP_2)
	v_dual_fmac_f32 v20, v23, v14 :: v_dual_fma_f32 v1, -v1, v17, v18
	v_mul_f32_e32 v18, v24, v16
	v_fma_f32 v7, -v7, v20, v19
	s_delay_alu instid0(VALU_DEP_3) | instskip(SKIP_2) | instid1(VALU_DEP_3)
	v_div_fmas_f32 v1, v1, v13, v17
	s_mov_b32 vcc_lo, s1
	v_mov_b64_e32 v[12:13], 0xc16ae95ac244dfb3
	v_div_fmas_f32 v7, v7, v14, v20
	v_fma_f32 v14, -v15, v18, v24
	v_mul_f32_e32 v25, 0x3f317217, v21
	v_cmp_gt_f32_e64 vcc_lo, 0x7f800000, |v21|
	v_div_fixup_f32 v1, v1, v9, v8
	v_div_fixup_f32 v10, v7, v11, v10
	v_fmac_f32_e32 v18, v14, v16
	v_fma_f32 v22, 0x3f317217, v21, -v25
	v_pk_add_f32 v[6:7], v[6:7], v[12:13] op_sel_hi:[0,1]
	v_cndmask_b32_e64 v11, 0, 0x41b17218, s0
	v_mul_f32_e32 v10, v2, v10
	v_fma_f32 v12, -v15, v18, v24
	v_fmamk_f32 v17, v21, 0x3377d1cf, v22
	s_delay_alu instid0(VALU_DEP_3) | instskip(NEXT) | instid1(VALU_DEP_1)
	v_mul_f32_e32 v7, v7, v10
	v_dual_fmac_f32 v17, 0x3f317217, v21 :: v_dual_mul_f32 v6, v6, v7
	s_delay_alu instid0(VALU_DEP_1) | instskip(SKIP_2) | instid1(VALU_DEP_2)
	v_cndmask_b32_e32 v13, v21, v17, vcc_lo
	s_mov_b32 vcc_lo, s2
	v_div_fmas_f32 v10, v12, v16, v18
	v_sub_f32_e32 v11, v13, v11
	s_delay_alu instid0(VALU_DEP_2) | instskip(NEXT) | instid1(VALU_DEP_1)
	v_div_fixup_f32 v7, v10, v2, -1.0
	v_fmac_f32_e32 v7, v11, v6
	s_delay_alu instid0(VALU_DEP_1) | instskip(NEXT) | instid1(VALU_DEP_1)
	v_mul_f32_e32 v6, 0x3f22f983, v7
	v_fmac_f32_e32 v6, v2, v1
.LBB17_39:
	s_or_b32 exec_lo, exec_lo, s12
.LBB17_40:
	s_delay_alu instid0(SALU_CYCLE_1)
	s_or_b32 exec_lo, exec_lo, s11
.LBB17_41:
	s_and_not1_saveexec_b32 s10, s10
	s_cbranch_execz .LBB17_51
; %bb.42:
	v_add_f32_e32 v1, 0xc016cbe4, v2
                                        ; implicit-def: $vgpr8
                                        ; implicit-def: $vgpr7
	s_delay_alu instid0(VALU_DEP_1) | instskip(SKIP_1) | instid1(VALU_DEP_2)
	v_and_b32_e32 v6, 0x7fffffff, v1
	v_cmp_ngt_f32_e64 s2, 0x48000000, |v1|
	v_lshrrev_b32_e32 v9, 23, v6
	s_and_saveexec_b32 s0, s2
	s_delay_alu instid0(SALU_CYCLE_1)
	s_xor_b32 s11, exec_lo, s0
	s_cbranch_execz .LBB17_44
; %bb.43:
	s_mov_b32 s0, 0x7fffff
	v_mov_b32_e32 v11, 0
	v_and_or_b32 v10, v6, s0, 0x800000
	s_mov_b64 s[0:1], 0xfe5163ab
	v_add_nc_u32_e32 v7, 0xffffff88, v9
	s_delay_alu instid0(VALU_DEP_2) | instskip(NEXT) | instid1(VALU_DEP_2)
	v_mul_u64_e32 v[12:13], s[0:1], v[10:11]
	v_cmp_lt_u32_e32 vcc_lo, 63, v7
	v_cndmask_b32_e64 v8, 0, 0xffffffc0, vcc_lo
	s_delay_alu instid0(VALU_DEP_3) | instskip(SKIP_2) | instid1(VALU_DEP_3)
	v_dual_mov_b32 v14, v13 :: v_dual_mov_b32 v15, v11
	v_dual_mov_b32 v17, v11 :: v_dual_mov_b32 v19, v11
	;; [unrolled: 1-line block ×3, first 2 shown]
	v_mad_nc_u64_u32 v[14:15], 0x3c439041, v10, v[14:15]
	v_dual_add_nc_u32 v7, v8, v7 :: v_dual_mov_b32 v25, v11
	s_delay_alu instid0(VALU_DEP_1) | instskip(NEXT) | instid1(VALU_DEP_3)
	v_cmp_lt_u32_e64 s0, 31, v7
	v_mov_b32_e32 v16, v15
	s_delay_alu instid0(VALU_DEP_2) | instskip(NEXT) | instid1(VALU_DEP_2)
	v_cndmask_b32_e64 v8, 0, 0xffffffe0, s0
	v_mad_nc_u64_u32 v[16:17], 0xdb629599, v10, v[16:17]
	s_delay_alu instid0(VALU_DEP_2) | instskip(NEXT) | instid1(VALU_DEP_1)
	v_add_nc_u32_e32 v7, v8, v7
	v_cmp_lt_u32_e64 s1, 31, v7
	s_delay_alu instid0(VALU_DEP_3) | instskip(NEXT) | instid1(VALU_DEP_2)
	v_mov_b32_e32 v18, v17
	v_cndmask_b32_e64 v8, 0, 0xffffffe0, s1
	v_cndmask_b32_e32 v12, v16, v12, vcc_lo
	s_delay_alu instid0(VALU_DEP_3) | instskip(NEXT) | instid1(VALU_DEP_1)
	v_mad_nc_u64_u32 v[18:19], 0xf534ddc0, v10, v[18:19]
	v_dual_cndmask_b32 v8, v18, v14 :: v_dual_add_nc_u32 v7, v8, v7
	s_delay_alu instid0(VALU_DEP_2) | instskip(NEXT) | instid1(VALU_DEP_1)
	v_mov_b32_e32 v20, v19
	v_mad_nc_u64_u32 v[20:21], 0xfc2757d1, v10, v[20:21]
	s_delay_alu instid0(VALU_DEP_1) | instskip(NEXT) | instid1(VALU_DEP_1)
	v_dual_mov_b32 v22, v21 :: v_dual_cndmask_b32 v15, v20, v16
	v_mad_nc_u64_u32 v[22:23], 0x4e441529, v10, v[22:23]
	s_delay_alu instid0(VALU_DEP_1) | instskip(NEXT) | instid1(VALU_DEP_1)
	v_dual_mov_b32 v24, v23 :: v_dual_cndmask_b32 v13, v22, v18
	v_mad_nc_u64_u32 v[10:11], 0xa2f9836e, v10, v[24:25]
	s_delay_alu instid0(VALU_DEP_1) | instskip(SKIP_1) | instid1(VALU_DEP_2)
	v_dual_cndmask_b32 v10, v10, v20 :: v_dual_cndmask_b32 v11, v11, v22
	v_cmp_eq_u32_e32 vcc_lo, 0, v7
	v_dual_cndmask_b32 v14, v10, v13, s0 :: v_dual_cndmask_b32 v10, v11, v10, s0
	v_dual_cndmask_b32 v11, v13, v15, s0 :: v_dual_cndmask_b32 v15, v15, v8, s0
	v_dual_sub_nc_u32 v13, 32, v7 :: v_dual_cndmask_b32 v8, v8, v12, s0
	s_delay_alu instid0(VALU_DEP_3) | instskip(NEXT) | instid1(VALU_DEP_2)
	v_cndmask_b32_e64 v10, v10, v14, s1
	v_dual_cndmask_b32 v14, v14, v11, s1 :: v_dual_cndmask_b32 v8, v15, v8, s1
	s_delay_alu instid0(VALU_DEP_1) | instskip(NEXT) | instid1(VALU_DEP_1)
	v_alignbit_b32 v17, v10, v14, v13
	v_dual_cndmask_b32 v11, v11, v15, s1 :: v_dual_cndmask_b32 v7, v17, v10, vcc_lo
	s_delay_alu instid0(VALU_DEP_1) | instskip(NEXT) | instid1(VALU_DEP_4)
	v_alignbit_b32 v16, v14, v11, v13
	v_alignbit_b32 v13, v11, v8, v13
	s_delay_alu instid0(VALU_DEP_3) | instskip(NEXT) | instid1(VALU_DEP_2)
	v_bfe_u32 v12, v7, 29, 1
	v_dual_cndmask_b32 v10, v16, v14 :: v_dual_cndmask_b32 v11, v13, v11
	s_delay_alu instid0(VALU_DEP_2) | instskip(NEXT) | instid1(VALU_DEP_2)
	v_sub_nc_u32_e32 v15, 0, v12
	v_alignbit_b32 v14, v7, v10, 30
	s_delay_alu instid0(VALU_DEP_3) | instskip(SKIP_1) | instid1(VALU_DEP_3)
	v_alignbit_b32 v10, v10, v11, 30
	v_alignbit_b32 v8, v11, v8, 30
	v_xor_b32_e32 v14, v14, v15
	s_delay_alu instid0(VALU_DEP_2) | instskip(NEXT) | instid1(VALU_DEP_2)
	v_xor_b32_e32 v8, v8, v15
	v_clz_i32_u32_e32 v13, v14
	s_delay_alu instid0(VALU_DEP_1) | instskip(NEXT) | instid1(VALU_DEP_1)
	v_min_u32_e32 v13, 32, v13
	v_dual_lshlrev_b32 v16, 23, v13 :: v_dual_bitop2_b32 v10, v10, v15 bitop3:0x14
	v_sub_nc_u32_e32 v11, 31, v13
	s_delay_alu instid0(VALU_DEP_1) | instskip(SKIP_2) | instid1(VALU_DEP_1)
	v_alignbit_b32 v14, v14, v10, v11
	v_lshrrev_b32_e32 v15, 29, v7
	v_alignbit_b32 v8, v10, v8, v11
	v_alignbit_b32 v11, v14, v8, 9
	s_delay_alu instid0(VALU_DEP_3) | instskip(NEXT) | instid1(VALU_DEP_2)
	v_dual_lshrrev_b32 v14, 9, v14 :: v_dual_lshlrev_b32 v10, 31, v15
	v_clz_i32_u32_e32 v17, v11
	s_delay_alu instid0(VALU_DEP_2) | instskip(SKIP_1) | instid1(VALU_DEP_2)
	v_or_b32_e32 v15, 0.5, v10
	v_or_b32_e32 v10, 0x33000000, v10
	v_sub_nc_u32_e32 v15, v15, v16
	s_delay_alu instid0(VALU_DEP_4) | instskip(NEXT) | instid1(VALU_DEP_1)
	v_min_u32_e32 v16, 32, v17
	v_add_lshl_u32 v13, v16, v13, 23
	s_delay_alu instid0(VALU_DEP_1) | instskip(NEXT) | instid1(VALU_DEP_4)
	v_sub_nc_u32_e32 v10, v10, v13
	v_or_b32_e32 v14, v14, v15
	v_not_b32_e32 v15, v16
	s_delay_alu instid0(VALU_DEP_1) | instskip(NEXT) | instid1(VALU_DEP_1)
	v_alignbit_b32 v8, v11, v8, v15
	v_dual_mul_f32 v17, 0x3fc90fda, v14 :: v_dual_lshrrev_b32 v8, 9, v8
	s_delay_alu instid0(VALU_DEP_1) | instskip(NEXT) | instid1(VALU_DEP_2)
	v_or_b32_e32 v8, v10, v8
	v_fma_f32 v11, 0x3fc90fda, v14, -v17
	s_delay_alu instid0(VALU_DEP_1) | instskip(NEXT) | instid1(VALU_DEP_1)
	v_fmamk_f32 v11, v14, 0x33a22168, v11
	v_dual_fmac_f32 v11, 0x3fc90fda, v8 :: v_dual_lshrrev_b32 v8, 30, v7
	s_delay_alu instid0(VALU_DEP_1)
	v_dual_add_f32 v7, v17, v11 :: v_dual_add_nc_u32 v8, v12, v8
	s_or_saveexec_b32 s0, s11
	v_mul_f32_e64 v12, 0x3f22f983, |v1|
	s_xor_b32 exec_lo, exec_lo, s0
	s_branch .LBB17_45
.LBB17_44:
	s_or_saveexec_b32 s0, s11
	v_mul_f32_e64 v12, 0x3f22f983, |v1|
	s_xor_b32 exec_lo, exec_lo, s0
.LBB17_45:
	s_delay_alu instid0(VALU_DEP_1) | instskip(NEXT) | instid1(VALU_DEP_1)
	v_rndne_f32_e32 v8, v12
	v_fma_f32 v7, 0xbfc90fda, v8, |v1|
	s_delay_alu instid0(VALU_DEP_1) | instskip(NEXT) | instid1(VALU_DEP_1)
	v_fmamk_f32 v7, v8, 0xb3a22168, v7
	v_fmamk_f32 v7, v8, 0xa7c234c4, v7
	v_cvt_i32_f32_e32 v8, v8
; %bb.46:
	s_or_b32 exec_lo, exec_lo, s0
                                        ; implicit-def: $vgpr11
                                        ; implicit-def: $vgpr10
	s_and_saveexec_b32 s0, s2
	s_delay_alu instid0(SALU_CYCLE_1)
	s_xor_b32 s2, exec_lo, s0
	s_cbranch_execz .LBB17_48
; %bb.47:
	s_mov_b32 s0, 0x7fffff
	v_mov_b32_e32 v11, 0
	v_and_or_b32 v10, v6, s0, 0x800000
	s_mov_b64 s[0:1], 0xfe5163ab
	v_add_nc_u32_e32 v9, 0xffffff88, v9
	s_delay_alu instid0(VALU_DEP_2) | instskip(NEXT) | instid1(VALU_DEP_2)
	v_mul_u64_e32 v[12:13], s[0:1], v[10:11]
	v_cmp_lt_u32_e32 vcc_lo, 63, v9
	s_delay_alu instid0(VALU_DEP_2) | instskip(SKIP_2) | instid1(VALU_DEP_3)
	v_dual_mov_b32 v14, v13 :: v_dual_mov_b32 v15, v11
	v_dual_mov_b32 v17, v11 :: v_dual_mov_b32 v19, v11
	;; [unrolled: 1-line block ×3, first 2 shown]
	v_mad_nc_u64_u32 v[14:15], 0x3c439041, v10, v[14:15]
	v_cndmask_b32_e64 v13, 0, 0xffffffc0, vcc_lo
	s_delay_alu instid0(VALU_DEP_1) | instskip(NEXT) | instid1(VALU_DEP_3)
	v_dual_mov_b32 v25, v11 :: v_dual_add_nc_u32 v9, v13, v9
	v_mov_b32_e32 v16, v15
	s_delay_alu instid0(VALU_DEP_2) | instskip(NEXT) | instid1(VALU_DEP_2)
	v_cmp_lt_u32_e64 s0, 31, v9
	v_mad_nc_u64_u32 v[16:17], 0xdb629599, v10, v[16:17]
	s_delay_alu instid0(VALU_DEP_2) | instskip(NEXT) | instid1(VALU_DEP_1)
	v_cndmask_b32_e64 v13, 0, 0xffffffe0, s0
	v_add_nc_u32_e32 v9, v13, v9
	s_delay_alu instid0(VALU_DEP_3) | instskip(NEXT) | instid1(VALU_DEP_2)
	v_mov_b32_e32 v18, v17
	v_cmp_lt_u32_e64 s1, 31, v9
	v_cndmask_b32_e32 v12, v16, v12, vcc_lo
	s_delay_alu instid0(VALU_DEP_3) | instskip(NEXT) | instid1(VALU_DEP_3)
	v_mad_nc_u64_u32 v[18:19], 0xf534ddc0, v10, v[18:19]
	v_cndmask_b32_e64 v13, 0, 0xffffffe0, s1
	s_delay_alu instid0(VALU_DEP_1) | instskip(NEXT) | instid1(VALU_DEP_3)
	v_dual_add_nc_u32 v9, v13, v9 :: v_dual_cndmask_b32 v13, v18, v14, vcc_lo
	v_mov_b32_e32 v20, v19
	s_delay_alu instid0(VALU_DEP_1) | instskip(NEXT) | instid1(VALU_DEP_1)
	v_mad_nc_u64_u32 v[20:21], 0xfc2757d1, v10, v[20:21]
	v_dual_mov_b32 v22, v21 :: v_dual_cndmask_b32 v17, v20, v16
	s_delay_alu instid0(VALU_DEP_1) | instskip(NEXT) | instid1(VALU_DEP_1)
	v_mad_nc_u64_u32 v[22:23], 0x4e441529, v10, v[22:23]
	v_dual_mov_b32 v24, v23 :: v_dual_cndmask_b32 v15, v22, v18
	s_delay_alu instid0(VALU_DEP_1) | instskip(NEXT) | instid1(VALU_DEP_1)
	v_mad_nc_u64_u32 v[10:11], 0xa2f9836e, v10, v[24:25]
	v_dual_cndmask_b32 v10, v10, v20 :: v_dual_cndmask_b32 v11, v11, v22
	v_cmp_eq_u32_e32 vcc_lo, 0, v9
	s_delay_alu instid0(VALU_DEP_2) | instskip(SKIP_2) | instid1(VALU_DEP_3)
	v_dual_cndmask_b32 v14, v10, v15, s0 :: v_dual_cndmask_b32 v10, v11, v10, s0
	v_cndmask_b32_e64 v11, v15, v17, s0
	v_sub_nc_u32_e32 v15, 32, v9
	v_dual_cndmask_b32 v17, v17, v13, s0 :: v_dual_cndmask_b32 v10, v10, v14, s1
	s_delay_alu instid0(VALU_DEP_3) | instskip(NEXT) | instid1(VALU_DEP_1)
	v_cndmask_b32_e64 v14, v14, v11, s1
	v_alignbit_b32 v18, v10, v14, v15
	s_delay_alu instid0(VALU_DEP_1) | instskip(NEXT) | instid1(VALU_DEP_1)
	v_dual_cndmask_b32 v11, v11, v17, s1 :: v_dual_cndmask_b32 v9, v18, v10, vcc_lo
	v_alignbit_b32 v16, v14, v11, v15
	v_cndmask_b32_e64 v10, v13, v12, s0
	s_delay_alu instid0(VALU_DEP_3) | instskip(NEXT) | instid1(VALU_DEP_3)
	v_bfe_u32 v13, v9, 29, 1
	v_cndmask_b32_e32 v12, v16, v14, vcc_lo
	s_delay_alu instid0(VALU_DEP_2) | instskip(NEXT) | instid1(VALU_DEP_2)
	v_dual_cndmask_b32 v10, v17, v10, s1 :: v_dual_sub_nc_u32 v16, 0, v13
	v_alignbit_b32 v14, v9, v12, 30
	s_delay_alu instid0(VALU_DEP_2) | instskip(NEXT) | instid1(VALU_DEP_1)
	v_alignbit_b32 v15, v11, v10, v15
	v_dual_cndmask_b32 v11, v15, v11, vcc_lo :: v_dual_bitop2_b32 v14, v14, v16 bitop3:0x14
	s_delay_alu instid0(VALU_DEP_1) | instskip(NEXT) | instid1(VALU_DEP_2)
	v_clz_i32_u32_e32 v15, v14
	v_alignbit_b32 v12, v12, v11, 30
	v_alignbit_b32 v10, v11, v10, 30
	s_delay_alu instid0(VALU_DEP_3) | instskip(NEXT) | instid1(VALU_DEP_3)
	v_min_u32_e32 v15, 32, v15
	v_xor_b32_e32 v11, v12, v16
	s_delay_alu instid0(VALU_DEP_3) | instskip(NEXT) | instid1(VALU_DEP_3)
	v_dual_lshrrev_b32 v16, 29, v9 :: v_dual_bitop2_b32 v10, v10, v16 bitop3:0x14
	v_dual_lshrrev_b32 v9, 30, v9 :: v_dual_sub_nc_u32 v12, 31, v15
	v_lshlrev_b32_e32 v17, 23, v15
	s_delay_alu instid0(VALU_DEP_2) | instskip(NEXT) | instid1(VALU_DEP_4)
	v_alignbit_b32 v14, v14, v11, v12
	v_alignbit_b32 v10, v11, v10, v12
	v_lshlrev_b32_e32 v11, 31, v16
	s_delay_alu instid0(VALU_DEP_2) | instskip(NEXT) | instid1(VALU_DEP_2)
	v_alignbit_b32 v12, v14, v10, 9
	v_dual_lshrrev_b32 v14, 9, v14 :: v_dual_bitop2_b32 v16, 0.5, v11 bitop3:0x54
	v_or_b32_e32 v11, 0x33000000, v11
	s_delay_alu instid0(VALU_DEP_3) | instskip(NEXT) | instid1(VALU_DEP_3)
	v_clz_i32_u32_e32 v18, v12
	v_sub_nc_u32_e32 v16, v16, v17
	s_delay_alu instid0(VALU_DEP_2) | instskip(NEXT) | instid1(VALU_DEP_1)
	v_min_u32_e32 v17, 32, v18
	v_add_lshl_u32 v15, v17, v15, 23
	s_delay_alu instid0(VALU_DEP_1) | instskip(SKIP_1) | instid1(VALU_DEP_1)
	v_dual_sub_nc_u32 v11, v11, v15 :: v_dual_bitop2_b32 v14, v14, v16 bitop3:0x54
	v_not_b32_e32 v16, v17
	v_alignbit_b32 v10, v12, v10, v16
	s_delay_alu instid0(VALU_DEP_1) | instskip(NEXT) | instid1(VALU_DEP_4)
	v_lshrrev_b32_e32 v10, 9, v10
	v_mul_f32_e32 v18, 0x3fc90fda, v14
	s_delay_alu instid0(VALU_DEP_2) | instskip(NEXT) | instid1(VALU_DEP_2)
	v_or_b32_e32 v10, v11, v10
	v_fma_f32 v12, 0x3fc90fda, v14, -v18
	s_delay_alu instid0(VALU_DEP_1) | instskip(NEXT) | instid1(VALU_DEP_1)
	v_dual_fmamk_f32 v12, v14, 0x33a22168, v12 :: v_dual_add_nc_u32 v11, v13, v9
	v_fmac_f32_e32 v12, 0x3fc90fda, v10
	s_delay_alu instid0(VALU_DEP_1)
	v_add_f32_e32 v10, v18, v12
                                        ; implicit-def: $vgpr12
	s_and_not1_saveexec_b32 s0, s2
	s_cbranch_execnz .LBB17_49
	s_branch .LBB17_50
.LBB17_48:
	s_and_not1_saveexec_b32 s0, s2
.LBB17_49:
	v_rndne_f32_e32 v9, v12
	s_delay_alu instid0(VALU_DEP_1) | instskip(SKIP_1) | instid1(VALU_DEP_2)
	v_fma_f32 v10, 0xbfc90fda, v9, |v1|
	v_cvt_i32_f32_e32 v11, v9
	v_fmamk_f32 v10, v9, 0xb3a22168, v10
	s_delay_alu instid0(VALU_DEP_1)
	v_fmamk_f32 v10, v9, 0xa7c234c4, v10
.LBB17_50:
	s_or_b32 exec_lo, exec_lo, s0
	v_div_scale_f32 v9, null, v2, v2, 0x40a00000
	v_div_scale_f32 v14, vcc_lo, 0x40a00000, v2, 0x40a00000
	s_mov_b32 s0, 0xb94c1982
	v_rcp_f32_e32 v12, v9
	v_mul_f32_e32 v21, 0x4f800000, v2
	s_mov_b32 s1, 0x37d75334
	v_xor_b32_e32 v6, v6, v1
	v_and_b32_e32 v16, 1, v11
	s_delay_alu instid0(TRANS32_DEP_1) | instskip(NEXT) | instid1(VALU_DEP_1)
	v_fma_f32 v13, -v9, v12, 1.0
	v_fmac_f32_e32 v12, v13, v12
	s_delay_alu instid0(VALU_DEP_1) | instskip(NEXT) | instid1(VALU_DEP_1)
	v_mul_f32_e32 v13, v14, v12
	v_fma_f32 v15, -v9, v13, v14
	s_delay_alu instid0(VALU_DEP_1) | instskip(NEXT) | instid1(VALU_DEP_1)
	v_dual_fmac_f32 v13, v15, v12 :: v_dual_mul_f32 v15, v10, v10
	v_fma_f32 v9, -v9, v13, v14
	s_delay_alu instid0(VALU_DEP_2) | instskip(NEXT) | instid1(VALU_DEP_2)
	v_fmaak_f32 v24, s0, v15, 0x3c0881c4
	v_div_fmas_f32 v9, v9, v12, v13
	v_mul_f32_e32 v12, v7, v7
	s_delay_alu instid0(VALU_DEP_3) | instskip(SKIP_1) | instid1(VALU_DEP_4)
	v_fmaak_f32 v24, v15, v24, 0xbe2aaa9d
	v_dual_lshlrev_b32 v8, 30, v8 :: v_dual_bitop2_b32 v13, 1, v8 bitop3:0x40
	v_div_fixup_f32 v9, v9, v2, 0x40a00000
	s_delay_alu instid0(VALU_DEP_4) | instskip(SKIP_1) | instid1(VALU_DEP_4)
	v_fmaak_f32 v22, s0, v12, 0x3c0881c4
	v_cmp_gt_f32_e64 s0, 0xf800000, v2
	v_cmp_eq_u32_e64 s2, 0, v13
	v_and_b32_e32 v8, 0x80000000, v8
	v_dual_mul_f32 v14, v9, v9 :: v_dual_lshlrev_b32 v11, 30, v11
	s_delay_alu instid0(VALU_DEP_4) | instskip(SKIP_1) | instid1(VALU_DEP_3)
	v_cndmask_b32_e64 v2, v2, v21, s0
	v_fmaak_f32 v22, v12, v22, 0xbe2aaa9d
	v_dual_mul_f32 v24, v15, v24 :: v_dual_fmaak_f32 v17, 0, v14, 0x3d513fd3
	v_fmaak_f32 v18, 0, v14, 0x3a15c4d9
	v_fmaak_f32 v20, 0, v14, 0x3a47c962
	v_sqrt_f32_e32 v28, v2
	v_fmaak_f32 v19, 0, v14, 0x42947983
	v_dual_fmaak_f32 v17, v14, v17, 0x409f6dae :: v_dual_mul_f32 v22, v12, v22
	v_fmaak_f32 v18, v14, v18, 0x3d8cfeeb
	v_fmaak_f32 v20, v14, v20, 0x3d95ca45
	s_delay_alu instid0(VALU_DEP_4)
	v_fmaak_f32 v19, v14, v19, 0x44840e5d
	s_delay_alu instid0(TRANS32_DEP_1) | instid1(VALU_DEP_4)
	v_dual_add_nc_u32 v33, 1, v28 :: v_dual_fmac_f32 v7, v7, v22
	s_delay_alu instid0(VALU_DEP_4) | instskip(NEXT) | instid1(VALU_DEP_4)
	v_fmaak_f32 v18, v14, v18, 0x3f8d754e
	v_fmaak_f32 v20, v14, v20, 0x3f9047f6
	s_delay_alu instid0(VALU_DEP_4) | instskip(SKIP_1) | instid1(VALU_DEP_4)
	v_fmaak_f32 v19, v14, v19, 0x459bd349
	v_dual_fmaak_f32 v25, s1, v15, 0xbab64f3b :: v_dual_fmac_f32 v10, v10, v24
	v_fmaak_f32 v18, v14, v18, 0x40a25d18
	s_delay_alu instid0(VALU_DEP_4) | instskip(NEXT) | instid1(VALU_DEP_4)
	v_fmaak_f32 v20, v14, v20, 0x40a39628
	v_fmaak_f32 v19, v14, v19, 0x46156947
	s_delay_alu instid0(VALU_DEP_4) | instskip(NEXT) | instid1(VALU_DEP_4)
	v_fmaak_f32 v25, v15, v25, 0x3d2aabf7
	v_fmaak_f32 v18, v14, v18, 0x410665cf
	s_delay_alu instid0(VALU_DEP_4) | instskip(NEXT) | instid1(VALU_DEP_4)
	v_fmaak_f32 v20, v14, v20, 0x4106c8e4
	v_fmaak_f32 v19, v14, v19, 0x45f9e855
	s_delay_alu instid0(VALU_DEP_4) | instskip(NEXT) | instid1(VALU_DEP_4)
	v_fmaak_f32 v25, v15, v25, 0xbf000004
	v_fmaak_f32 v18, v14, v18, 0x40a6b6ea
	s_delay_alu instid0(VALU_DEP_4) | instskip(NEXT) | instid1(VALU_DEP_4)
	v_fmaak_f32 v20, v14, v20, 0x40a6dd51
	v_fmaak_f32 v19, v14, v19, 0x4530a316
	s_delay_alu instid0(VALU_DEP_4) | instskip(NEXT) | instid1(VALU_DEP_4)
	v_fma_f32 v15, v15, v25, 1.0
	v_fma_f32 v18, v14, v18, 1.0
	s_delay_alu instid0(VALU_DEP_4) | instskip(NEXT) | instid1(VALU_DEP_4)
	v_fma_f32 v20, v14, v20, 1.0
	v_fmaak_f32 v19, v14, v19, 0x43a80bfb
	s_delay_alu instid0(VALU_DEP_2) | instskip(SKIP_1) | instid1(VALU_DEP_1)
	v_div_scale_f32 v31, vcc_lo, v20, v18, v20
	v_fmaak_f32 v17, v14, v17, 0x4297a5cd
	v_fmaak_f32 v17, v14, v17, 0x43b763ca
	s_delay_alu instid0(VALU_DEP_1) | instskip(NEXT) | instid1(VALU_DEP_1)
	v_fmaak_f32 v17, v14, v17, 0x4431b6ce
	v_fmaak_f32 v17, v14, v17, 0x44155f56
	s_delay_alu instid0(VALU_DEP_1) | instskip(NEXT) | instid1(VALU_DEP_1)
	v_fmaak_f32 v17, v14, v17, 0x4353b052
	v_fmaak_f32 v14, v14, v17, 0x41c9a7fa
	v_div_scale_f32 v17, null, v18, v18, v20
	s_delay_alu instid0(VALU_DEP_2) | instskip(NEXT) | instid1(VALU_DEP_2)
	v_div_scale_f32 v21, null, v19, v19, v14
	v_rcp_f32_e32 v26, v17
	s_delay_alu instid0(VALU_DEP_1) | instskip(NEXT) | instid1(TRANS32_DEP_2)
	v_rcp_f32_e32 v27, v21
	v_fma_f32 v29, -v17, v26, 1.0
	s_delay_alu instid0(TRANS32_DEP_1) | instskip(NEXT) | instid1(VALU_DEP_1)
	v_fma_f32 v30, -v21, v27, 1.0
	v_dual_fmac_f32 v26, v29, v26 :: v_dual_fmac_f32 v27, v30, v27
	s_delay_alu instid0(VALU_DEP_1) | instskip(NEXT) | instid1(VALU_DEP_1)
	v_dual_add_nc_u32 v30, -1, v28 :: v_dual_mul_f32 v32, v31, v26
	v_fma_f32 v22, -v17, v32, v31
	v_fmaak_f32 v23, s1, v12, 0xbab64f3b
	v_div_scale_f32 v29, s1, v14, v19, v14
	s_delay_alu instid0(VALU_DEP_4) | instskip(NEXT) | instid1(VALU_DEP_3)
	v_fma_f32 v24, -v30, v28, v2
	v_dual_fmac_f32 v32, v22, v26 :: v_dual_fmaak_f32 v23, v12, v23, 0x3d2aabf7
	s_delay_alu instid0(VALU_DEP_3) | instskip(NEXT) | instid1(VALU_DEP_2)
	v_mul_f32_e32 v34, v29, v27
	v_fmaak_f32 v23, v12, v23, 0xbf000004
	s_delay_alu instid0(VALU_DEP_1) | instskip(NEXT) | instid1(VALU_DEP_3)
	v_fma_f32 v12, v12, v23, 1.0
	v_fma_f32 v23, -v21, v34, v29
	s_delay_alu instid0(VALU_DEP_2) | instskip(NEXT) | instid1(VALU_DEP_2)
	v_dual_fma_f32 v22, -v33, v28, v2 :: v_dual_cndmask_b32 v7, v12, v7, s2
	v_fmac_f32_e32 v34, v23, v27
	v_cmp_eq_u32_e64 s2, 0, v16
	v_fma_f32 v12, -v17, v32, v31
	s_delay_alu instid0(VALU_DEP_4) | instskip(NEXT) | instid1(VALU_DEP_3)
	v_xor3_b32 v6, v6, v8, v7
	v_cndmask_b32_e64 v10, -v10, v15, s2
	s_delay_alu instid0(VALU_DEP_3) | instskip(SKIP_3) | instid1(VALU_DEP_1)
	v_div_fmas_f32 v12, v12, v26, v32
	s_mov_b32 vcc_lo, s1
	v_cmp_lt_f32_e64 s1, 0, v22
	v_fma_f32 v13, -v21, v34, v29
	v_div_fmas_f32 v13, v13, v27, v34
	v_cmp_ge_f32_e32 vcc_lo, 0, v24
	s_delay_alu instid0(VALU_DEP_2) | instskip(SKIP_4) | instid1(VALU_DEP_4)
	v_div_fixup_f32 v7, v13, v19, v14
	v_cndmask_b32_e32 v15, v28, v30, vcc_lo
	v_cmp_class_f32_e64 vcc_lo, v1, 0x1f8
	v_bitop3_b32 v1, v11, v10, 0x80000000 bitop3:0x6c
	v_div_fixup_f32 v10, v12, v18, v20
	v_dual_mul_f32 v7, v9, v7 :: v_dual_cndmask_b32 v8, v15, v33, s1
	v_cndmask_b32_e32 v6, 0x7fc00000, v6, vcc_lo
	s_delay_alu instid0(VALU_DEP_4) | instskip(SKIP_1) | instid1(VALU_DEP_4)
	v_cndmask_b32_e32 v1, 0x7fc00000, v1, vcc_lo
	v_cmp_class_f32_e64 vcc_lo, v2, 0x260
	v_mul_f32_e32 v9, 0x37800000, v8
	s_delay_alu instid0(VALU_DEP_3) | instskip(NEXT) | instid1(VALU_DEP_1)
	v_mul_f32_e32 v1, v7, v1
	v_dual_cndmask_b32 v7, v8, v9, s0 :: v_dual_fmac_f32 v1, v10, v6
	s_delay_alu instid0(VALU_DEP_1) | instskip(NEXT) | instid1(VALU_DEP_1)
	v_dual_cndmask_b32 v2, v7, v2 :: v_dual_mul_f32 v1, 0x3f4c422a, v1
	v_div_scale_f32 v6, null, v2, v2, v1
	s_delay_alu instid0(VALU_DEP_1) | instskip(SKIP_1) | instid1(TRANS32_DEP_1)
	v_rcp_f32_e32 v7, v6
	v_nop
	v_fma_f32 v8, -v6, v7, 1.0
	s_delay_alu instid0(VALU_DEP_1) | instskip(SKIP_1) | instid1(VALU_DEP_1)
	v_fmac_f32_e32 v7, v8, v7
	v_div_scale_f32 v8, vcc_lo, v1, v2, v1
	v_mul_f32_e32 v9, v8, v7
	s_delay_alu instid0(VALU_DEP_1) | instskip(NEXT) | instid1(VALU_DEP_1)
	v_fma_f32 v10, -v6, v9, v8
	v_fmac_f32_e32 v9, v10, v7
	s_delay_alu instid0(VALU_DEP_1) | instskip(NEXT) | instid1(VALU_DEP_1)
	v_fma_f32 v6, -v6, v9, v8
	v_div_fmas_f32 v6, v6, v7, v9
	s_delay_alu instid0(VALU_DEP_1)
	v_div_fixup_f32 v6, v6, v2, v1
.LBB17_51:
	s_or_b32 exec_lo, exec_lo, s10
	s_delay_alu instid0(SALU_CYCLE_1)
	s_mov_b32 s0, exec_lo
	v_cmpx_ge_f32_e32 0x40a00000, v3
	s_xor_b32 s10, exec_lo, s0
	s_cbranch_execz .LBB17_57
; %bb.52:
	v_mov_b32_e32 v7, 0xff800000
	s_mov_b32 s11, exec_lo
	v_cmpx_neq_f32_e32 0, v3
	s_cbranch_execz .LBB17_56
; %bb.53:
	v_mov_b32_e32 v7, 0x7fc00000
	s_mov_b32 s12, exec_lo
	v_cmpx_nge_f32_e32 0, v3
	s_cbranch_execz .LBB17_55
; %bb.54:
	v_mul_f32_e32 v2, v3, v3
	v_mov_b64_e32 v[8:9], 0x4c8c277d4e9695f3
	v_mov_b64_e32 v[12:13], 0x508bc61dd316b96b
	;; [unrolled: 1-line block ×3, first 2 shown]
	v_div_scale_f32 v24, s2, -1.0, v3, -1.0
	v_dual_fmaak_f32 v1, 0, v2, 0x4414934d :: v_dual_mul_f32 v10, 0, v2
	v_fmaak_f32 v7, 0, v2, 0x441b3589
	v_mov_b64_e32 v[16:17], 0x548a37dcce5691e2
	v_mov_b64_e32 v[18:19], 0x5832585252d295d0
	s_delay_alu instid0(VALU_DEP_4) | instskip(SKIP_2) | instid1(VALU_DEP_3)
	v_fmaak_f32 v1, v2, v1, 0x48660b06
	v_cmp_gt_f32_e64 s0, 0x800000, v3
	v_fmaak_f32 v7, v2, v7, 0x487af6d0
	v_mul_f32_e32 v11, v2, v1
	s_delay_alu instid0(VALU_DEP_2) | instskip(NEXT) | instid1(VALU_DEP_2)
	v_fmaak_f32 v1, v2, v7, 0x4c9f4aa7
	v_pk_add_f32 v[8:9], v[10:11], v[8:9]
	s_delay_alu instid0(VALU_DEP_2) | instskip(NEXT) | instid1(VALU_DEP_2)
	v_fmaak_f32 v1, v2, v1, 0x50a509fc
	v_pk_fma_f32 v[8:9], v[2:3], v[8:9], v[12:13] op_sel_hi:[0,1,1]
	v_mov_b64_e32 v[12:13], 0x580d1937d9e700d2
	s_delay_alu instid0(VALU_DEP_3) | instskip(NEXT) | instid1(VALU_DEP_3)
	v_mul_f32_e32 v11, v2, v1
	v_pk_fma_f32 v[8:9], v[2:3], v[8:9], v[14:15] op_sel_hi:[0,1,1]
	v_mov_b64_e32 v[14:15], 0x5b741f1e5c33cd68
	s_delay_alu instid0(VALU_DEP_3) | instskip(SKIP_1) | instid1(VALU_DEP_4)
	v_pk_add_f32 v[10:11], v[10:11], v[16:17]
	v_mov_b64_e32 v[16:17], 0x5b9f0600d6845497
	v_pk_fma_f32 v[8:9], v[2:3], v[8:9], v[12:13] op_sel_hi:[0,1,1]
	v_mov_b64_e32 v[12:13], 0x5e5c878ddd2cf20b
	s_delay_alu instid0(VALU_DEP_4) | instskip(SKIP_1) | instid1(VALU_DEP_4)
	v_pk_fma_f32 v[10:11], v[2:3], v[10:11], v[18:19] op_sel_hi:[0,1,1]
	v_mov_b64_e32 v[18:19], 0x5e93bcac59515a15
	v_pk_fma_f32 v[8:9], v[2:3], v[8:9], v[14:15] op_sel_hi:[0,1,1]
	v_div_scale_f32 v15, null, v3, v3, -1.0
	s_delay_alu instid0(VALU_DEP_4) | instskip(NEXT) | instid1(VALU_DEP_3)
	v_pk_fma_f32 v[10:11], v[2:3], v[10:11], v[16:17] op_sel_hi:[0,1,1]
	v_pk_fma_f32 v[8:9], v[2:3], v[8:9], v[12:13] op_sel_hi:[0,1,1]
	v_cndmask_b32_e64 v12, 0, 32, s0
	s_delay_alu instid0(VALU_DEP_2) | instskip(NEXT) | instid1(VALU_DEP_2)
	v_div_scale_f32 v1, null, v9, v9, v8
	v_ldexp_f32 v12, v3, v12
	s_delay_alu instid0(VALU_DEP_2) | instskip(NEXT) | instid1(VALU_DEP_1)
	v_rcp_f32_e32 v13, v1
	v_log_f32_e32 v21, v12
	s_delay_alu instid0(TRANS32_DEP_2) | instskip(NEXT) | instid1(VALU_DEP_1)
	v_fma_f32 v16, -v1, v13, 1.0
	v_fmac_f32_e32 v13, v16, v13
	v_pk_fma_f32 v[10:11], v[2:3], v[10:11], v[18:19] op_sel_hi:[0,1,1]
	v_div_scale_f32 v18, vcc_lo, v8, v9, v8
	v_rcp_f32_e32 v16, v15
	s_delay_alu instid0(VALU_DEP_2) | instskip(SKIP_1) | instid1(VALU_DEP_2)
	v_div_scale_f32 v7, null, v11, v11, v10
	v_div_scale_f32 v19, s1, v10, v11, v10
	v_rcp_f32_e32 v14, v7
	s_delay_alu instid0(TRANS32_DEP_2) | instskip(NEXT) | instid1(VALU_DEP_1)
	v_fma_f32 v12, -v15, v16, 1.0
	v_fmac_f32_e32 v16, v12, v16
	s_delay_alu instid0(TRANS32_DEP_1) | instskip(NEXT) | instid1(VALU_DEP_1)
	v_fma_f32 v17, -v7, v14, 1.0
	v_dual_fmac_f32 v14, v17, v14 :: v_dual_mul_f32 v17, v18, v13
	s_delay_alu instid0(VALU_DEP_1) | instskip(NEXT) | instid1(VALU_DEP_1)
	v_dual_mul_f32 v20, v19, v14 :: v_dual_fma_f32 v22, -v1, v17, v18
	v_dual_fma_f32 v23, -v7, v20, v19 :: v_dual_fmac_f32 v17, v22, v13
	s_delay_alu instid0(VALU_DEP_1) | instskip(SKIP_1) | instid1(VALU_DEP_2)
	v_dual_fmac_f32 v20, v23, v14 :: v_dual_fma_f32 v1, -v1, v17, v18
	v_mul_f32_e32 v18, v24, v16
	v_fma_f32 v7, -v7, v20, v19
	s_delay_alu instid0(VALU_DEP_3) | instskip(SKIP_2) | instid1(VALU_DEP_3)
	v_div_fmas_f32 v1, v1, v13, v17
	s_mov_b32 vcc_lo, s1
	v_mov_b64_e32 v[12:13], 0xc16ae95ac244dfb3
	v_div_fmas_f32 v7, v7, v14, v20
	v_fma_f32 v14, -v15, v18, v24
	v_mul_f32_e32 v25, 0x3f317217, v21
	v_cmp_gt_f32_e64 vcc_lo, 0x7f800000, |v21|
	v_div_fixup_f32 v1, v1, v9, v8
	v_div_fixup_f32 v7, v7, v11, v10
	v_fmac_f32_e32 v18, v14, v16
	v_fma_f32 v22, 0x3f317217, v21, -v25
	v_pk_add_f32 v[10:11], v[2:3], v[12:13] op_sel_hi:[0,1]
	s_delay_alu instid0(VALU_DEP_4) | instskip(SKIP_1) | instid1(VALU_DEP_2)
	v_mul_f32_e32 v2, v3, v7
	v_cndmask_b32_e64 v7, 0, 0x41b17218, s0
	v_dual_fmamk_f32 v17, v21, 0x3377d1cf, v22 :: v_dual_mul_f32 v2, v11, v2
	s_delay_alu instid0(VALU_DEP_1) | instskip(NEXT) | instid1(VALU_DEP_1)
	v_dual_fmac_f32 v17, 0x3f317217, v21 :: v_dual_mul_f32 v2, v10, v2
	v_dual_fma_f32 v12, -v15, v18, v24 :: v_dual_cndmask_b32 v13, v21, v17, vcc_lo
	s_mov_b32 vcc_lo, s2
	s_delay_alu instid0(VALU_DEP_1) | instskip(NEXT) | instid1(VALU_DEP_2)
	v_div_fmas_f32 v11, v12, v16, v18
	v_sub_f32_e32 v7, v13, v7
	s_delay_alu instid0(VALU_DEP_2) | instskip(NEXT) | instid1(VALU_DEP_1)
	v_div_fixup_f32 v10, v11, v3, -1.0
	v_fmac_f32_e32 v10, v7, v2
	s_delay_alu instid0(VALU_DEP_1) | instskip(NEXT) | instid1(VALU_DEP_1)
	v_mul_f32_e32 v7, 0x3f22f983, v10
	v_fmac_f32_e32 v7, v3, v1
.LBB17_55:
	s_or_b32 exec_lo, exec_lo, s12
.LBB17_56:
	s_delay_alu instid0(SALU_CYCLE_1)
	s_or_b32 exec_lo, exec_lo, s11
                                        ; implicit-def: $vgpr2_vgpr3
.LBB17_57:
	s_and_not1_saveexec_b32 s10, s10
	s_cbranch_execz .LBB17_67
; %bb.58:
	v_add_f32_e32 v1, 0xc016cbe4, v3
                                        ; implicit-def: $vgpr8
                                        ; implicit-def: $vgpr7
	s_delay_alu instid0(VALU_DEP_1) | instskip(SKIP_1) | instid1(VALU_DEP_2)
	v_and_b32_e32 v2, 0x7fffffff, v1
	v_cmp_ngt_f32_e64 s2, 0x48000000, |v1|
	v_lshrrev_b32_e32 v9, 23, v2
	s_and_saveexec_b32 s0, s2
	s_delay_alu instid0(SALU_CYCLE_1)
	s_xor_b32 s11, exec_lo, s0
	s_cbranch_execz .LBB17_60
; %bb.59:
	s_mov_b32 s0, 0x7fffff
	v_mov_b32_e32 v11, 0
	v_and_or_b32 v10, v2, s0, 0x800000
	s_mov_b64 s[0:1], 0xfe5163ab
	v_add_nc_u32_e32 v7, 0xffffff88, v9
	s_delay_alu instid0(VALU_DEP_2) | instskip(NEXT) | instid1(VALU_DEP_2)
	v_mul_u64_e32 v[12:13], s[0:1], v[10:11]
	v_cmp_lt_u32_e32 vcc_lo, 63, v7
	v_cndmask_b32_e64 v8, 0, 0xffffffc0, vcc_lo
	s_delay_alu instid0(VALU_DEP_3) | instskip(SKIP_2) | instid1(VALU_DEP_3)
	v_dual_mov_b32 v14, v13 :: v_dual_mov_b32 v15, v11
	v_dual_mov_b32 v17, v11 :: v_dual_mov_b32 v19, v11
	v_dual_mov_b32 v21, v11 :: v_dual_mov_b32 v23, v11
	v_mad_nc_u64_u32 v[14:15], 0x3c439041, v10, v[14:15]
	v_dual_add_nc_u32 v7, v8, v7 :: v_dual_mov_b32 v25, v11
	s_delay_alu instid0(VALU_DEP_1) | instskip(NEXT) | instid1(VALU_DEP_3)
	v_cmp_lt_u32_e64 s0, 31, v7
	v_mov_b32_e32 v16, v15
	s_delay_alu instid0(VALU_DEP_2) | instskip(NEXT) | instid1(VALU_DEP_2)
	v_cndmask_b32_e64 v8, 0, 0xffffffe0, s0
	v_mad_nc_u64_u32 v[16:17], 0xdb629599, v10, v[16:17]
	s_delay_alu instid0(VALU_DEP_2) | instskip(NEXT) | instid1(VALU_DEP_1)
	v_add_nc_u32_e32 v7, v8, v7
	v_cmp_lt_u32_e64 s1, 31, v7
	s_delay_alu instid0(VALU_DEP_3) | instskip(NEXT) | instid1(VALU_DEP_2)
	v_mov_b32_e32 v18, v17
	v_cndmask_b32_e64 v8, 0, 0xffffffe0, s1
	v_cndmask_b32_e32 v12, v16, v12, vcc_lo
	s_delay_alu instid0(VALU_DEP_3) | instskip(NEXT) | instid1(VALU_DEP_1)
	v_mad_nc_u64_u32 v[18:19], 0xf534ddc0, v10, v[18:19]
	v_dual_cndmask_b32 v8, v18, v14 :: v_dual_add_nc_u32 v7, v8, v7
	s_delay_alu instid0(VALU_DEP_2) | instskip(NEXT) | instid1(VALU_DEP_1)
	v_mov_b32_e32 v20, v19
	v_mad_nc_u64_u32 v[20:21], 0xfc2757d1, v10, v[20:21]
	s_delay_alu instid0(VALU_DEP_1) | instskip(NEXT) | instid1(VALU_DEP_1)
	v_dual_mov_b32 v22, v21 :: v_dual_cndmask_b32 v15, v20, v16
	v_mad_nc_u64_u32 v[22:23], 0x4e441529, v10, v[22:23]
	s_delay_alu instid0(VALU_DEP_1) | instskip(NEXT) | instid1(VALU_DEP_1)
	v_dual_mov_b32 v24, v23 :: v_dual_cndmask_b32 v13, v22, v18
	v_mad_nc_u64_u32 v[10:11], 0xa2f9836e, v10, v[24:25]
	s_delay_alu instid0(VALU_DEP_1) | instskip(SKIP_1) | instid1(VALU_DEP_2)
	v_dual_cndmask_b32 v10, v10, v20 :: v_dual_cndmask_b32 v11, v11, v22
	v_cmp_eq_u32_e32 vcc_lo, 0, v7
	v_dual_cndmask_b32 v14, v10, v13, s0 :: v_dual_cndmask_b32 v10, v11, v10, s0
	v_dual_cndmask_b32 v11, v13, v15, s0 :: v_dual_cndmask_b32 v15, v15, v8, s0
	v_dual_sub_nc_u32 v13, 32, v7 :: v_dual_cndmask_b32 v8, v8, v12, s0
	s_delay_alu instid0(VALU_DEP_3) | instskip(NEXT) | instid1(VALU_DEP_2)
	v_cndmask_b32_e64 v10, v10, v14, s1
	v_dual_cndmask_b32 v14, v14, v11, s1 :: v_dual_cndmask_b32 v8, v15, v8, s1
	s_delay_alu instid0(VALU_DEP_1) | instskip(NEXT) | instid1(VALU_DEP_1)
	v_alignbit_b32 v17, v10, v14, v13
	v_dual_cndmask_b32 v11, v11, v15, s1 :: v_dual_cndmask_b32 v7, v17, v10, vcc_lo
	s_delay_alu instid0(VALU_DEP_1) | instskip(NEXT) | instid1(VALU_DEP_4)
	v_alignbit_b32 v16, v14, v11, v13
	v_alignbit_b32 v13, v11, v8, v13
	s_delay_alu instid0(VALU_DEP_3) | instskip(NEXT) | instid1(VALU_DEP_2)
	v_bfe_u32 v12, v7, 29, 1
	v_dual_cndmask_b32 v10, v16, v14 :: v_dual_cndmask_b32 v11, v13, v11
	s_delay_alu instid0(VALU_DEP_2) | instskip(NEXT) | instid1(VALU_DEP_2)
	v_sub_nc_u32_e32 v15, 0, v12
	v_alignbit_b32 v14, v7, v10, 30
	s_delay_alu instid0(VALU_DEP_3) | instskip(SKIP_1) | instid1(VALU_DEP_3)
	v_alignbit_b32 v10, v10, v11, 30
	v_alignbit_b32 v8, v11, v8, 30
	v_xor_b32_e32 v14, v14, v15
	s_delay_alu instid0(VALU_DEP_2) | instskip(NEXT) | instid1(VALU_DEP_2)
	v_xor_b32_e32 v8, v8, v15
	v_clz_i32_u32_e32 v13, v14
	s_delay_alu instid0(VALU_DEP_1) | instskip(NEXT) | instid1(VALU_DEP_1)
	v_min_u32_e32 v13, 32, v13
	v_dual_lshlrev_b32 v16, 23, v13 :: v_dual_bitop2_b32 v10, v10, v15 bitop3:0x14
	v_sub_nc_u32_e32 v11, 31, v13
	s_delay_alu instid0(VALU_DEP_1) | instskip(SKIP_2) | instid1(VALU_DEP_1)
	v_alignbit_b32 v14, v14, v10, v11
	v_lshrrev_b32_e32 v15, 29, v7
	v_alignbit_b32 v8, v10, v8, v11
	v_alignbit_b32 v11, v14, v8, 9
	s_delay_alu instid0(VALU_DEP_3) | instskip(NEXT) | instid1(VALU_DEP_2)
	v_dual_lshrrev_b32 v14, 9, v14 :: v_dual_lshlrev_b32 v10, 31, v15
	v_clz_i32_u32_e32 v17, v11
	s_delay_alu instid0(VALU_DEP_2) | instskip(SKIP_1) | instid1(VALU_DEP_2)
	v_or_b32_e32 v15, 0.5, v10
	v_or_b32_e32 v10, 0x33000000, v10
	v_sub_nc_u32_e32 v15, v15, v16
	s_delay_alu instid0(VALU_DEP_4) | instskip(NEXT) | instid1(VALU_DEP_1)
	v_min_u32_e32 v16, 32, v17
	v_add_lshl_u32 v13, v16, v13, 23
	s_delay_alu instid0(VALU_DEP_1) | instskip(NEXT) | instid1(VALU_DEP_4)
	v_sub_nc_u32_e32 v10, v10, v13
	v_or_b32_e32 v14, v14, v15
	v_not_b32_e32 v15, v16
	s_delay_alu instid0(VALU_DEP_1) | instskip(NEXT) | instid1(VALU_DEP_1)
	v_alignbit_b32 v8, v11, v8, v15
	v_dual_mul_f32 v17, 0x3fc90fda, v14 :: v_dual_lshrrev_b32 v8, 9, v8
	s_delay_alu instid0(VALU_DEP_1) | instskip(NEXT) | instid1(VALU_DEP_2)
	v_or_b32_e32 v8, v10, v8
	v_fma_f32 v11, 0x3fc90fda, v14, -v17
	s_delay_alu instid0(VALU_DEP_1) | instskip(NEXT) | instid1(VALU_DEP_1)
	v_fmamk_f32 v11, v14, 0x33a22168, v11
	v_dual_fmac_f32 v11, 0x3fc90fda, v8 :: v_dual_lshrrev_b32 v8, 30, v7
	s_delay_alu instid0(VALU_DEP_1)
	v_dual_add_f32 v7, v17, v11 :: v_dual_add_nc_u32 v8, v12, v8
	s_or_saveexec_b32 s0, s11
	v_mul_f32_e64 v12, 0x3f22f983, |v1|
	s_xor_b32 exec_lo, exec_lo, s0
	s_branch .LBB17_61
.LBB17_60:
	s_or_saveexec_b32 s0, s11
	v_mul_f32_e64 v12, 0x3f22f983, |v1|
	s_xor_b32 exec_lo, exec_lo, s0
.LBB17_61:
	s_delay_alu instid0(VALU_DEP_1) | instskip(NEXT) | instid1(VALU_DEP_1)
	v_rndne_f32_e32 v8, v12
	v_fma_f32 v7, 0xbfc90fda, v8, |v1|
	s_delay_alu instid0(VALU_DEP_1) | instskip(NEXT) | instid1(VALU_DEP_1)
	v_fmamk_f32 v7, v8, 0xb3a22168, v7
	v_fmamk_f32 v7, v8, 0xa7c234c4, v7
	v_cvt_i32_f32_e32 v8, v8
; %bb.62:
	s_or_b32 exec_lo, exec_lo, s0
                                        ; implicit-def: $vgpr11
                                        ; implicit-def: $vgpr10
	s_and_saveexec_b32 s0, s2
	s_delay_alu instid0(SALU_CYCLE_1)
	s_xor_b32 s2, exec_lo, s0
	s_cbranch_execz .LBB17_64
; %bb.63:
	s_mov_b32 s0, 0x7fffff
	v_mov_b32_e32 v11, 0
	v_and_or_b32 v10, v2, s0, 0x800000
	s_mov_b64 s[0:1], 0xfe5163ab
	v_add_nc_u32_e32 v9, 0xffffff88, v9
	s_delay_alu instid0(VALU_DEP_2) | instskip(NEXT) | instid1(VALU_DEP_2)
	v_mul_u64_e32 v[12:13], s[0:1], v[10:11]
	v_cmp_lt_u32_e32 vcc_lo, 63, v9
	s_delay_alu instid0(VALU_DEP_2) | instskip(SKIP_2) | instid1(VALU_DEP_3)
	v_dual_mov_b32 v14, v13 :: v_dual_mov_b32 v15, v11
	v_dual_mov_b32 v17, v11 :: v_dual_mov_b32 v19, v11
	;; [unrolled: 1-line block ×3, first 2 shown]
	v_mad_nc_u64_u32 v[14:15], 0x3c439041, v10, v[14:15]
	v_cndmask_b32_e64 v13, 0, 0xffffffc0, vcc_lo
	s_delay_alu instid0(VALU_DEP_1) | instskip(NEXT) | instid1(VALU_DEP_3)
	v_dual_mov_b32 v25, v11 :: v_dual_add_nc_u32 v9, v13, v9
	v_mov_b32_e32 v16, v15
	s_delay_alu instid0(VALU_DEP_2) | instskip(NEXT) | instid1(VALU_DEP_2)
	v_cmp_lt_u32_e64 s0, 31, v9
	v_mad_nc_u64_u32 v[16:17], 0xdb629599, v10, v[16:17]
	s_delay_alu instid0(VALU_DEP_2) | instskip(NEXT) | instid1(VALU_DEP_1)
	v_cndmask_b32_e64 v13, 0, 0xffffffe0, s0
	v_add_nc_u32_e32 v9, v13, v9
	s_delay_alu instid0(VALU_DEP_3) | instskip(NEXT) | instid1(VALU_DEP_2)
	v_mov_b32_e32 v18, v17
	v_cmp_lt_u32_e64 s1, 31, v9
	v_cndmask_b32_e32 v12, v16, v12, vcc_lo
	s_delay_alu instid0(VALU_DEP_3) | instskip(NEXT) | instid1(VALU_DEP_3)
	v_mad_nc_u64_u32 v[18:19], 0xf534ddc0, v10, v[18:19]
	v_cndmask_b32_e64 v13, 0, 0xffffffe0, s1
	s_delay_alu instid0(VALU_DEP_1) | instskip(NEXT) | instid1(VALU_DEP_3)
	v_dual_add_nc_u32 v9, v13, v9 :: v_dual_cndmask_b32 v13, v18, v14, vcc_lo
	v_mov_b32_e32 v20, v19
	s_delay_alu instid0(VALU_DEP_1) | instskip(NEXT) | instid1(VALU_DEP_1)
	v_mad_nc_u64_u32 v[20:21], 0xfc2757d1, v10, v[20:21]
	v_dual_mov_b32 v22, v21 :: v_dual_cndmask_b32 v17, v20, v16
	s_delay_alu instid0(VALU_DEP_1) | instskip(NEXT) | instid1(VALU_DEP_1)
	v_mad_nc_u64_u32 v[22:23], 0x4e441529, v10, v[22:23]
	v_dual_mov_b32 v24, v23 :: v_dual_cndmask_b32 v15, v22, v18
	s_delay_alu instid0(VALU_DEP_1) | instskip(NEXT) | instid1(VALU_DEP_1)
	v_mad_nc_u64_u32 v[10:11], 0xa2f9836e, v10, v[24:25]
	v_dual_cndmask_b32 v10, v10, v20 :: v_dual_cndmask_b32 v11, v11, v22
	v_cmp_eq_u32_e32 vcc_lo, 0, v9
	s_delay_alu instid0(VALU_DEP_2) | instskip(SKIP_2) | instid1(VALU_DEP_3)
	v_dual_cndmask_b32 v14, v10, v15, s0 :: v_dual_cndmask_b32 v10, v11, v10, s0
	v_cndmask_b32_e64 v11, v15, v17, s0
	v_sub_nc_u32_e32 v15, 32, v9
	v_dual_cndmask_b32 v17, v17, v13, s0 :: v_dual_cndmask_b32 v10, v10, v14, s1
	s_delay_alu instid0(VALU_DEP_3) | instskip(NEXT) | instid1(VALU_DEP_1)
	v_cndmask_b32_e64 v14, v14, v11, s1
	v_alignbit_b32 v18, v10, v14, v15
	s_delay_alu instid0(VALU_DEP_1) | instskip(NEXT) | instid1(VALU_DEP_1)
	v_dual_cndmask_b32 v11, v11, v17, s1 :: v_dual_cndmask_b32 v9, v18, v10, vcc_lo
	v_alignbit_b32 v16, v14, v11, v15
	v_cndmask_b32_e64 v10, v13, v12, s0
	s_delay_alu instid0(VALU_DEP_3) | instskip(NEXT) | instid1(VALU_DEP_3)
	v_bfe_u32 v13, v9, 29, 1
	v_cndmask_b32_e32 v12, v16, v14, vcc_lo
	s_delay_alu instid0(VALU_DEP_2) | instskip(NEXT) | instid1(VALU_DEP_2)
	v_dual_cndmask_b32 v10, v17, v10, s1 :: v_dual_sub_nc_u32 v16, 0, v13
	v_alignbit_b32 v14, v9, v12, 30
	s_delay_alu instid0(VALU_DEP_2) | instskip(NEXT) | instid1(VALU_DEP_1)
	v_alignbit_b32 v15, v11, v10, v15
	v_dual_cndmask_b32 v11, v15, v11, vcc_lo :: v_dual_bitop2_b32 v14, v14, v16 bitop3:0x14
	s_delay_alu instid0(VALU_DEP_1) | instskip(NEXT) | instid1(VALU_DEP_2)
	v_clz_i32_u32_e32 v15, v14
	v_alignbit_b32 v12, v12, v11, 30
	v_alignbit_b32 v10, v11, v10, 30
	s_delay_alu instid0(VALU_DEP_3) | instskip(NEXT) | instid1(VALU_DEP_3)
	v_min_u32_e32 v15, 32, v15
	v_xor_b32_e32 v11, v12, v16
	s_delay_alu instid0(VALU_DEP_3) | instskip(NEXT) | instid1(VALU_DEP_3)
	v_dual_lshrrev_b32 v16, 29, v9 :: v_dual_bitop2_b32 v10, v10, v16 bitop3:0x14
	v_dual_lshrrev_b32 v9, 30, v9 :: v_dual_sub_nc_u32 v12, 31, v15
	v_lshlrev_b32_e32 v17, 23, v15
	s_delay_alu instid0(VALU_DEP_2) | instskip(NEXT) | instid1(VALU_DEP_4)
	v_alignbit_b32 v14, v14, v11, v12
	v_alignbit_b32 v10, v11, v10, v12
	v_lshlrev_b32_e32 v11, 31, v16
	s_delay_alu instid0(VALU_DEP_2) | instskip(NEXT) | instid1(VALU_DEP_2)
	v_alignbit_b32 v12, v14, v10, 9
	v_dual_lshrrev_b32 v14, 9, v14 :: v_dual_bitop2_b32 v16, 0.5, v11 bitop3:0x54
	v_or_b32_e32 v11, 0x33000000, v11
	s_delay_alu instid0(VALU_DEP_3) | instskip(NEXT) | instid1(VALU_DEP_3)
	v_clz_i32_u32_e32 v18, v12
	v_sub_nc_u32_e32 v16, v16, v17
	s_delay_alu instid0(VALU_DEP_2) | instskip(NEXT) | instid1(VALU_DEP_1)
	v_min_u32_e32 v17, 32, v18
	v_add_lshl_u32 v15, v17, v15, 23
	s_delay_alu instid0(VALU_DEP_1) | instskip(SKIP_1) | instid1(VALU_DEP_1)
	v_dual_sub_nc_u32 v11, v11, v15 :: v_dual_bitop2_b32 v14, v14, v16 bitop3:0x54
	v_not_b32_e32 v16, v17
	v_alignbit_b32 v10, v12, v10, v16
	s_delay_alu instid0(VALU_DEP_1) | instskip(NEXT) | instid1(VALU_DEP_4)
	v_lshrrev_b32_e32 v10, 9, v10
	v_mul_f32_e32 v18, 0x3fc90fda, v14
	s_delay_alu instid0(VALU_DEP_2) | instskip(NEXT) | instid1(VALU_DEP_2)
	v_or_b32_e32 v10, v11, v10
	v_fma_f32 v12, 0x3fc90fda, v14, -v18
	s_delay_alu instid0(VALU_DEP_1) | instskip(NEXT) | instid1(VALU_DEP_1)
	v_dual_fmamk_f32 v12, v14, 0x33a22168, v12 :: v_dual_add_nc_u32 v11, v13, v9
	v_fmac_f32_e32 v12, 0x3fc90fda, v10
	s_delay_alu instid0(VALU_DEP_1)
	v_add_f32_e32 v10, v18, v12
                                        ; implicit-def: $vgpr12
	s_and_not1_saveexec_b32 s0, s2
	s_cbranch_execnz .LBB17_65
	s_branch .LBB17_66
.LBB17_64:
	s_and_not1_saveexec_b32 s0, s2
.LBB17_65:
	v_rndne_f32_e32 v9, v12
	s_delay_alu instid0(VALU_DEP_1) | instskip(SKIP_1) | instid1(VALU_DEP_2)
	v_fma_f32 v10, 0xbfc90fda, v9, |v1|
	v_cvt_i32_f32_e32 v11, v9
	v_fmamk_f32 v10, v9, 0xb3a22168, v10
	s_delay_alu instid0(VALU_DEP_1)
	v_fmamk_f32 v10, v9, 0xa7c234c4, v10
.LBB17_66:
	s_or_b32 exec_lo, exec_lo, s0
	v_div_scale_f32 v9, null, v3, v3, 0x40a00000
	v_div_scale_f32 v14, vcc_lo, 0x40a00000, v3, 0x40a00000
	s_mov_b32 s0, 0xb94c1982
	v_rcp_f32_e32 v12, v9
	v_mul_f32_e32 v21, 0x4f800000, v3
	s_mov_b32 s1, 0x37d75334
	v_xor_b32_e32 v2, v2, v1
	v_and_b32_e32 v16, 1, v11
	s_delay_alu instid0(TRANS32_DEP_1) | instskip(NEXT) | instid1(VALU_DEP_1)
	v_fma_f32 v13, -v9, v12, 1.0
	v_fmac_f32_e32 v12, v13, v12
	s_delay_alu instid0(VALU_DEP_1) | instskip(NEXT) | instid1(VALU_DEP_1)
	v_mul_f32_e32 v13, v14, v12
	v_fma_f32 v15, -v9, v13, v14
	s_delay_alu instid0(VALU_DEP_1) | instskip(NEXT) | instid1(VALU_DEP_1)
	v_dual_fmac_f32 v13, v15, v12 :: v_dual_mul_f32 v15, v10, v10
	v_fma_f32 v9, -v9, v13, v14
	s_delay_alu instid0(VALU_DEP_2) | instskip(NEXT) | instid1(VALU_DEP_2)
	v_fmaak_f32 v24, s0, v15, 0x3c0881c4
	v_div_fmas_f32 v9, v9, v12, v13
	v_mul_f32_e32 v12, v7, v7
	s_delay_alu instid0(VALU_DEP_3) | instskip(SKIP_1) | instid1(VALU_DEP_4)
	v_fmaak_f32 v24, v15, v24, 0xbe2aaa9d
	v_dual_lshlrev_b32 v8, 30, v8 :: v_dual_bitop2_b32 v13, 1, v8 bitop3:0x40
	v_div_fixup_f32 v9, v9, v3, 0x40a00000
	s_delay_alu instid0(VALU_DEP_4) | instskip(SKIP_1) | instid1(VALU_DEP_4)
	v_fmaak_f32 v22, s0, v12, 0x3c0881c4
	v_cmp_gt_f32_e64 s0, 0xf800000, v3
	v_cmp_eq_u32_e64 s2, 0, v13
	v_and_b32_e32 v8, 0x80000000, v8
	v_dual_mul_f32 v14, v9, v9 :: v_dual_lshlrev_b32 v11, 30, v11
	s_delay_alu instid0(VALU_DEP_4) | instskip(SKIP_1) | instid1(VALU_DEP_3)
	v_cndmask_b32_e64 v3, v3, v21, s0
	v_fmaak_f32 v22, v12, v22, 0xbe2aaa9d
	v_dual_mul_f32 v24, v15, v24 :: v_dual_fmaak_f32 v17, 0, v14, 0x3d513fd3
	v_fmaak_f32 v18, 0, v14, 0x3a15c4d9
	v_fmaak_f32 v20, 0, v14, 0x3a47c962
	v_sqrt_f32_e32 v28, v3
	v_fmaak_f32 v19, 0, v14, 0x42947983
	v_dual_fmaak_f32 v17, v14, v17, 0x409f6dae :: v_dual_mul_f32 v22, v12, v22
	v_fmaak_f32 v18, v14, v18, 0x3d8cfeeb
	v_fmaak_f32 v20, v14, v20, 0x3d95ca45
	v_dual_fmaak_f32 v25, s1, v15, 0xbab64f3b :: v_dual_fmac_f32 v10, v10, v24
	s_delay_alu instid0(TRANS32_DEP_1) | instid1(VALU_DEP_3)
	v_dual_fmaak_f32 v18, v14, v18, 0x3f8d754e :: v_dual_add_nc_u32 v33, 1, v28
	s_delay_alu instid0(VALU_DEP_3) | instskip(SKIP_1) | instid1(VALU_DEP_4)
	v_dual_fmac_f32 v7, v7, v22 :: v_dual_fmaak_f32 v20, v14, v20, 0x3f9047f6
	v_fmaak_f32 v17, v14, v17, 0x4297a5cd
	v_fmaak_f32 v25, v15, v25, 0x3d2aabf7
	s_delay_alu instid0(VALU_DEP_4) | instskip(NEXT) | instid1(VALU_DEP_4)
	v_fmaak_f32 v18, v14, v18, 0x40a25d18
	v_fmaak_f32 v20, v14, v20, 0x40a39628
	s_delay_alu instid0(VALU_DEP_4) | instskip(NEXT) | instid1(VALU_DEP_4)
	;; [unrolled: 3-line block ×4, first 2 shown]
	v_fmaak_f32 v17, v14, v17, 0x4431b6ce
	v_fma_f32 v15, v15, v25, 1.0
	s_delay_alu instid0(VALU_DEP_4) | instskip(NEXT) | instid1(VALU_DEP_4)
	v_fmaak_f32 v18, v14, v18, 0x40a6b6ea
	v_fmaak_f32 v20, v14, v20, 0x40a6dd51
	s_delay_alu instid0(VALU_DEP_4) | instskip(NEXT) | instid1(VALU_DEP_3)
	v_fmaak_f32 v17, v14, v17, 0x44155f56
	v_fma_f32 v18, v14, v18, 1.0
	s_delay_alu instid0(VALU_DEP_3) | instskip(NEXT) | instid1(VALU_DEP_3)
	v_fma_f32 v20, v14, v20, 1.0
	v_fmaak_f32 v17, v14, v17, 0x4353b052
	s_delay_alu instid0(VALU_DEP_2) | instskip(SKIP_1) | instid1(VALU_DEP_1)
	v_div_scale_f32 v31, vcc_lo, v20, v18, v20
	v_fmaak_f32 v19, v14, v19, 0x44840e5d
	v_fmaak_f32 v19, v14, v19, 0x459bd349
	s_delay_alu instid0(VALU_DEP_1) | instskip(NEXT) | instid1(VALU_DEP_1)
	v_fmaak_f32 v19, v14, v19, 0x46156947
	v_fmaak_f32 v19, v14, v19, 0x45f9e855
	s_delay_alu instid0(VALU_DEP_1) | instskip(NEXT) | instid1(VALU_DEP_1)
	v_fmaak_f32 v19, v14, v19, 0x4530a316
	v_fmaak_f32 v19, v14, v19, 0x43a80bfb
	;; [unrolled: 1-line block ×3, first 2 shown]
	v_div_scale_f32 v17, null, v18, v18, v20
	s_delay_alu instid0(VALU_DEP_2) | instskip(NEXT) | instid1(VALU_DEP_2)
	v_div_scale_f32 v21, null, v19, v19, v14
	v_rcp_f32_e32 v26, v17
	s_delay_alu instid0(VALU_DEP_1) | instskip(NEXT) | instid1(TRANS32_DEP_2)
	v_rcp_f32_e32 v27, v21
	v_fma_f32 v29, -v17, v26, 1.0
	s_delay_alu instid0(TRANS32_DEP_1) | instskip(NEXT) | instid1(VALU_DEP_1)
	v_fma_f32 v30, -v21, v27, 1.0
	v_dual_fmac_f32 v26, v29, v26 :: v_dual_fmac_f32 v27, v30, v27
	s_delay_alu instid0(VALU_DEP_1) | instskip(NEXT) | instid1(VALU_DEP_1)
	v_dual_add_nc_u32 v30, -1, v28 :: v_dual_mul_f32 v32, v31, v26
	v_fma_f32 v22, -v17, v32, v31
	v_fmaak_f32 v23, s1, v12, 0xbab64f3b
	v_div_scale_f32 v29, s1, v14, v19, v14
	s_delay_alu instid0(VALU_DEP_4) | instskip(NEXT) | instid1(VALU_DEP_3)
	v_fma_f32 v24, -v30, v28, v3
	v_dual_fmac_f32 v32, v22, v26 :: v_dual_fmaak_f32 v23, v12, v23, 0x3d2aabf7
	s_delay_alu instid0(VALU_DEP_3) | instskip(NEXT) | instid1(VALU_DEP_2)
	v_mul_f32_e32 v34, v29, v27
	v_fmaak_f32 v23, v12, v23, 0xbf000004
	s_delay_alu instid0(VALU_DEP_1) | instskip(NEXT) | instid1(VALU_DEP_3)
	v_fma_f32 v12, v12, v23, 1.0
	v_fma_f32 v23, -v21, v34, v29
	s_delay_alu instid0(VALU_DEP_2) | instskip(NEXT) | instid1(VALU_DEP_2)
	v_dual_fma_f32 v22, -v33, v28, v3 :: v_dual_cndmask_b32 v7, v12, v7, s2
	v_fmac_f32_e32 v34, v23, v27
	v_cmp_eq_u32_e64 s2, 0, v16
	v_fma_f32 v12, -v17, v32, v31
	s_delay_alu instid0(VALU_DEP_4) | instskip(NEXT) | instid1(VALU_DEP_3)
	v_xor3_b32 v2, v2, v8, v7
	v_cndmask_b32_e64 v10, -v10, v15, s2
	s_delay_alu instid0(VALU_DEP_3) | instskip(SKIP_3) | instid1(VALU_DEP_1)
	v_div_fmas_f32 v12, v12, v26, v32
	s_mov_b32 vcc_lo, s1
	v_cmp_lt_f32_e64 s1, 0, v22
	v_fma_f32 v13, -v21, v34, v29
	v_div_fmas_f32 v13, v13, v27, v34
	v_cmp_ge_f32_e32 vcc_lo, 0, v24
	s_delay_alu instid0(VALU_DEP_2) | instskip(SKIP_4) | instid1(VALU_DEP_4)
	v_div_fixup_f32 v7, v13, v19, v14
	v_cndmask_b32_e32 v15, v28, v30, vcc_lo
	v_cmp_class_f32_e64 vcc_lo, v1, 0x1f8
	v_bitop3_b32 v1, v11, v10, 0x80000000 bitop3:0x6c
	v_div_fixup_f32 v10, v12, v18, v20
	v_dual_mul_f32 v7, v9, v7 :: v_dual_cndmask_b32 v8, v15, v33, s1
	v_cndmask_b32_e32 v2, 0x7fc00000, v2, vcc_lo
	s_delay_alu instid0(VALU_DEP_4) | instskip(SKIP_1) | instid1(VALU_DEP_4)
	v_cndmask_b32_e32 v1, 0x7fc00000, v1, vcc_lo
	v_cmp_class_f32_e64 vcc_lo, v3, 0x260
	v_mul_f32_e32 v9, 0x37800000, v8
	s_delay_alu instid0(VALU_DEP_3) | instskip(NEXT) | instid1(VALU_DEP_1)
	v_mul_f32_e32 v1, v7, v1
	v_dual_cndmask_b32 v7, v8, v9, s0 :: v_dual_fmac_f32 v1, v10, v2
	s_delay_alu instid0(VALU_DEP_1) | instskip(NEXT) | instid1(VALU_DEP_1)
	v_dual_cndmask_b32 v2, v7, v3 :: v_dual_mul_f32 v1, 0x3f4c422a, v1
	v_div_scale_f32 v3, null, v2, v2, v1
	s_delay_alu instid0(VALU_DEP_1) | instskip(SKIP_1) | instid1(TRANS32_DEP_1)
	v_rcp_f32_e32 v7, v3
	v_nop
	v_fma_f32 v8, -v3, v7, 1.0
	s_delay_alu instid0(VALU_DEP_1) | instskip(SKIP_1) | instid1(VALU_DEP_1)
	v_fmac_f32_e32 v7, v8, v7
	v_div_scale_f32 v8, vcc_lo, v1, v2, v1
	v_mul_f32_e32 v9, v8, v7
	s_delay_alu instid0(VALU_DEP_1) | instskip(NEXT) | instid1(VALU_DEP_1)
	v_fma_f32 v10, -v3, v9, v8
	v_fmac_f32_e32 v9, v10, v7
	s_delay_alu instid0(VALU_DEP_1) | instskip(NEXT) | instid1(VALU_DEP_1)
	v_fma_f32 v3, -v3, v9, v8
	v_div_fmas_f32 v3, v3, v7, v9
	s_delay_alu instid0(VALU_DEP_1)
	v_div_fixup_f32 v7, v3, v2, v1
.LBB17_67:
	s_or_b32 exec_lo, exec_lo, s10
	s_add_nc_u64 s[8:9], s[4:5], s[8:9]
	s_clause 0x1
	global_store_b64 v0, v[4:5], s[8:9] scale_offset
	global_store_b64 v0, v[6:7], s[8:9] offset:2048 scale_offset
.LBB17_68:
	s_sendmsg sendmsg(MSG_DEALLOC_VGPRS)
	s_endpgm
	.section	.rodata,"a",@progbits
	.p2align	6, 0x0
	.amdhsa_kernel _ZN2at6native29vectorized_elementwise_kernelILi2EZZZNS0_12_GLOBAL__N_121bessel_y1_kernel_cudaERNS_18TensorIteratorBaseEENKUlvE_clEvENKUlvE0_clEvEUlfE_St5arrayIPcLm2EEEEviT0_T1_
		.amdhsa_group_segment_fixed_size 0
		.amdhsa_private_segment_fixed_size 0
		.amdhsa_kernarg_size 24
		.amdhsa_user_sgpr_count 2
		.amdhsa_user_sgpr_dispatch_ptr 0
		.amdhsa_user_sgpr_queue_ptr 0
		.amdhsa_user_sgpr_kernarg_segment_ptr 1
		.amdhsa_user_sgpr_dispatch_id 0
		.amdhsa_user_sgpr_kernarg_preload_length 0
		.amdhsa_user_sgpr_kernarg_preload_offset 0
		.amdhsa_user_sgpr_private_segment_size 0
		.amdhsa_wavefront_size32 1
		.amdhsa_uses_dynamic_stack 0
		.amdhsa_enable_private_segment 0
		.amdhsa_system_sgpr_workgroup_id_x 1
		.amdhsa_system_sgpr_workgroup_id_y 0
		.amdhsa_system_sgpr_workgroup_id_z 0
		.amdhsa_system_sgpr_workgroup_info 0
		.amdhsa_system_vgpr_workitem_id 0
		.amdhsa_next_free_vgpr 50
		.amdhsa_next_free_sgpr 33
		.amdhsa_named_barrier_count 0
		.amdhsa_reserve_vcc 1
		.amdhsa_float_round_mode_32 0
		.amdhsa_float_round_mode_16_64 0
		.amdhsa_float_denorm_mode_32 3
		.amdhsa_float_denorm_mode_16_64 3
		.amdhsa_fp16_overflow 0
		.amdhsa_memory_ordered 1
		.amdhsa_forward_progress 1
		.amdhsa_inst_pref_size 113
		.amdhsa_round_robin_scheduling 0
		.amdhsa_exception_fp_ieee_invalid_op 0
		.amdhsa_exception_fp_denorm_src 0
		.amdhsa_exception_fp_ieee_div_zero 0
		.amdhsa_exception_fp_ieee_overflow 0
		.amdhsa_exception_fp_ieee_underflow 0
		.amdhsa_exception_fp_ieee_inexact 0
		.amdhsa_exception_int_div_zero 0
	.end_amdhsa_kernel
	.section	.text._ZN2at6native29vectorized_elementwise_kernelILi2EZZZNS0_12_GLOBAL__N_121bessel_y1_kernel_cudaERNS_18TensorIteratorBaseEENKUlvE_clEvENKUlvE0_clEvEUlfE_St5arrayIPcLm2EEEEviT0_T1_,"axG",@progbits,_ZN2at6native29vectorized_elementwise_kernelILi2EZZZNS0_12_GLOBAL__N_121bessel_y1_kernel_cudaERNS_18TensorIteratorBaseEENKUlvE_clEvENKUlvE0_clEvEUlfE_St5arrayIPcLm2EEEEviT0_T1_,comdat
.Lfunc_end17:
	.size	_ZN2at6native29vectorized_elementwise_kernelILi2EZZZNS0_12_GLOBAL__N_121bessel_y1_kernel_cudaERNS_18TensorIteratorBaseEENKUlvE_clEvENKUlvE0_clEvEUlfE_St5arrayIPcLm2EEEEviT0_T1_, .Lfunc_end17-_ZN2at6native29vectorized_elementwise_kernelILi2EZZZNS0_12_GLOBAL__N_121bessel_y1_kernel_cudaERNS_18TensorIteratorBaseEENKUlvE_clEvENKUlvE0_clEvEUlfE_St5arrayIPcLm2EEEEviT0_T1_
                                        ; -- End function
	.set _ZN2at6native29vectorized_elementwise_kernelILi2EZZZNS0_12_GLOBAL__N_121bessel_y1_kernel_cudaERNS_18TensorIteratorBaseEENKUlvE_clEvENKUlvE0_clEvEUlfE_St5arrayIPcLm2EEEEviT0_T1_.num_vgpr, max(35, .L_ZN2at6native25elementwise_kernel_helperILb0EZZZNS0_12_GLOBAL__N_121bessel_y1_kernel_cudaERNS_18TensorIteratorBaseEENKUlvE_clEvENKUlvE0_clEvEUlfE_NS0_6memory8policies11unroll_baseILi256ESt5arrayIPcLm2EE23TrivialOffsetCalculatorILi1EjESF_NS8_15LoadWithoutCastENS8_16StoreWithoutCastELi4ELi1EEEEEvT0_T1_.num_vgpr)
	.set _ZN2at6native29vectorized_elementwise_kernelILi2EZZZNS0_12_GLOBAL__N_121bessel_y1_kernel_cudaERNS_18TensorIteratorBaseEENKUlvE_clEvENKUlvE0_clEvEUlfE_St5arrayIPcLm2EEEEviT0_T1_.num_agpr, max(0, .L_ZN2at6native25elementwise_kernel_helperILb0EZZZNS0_12_GLOBAL__N_121bessel_y1_kernel_cudaERNS_18TensorIteratorBaseEENKUlvE_clEvENKUlvE0_clEvEUlfE_NS0_6memory8policies11unroll_baseILi256ESt5arrayIPcLm2EE23TrivialOffsetCalculatorILi1EjESF_NS8_15LoadWithoutCastENS8_16StoreWithoutCastELi4ELi1EEEEEvT0_T1_.num_agpr)
	.set _ZN2at6native29vectorized_elementwise_kernelILi2EZZZNS0_12_GLOBAL__N_121bessel_y1_kernel_cudaERNS_18TensorIteratorBaseEENKUlvE_clEvENKUlvE0_clEvEUlfE_St5arrayIPcLm2EEEEviT0_T1_.numbered_sgpr, max(33, .L_ZN2at6native25elementwise_kernel_helperILb0EZZZNS0_12_GLOBAL__N_121bessel_y1_kernel_cudaERNS_18TensorIteratorBaseEENKUlvE_clEvENKUlvE0_clEvEUlfE_NS0_6memory8policies11unroll_baseILi256ESt5arrayIPcLm2EE23TrivialOffsetCalculatorILi1EjESF_NS8_15LoadWithoutCastENS8_16StoreWithoutCastELi4ELi1EEEEEvT0_T1_.numbered_sgpr)
	.set _ZN2at6native29vectorized_elementwise_kernelILi2EZZZNS0_12_GLOBAL__N_121bessel_y1_kernel_cudaERNS_18TensorIteratorBaseEENKUlvE_clEvENKUlvE0_clEvEUlfE_St5arrayIPcLm2EEEEviT0_T1_.num_named_barrier, max(0, .L_ZN2at6native25elementwise_kernel_helperILb0EZZZNS0_12_GLOBAL__N_121bessel_y1_kernel_cudaERNS_18TensorIteratorBaseEENKUlvE_clEvENKUlvE0_clEvEUlfE_NS0_6memory8policies11unroll_baseILi256ESt5arrayIPcLm2EE23TrivialOffsetCalculatorILi1EjESF_NS8_15LoadWithoutCastENS8_16StoreWithoutCastELi4ELi1EEEEEvT0_T1_.num_named_barrier)
	.set _ZN2at6native29vectorized_elementwise_kernelILi2EZZZNS0_12_GLOBAL__N_121bessel_y1_kernel_cudaERNS_18TensorIteratorBaseEENKUlvE_clEvENKUlvE0_clEvEUlfE_St5arrayIPcLm2EEEEviT0_T1_.private_seg_size, 0+max(.L_ZN2at6native25elementwise_kernel_helperILb0EZZZNS0_12_GLOBAL__N_121bessel_y1_kernel_cudaERNS_18TensorIteratorBaseEENKUlvE_clEvENKUlvE0_clEvEUlfE_NS0_6memory8policies11unroll_baseILi256ESt5arrayIPcLm2EE23TrivialOffsetCalculatorILi1EjESF_NS8_15LoadWithoutCastENS8_16StoreWithoutCastELi4ELi1EEEEEvT0_T1_.private_seg_size)
	.set _ZN2at6native29vectorized_elementwise_kernelILi2EZZZNS0_12_GLOBAL__N_121bessel_y1_kernel_cudaERNS_18TensorIteratorBaseEENKUlvE_clEvENKUlvE0_clEvEUlfE_St5arrayIPcLm2EEEEviT0_T1_.uses_vcc, or(1, .L_ZN2at6native25elementwise_kernel_helperILb0EZZZNS0_12_GLOBAL__N_121bessel_y1_kernel_cudaERNS_18TensorIteratorBaseEENKUlvE_clEvENKUlvE0_clEvEUlfE_NS0_6memory8policies11unroll_baseILi256ESt5arrayIPcLm2EE23TrivialOffsetCalculatorILi1EjESF_NS8_15LoadWithoutCastENS8_16StoreWithoutCastELi4ELi1EEEEEvT0_T1_.uses_vcc)
	.set _ZN2at6native29vectorized_elementwise_kernelILi2EZZZNS0_12_GLOBAL__N_121bessel_y1_kernel_cudaERNS_18TensorIteratorBaseEENKUlvE_clEvENKUlvE0_clEvEUlfE_St5arrayIPcLm2EEEEviT0_T1_.uses_flat_scratch, or(0, .L_ZN2at6native25elementwise_kernel_helperILb0EZZZNS0_12_GLOBAL__N_121bessel_y1_kernel_cudaERNS_18TensorIteratorBaseEENKUlvE_clEvENKUlvE0_clEvEUlfE_NS0_6memory8policies11unroll_baseILi256ESt5arrayIPcLm2EE23TrivialOffsetCalculatorILi1EjESF_NS8_15LoadWithoutCastENS8_16StoreWithoutCastELi4ELi1EEEEEvT0_T1_.uses_flat_scratch)
	.set _ZN2at6native29vectorized_elementwise_kernelILi2EZZZNS0_12_GLOBAL__N_121bessel_y1_kernel_cudaERNS_18TensorIteratorBaseEENKUlvE_clEvENKUlvE0_clEvEUlfE_St5arrayIPcLm2EEEEviT0_T1_.has_dyn_sized_stack, or(0, .L_ZN2at6native25elementwise_kernel_helperILb0EZZZNS0_12_GLOBAL__N_121bessel_y1_kernel_cudaERNS_18TensorIteratorBaseEENKUlvE_clEvENKUlvE0_clEvEUlfE_NS0_6memory8policies11unroll_baseILi256ESt5arrayIPcLm2EE23TrivialOffsetCalculatorILi1EjESF_NS8_15LoadWithoutCastENS8_16StoreWithoutCastELi4ELi1EEEEEvT0_T1_.has_dyn_sized_stack)
	.set _ZN2at6native29vectorized_elementwise_kernelILi2EZZZNS0_12_GLOBAL__N_121bessel_y1_kernel_cudaERNS_18TensorIteratorBaseEENKUlvE_clEvENKUlvE0_clEvEUlfE_St5arrayIPcLm2EEEEviT0_T1_.has_recursion, or(0, .L_ZN2at6native25elementwise_kernel_helperILb0EZZZNS0_12_GLOBAL__N_121bessel_y1_kernel_cudaERNS_18TensorIteratorBaseEENKUlvE_clEvENKUlvE0_clEvEUlfE_NS0_6memory8policies11unroll_baseILi256ESt5arrayIPcLm2EE23TrivialOffsetCalculatorILi1EjESF_NS8_15LoadWithoutCastENS8_16StoreWithoutCastELi4ELi1EEEEEvT0_T1_.has_recursion)
	.set _ZN2at6native29vectorized_elementwise_kernelILi2EZZZNS0_12_GLOBAL__N_121bessel_y1_kernel_cudaERNS_18TensorIteratorBaseEENKUlvE_clEvENKUlvE0_clEvEUlfE_St5arrayIPcLm2EEEEviT0_T1_.has_indirect_call, or(0, .L_ZN2at6native25elementwise_kernel_helperILb0EZZZNS0_12_GLOBAL__N_121bessel_y1_kernel_cudaERNS_18TensorIteratorBaseEENKUlvE_clEvENKUlvE0_clEvEUlfE_NS0_6memory8policies11unroll_baseILi256ESt5arrayIPcLm2EE23TrivialOffsetCalculatorILi1EjESF_NS8_15LoadWithoutCastENS8_16StoreWithoutCastELi4ELi1EEEEEvT0_T1_.has_indirect_call)
	.section	.AMDGPU.csdata,"",@progbits
; Kernel info:
; codeLenInByte = 14432
; TotalNumSgprs: 35
; NumVgprs: 50
; ScratchSize: 0
; MemoryBound: 0
; FloatMode: 240
; IeeeMode: 1
; LDSByteSize: 0 bytes/workgroup (compile time only)
; SGPRBlocks: 0
; VGPRBlocks: 3
; NumSGPRsForWavesPerEU: 35
; NumVGPRsForWavesPerEU: 50
; NamedBarCnt: 0
; Occupancy: 16
; WaveLimiterHint : 1
; COMPUTE_PGM_RSRC2:SCRATCH_EN: 0
; COMPUTE_PGM_RSRC2:USER_SGPR: 2
; COMPUTE_PGM_RSRC2:TRAP_HANDLER: 0
; COMPUTE_PGM_RSRC2:TGID_X_EN: 1
; COMPUTE_PGM_RSRC2:TGID_Y_EN: 0
; COMPUTE_PGM_RSRC2:TGID_Z_EN: 0
; COMPUTE_PGM_RSRC2:TIDIG_COMP_CNT: 0
	.section	.text._ZN2at6native27unrolled_elementwise_kernelIZZZNS0_12_GLOBAL__N_121bessel_y1_kernel_cudaERNS_18TensorIteratorBaseEENKUlvE_clEvENKUlvE0_clEvEUlfE_St5arrayIPcLm2EELi4E23TrivialOffsetCalculatorILi1EjESC_NS0_6memory15LoadWithoutCastENSD_16StoreWithoutCastEEEviT_T0_T2_T3_T4_T5_,"axG",@progbits,_ZN2at6native27unrolled_elementwise_kernelIZZZNS0_12_GLOBAL__N_121bessel_y1_kernel_cudaERNS_18TensorIteratorBaseEENKUlvE_clEvENKUlvE0_clEvEUlfE_St5arrayIPcLm2EELi4E23TrivialOffsetCalculatorILi1EjESC_NS0_6memory15LoadWithoutCastENSD_16StoreWithoutCastEEEviT_T0_T2_T3_T4_T5_,comdat
	.globl	_ZN2at6native27unrolled_elementwise_kernelIZZZNS0_12_GLOBAL__N_121bessel_y1_kernel_cudaERNS_18TensorIteratorBaseEENKUlvE_clEvENKUlvE0_clEvEUlfE_St5arrayIPcLm2EELi4E23TrivialOffsetCalculatorILi1EjESC_NS0_6memory15LoadWithoutCastENSD_16StoreWithoutCastEEEviT_T0_T2_T3_T4_T5_ ; -- Begin function _ZN2at6native27unrolled_elementwise_kernelIZZZNS0_12_GLOBAL__N_121bessel_y1_kernel_cudaERNS_18TensorIteratorBaseEENKUlvE_clEvENKUlvE0_clEvEUlfE_St5arrayIPcLm2EELi4E23TrivialOffsetCalculatorILi1EjESC_NS0_6memory15LoadWithoutCastENSD_16StoreWithoutCastEEEviT_T0_T2_T3_T4_T5_
	.p2align	8
	.type	_ZN2at6native27unrolled_elementwise_kernelIZZZNS0_12_GLOBAL__N_121bessel_y1_kernel_cudaERNS_18TensorIteratorBaseEENKUlvE_clEvENKUlvE0_clEvEUlfE_St5arrayIPcLm2EELi4E23TrivialOffsetCalculatorILi1EjESC_NS0_6memory15LoadWithoutCastENSD_16StoreWithoutCastEEEviT_T0_T2_T3_T4_T5_,@function
_ZN2at6native27unrolled_elementwise_kernelIZZZNS0_12_GLOBAL__N_121bessel_y1_kernel_cudaERNS_18TensorIteratorBaseEENKUlvE_clEvENKUlvE0_clEvEUlfE_St5arrayIPcLm2EELi4E23TrivialOffsetCalculatorILi1EjESC_NS0_6memory15LoadWithoutCastENSD_16StoreWithoutCastEEEviT_T0_T2_T3_T4_T5_: ; @_ZN2at6native27unrolled_elementwise_kernelIZZZNS0_12_GLOBAL__N_121bessel_y1_kernel_cudaERNS_18TensorIteratorBaseEENKUlvE_clEvENKUlvE0_clEvEUlfE_St5arrayIPcLm2EELi4E23TrivialOffsetCalculatorILi1EjESC_NS0_6memory15LoadWithoutCastENSD_16StoreWithoutCastEEEviT_T0_T2_T3_T4_T5_
; %bb.0:
	s_clause 0x1
	s_load_b32 s2, s[0:1], 0x0
	s_load_b128 s[4:7], s[0:1], 0x8
	s_wait_xcnt 0x0
	s_bfe_u32 s0, ttmp6, 0x4000c
	s_and_b32 s1, ttmp6, 15
	s_add_co_i32 s0, s0, 1
	s_getreg_b32 s3, hwreg(HW_REG_IB_STS2, 6, 4)
	s_mul_i32 s0, ttmp9, s0
	v_mov_b32_e32 v31, v0
	s_add_co_i32 s1, s1, s0
	s_cmp_eq_u32 s3, 0
	s_mov_b32 s32, 0
	s_cselect_b32 s3, ttmp9, s1
	s_get_pc_i64 s[0:1]
	s_add_nc_u64 s[0:1], s[0:1], _ZN2at6native25elementwise_kernel_helperILb0EZZZNS0_12_GLOBAL__N_121bessel_y1_kernel_cudaERNS_18TensorIteratorBaseEENKUlvE_clEvENKUlvE0_clEvEUlfE_NS0_6memory8policies11unroll_baseILi256ESt5arrayIPcLm2EE23TrivialOffsetCalculatorILi1EjESF_NS8_15LoadWithoutCastENS8_16StoreWithoutCastELi4ELi1EEEEEvT0_T1_@rel64+4
	s_lshl_b32 s3, s3, 10
	s_wait_kmcnt 0x0
	s_sub_co_i32 s2, s2, s3
	v_dual_mov_b32 v0, s4 :: v_dual_mov_b32 v1, s5
	v_dual_mov_b32 v2, s6 :: v_dual_mov_b32 v3, s7
	v_mov_b32_e32 v4, s2
	s_swap_pc_i64 s[30:31], s[0:1]
	s_endpgm
	.section	.rodata,"a",@progbits
	.p2align	6, 0x0
	.amdhsa_kernel _ZN2at6native27unrolled_elementwise_kernelIZZZNS0_12_GLOBAL__N_121bessel_y1_kernel_cudaERNS_18TensorIteratorBaseEENKUlvE_clEvENKUlvE0_clEvEUlfE_St5arrayIPcLm2EELi4E23TrivialOffsetCalculatorILi1EjESC_NS0_6memory15LoadWithoutCastENSD_16StoreWithoutCastEEEviT_T0_T2_T3_T4_T5_
		.amdhsa_group_segment_fixed_size 0
		.amdhsa_private_segment_fixed_size 0
		.amdhsa_kernarg_size 28
		.amdhsa_user_sgpr_count 2
		.amdhsa_user_sgpr_dispatch_ptr 0
		.amdhsa_user_sgpr_queue_ptr 0
		.amdhsa_user_sgpr_kernarg_segment_ptr 1
		.amdhsa_user_sgpr_dispatch_id 0
		.amdhsa_user_sgpr_kernarg_preload_length 0
		.amdhsa_user_sgpr_kernarg_preload_offset 0
		.amdhsa_user_sgpr_private_segment_size 0
		.amdhsa_wavefront_size32 1
		.amdhsa_uses_dynamic_stack 0
		.amdhsa_enable_private_segment 0
		.amdhsa_system_sgpr_workgroup_id_x 1
		.amdhsa_system_sgpr_workgroup_id_y 0
		.amdhsa_system_sgpr_workgroup_id_z 0
		.amdhsa_system_sgpr_workgroup_info 0
		.amdhsa_system_vgpr_workitem_id 0
		.amdhsa_next_free_vgpr 50
		.amdhsa_next_free_sgpr 33
		.amdhsa_named_barrier_count 0
		.amdhsa_reserve_vcc 1
		.amdhsa_float_round_mode_32 0
		.amdhsa_float_round_mode_16_64 0
		.amdhsa_float_denorm_mode_32 3
		.amdhsa_float_denorm_mode_16_64 3
		.amdhsa_fp16_overflow 0
		.amdhsa_memory_ordered 1
		.amdhsa_forward_progress 1
		.amdhsa_inst_pref_size 1
		.amdhsa_round_robin_scheduling 0
		.amdhsa_exception_fp_ieee_invalid_op 0
		.amdhsa_exception_fp_denorm_src 0
		.amdhsa_exception_fp_ieee_div_zero 0
		.amdhsa_exception_fp_ieee_overflow 0
		.amdhsa_exception_fp_ieee_underflow 0
		.amdhsa_exception_fp_ieee_inexact 0
		.amdhsa_exception_int_div_zero 0
	.end_amdhsa_kernel
	.section	.text._ZN2at6native27unrolled_elementwise_kernelIZZZNS0_12_GLOBAL__N_121bessel_y1_kernel_cudaERNS_18TensorIteratorBaseEENKUlvE_clEvENKUlvE0_clEvEUlfE_St5arrayIPcLm2EELi4E23TrivialOffsetCalculatorILi1EjESC_NS0_6memory15LoadWithoutCastENSD_16StoreWithoutCastEEEviT_T0_T2_T3_T4_T5_,"axG",@progbits,_ZN2at6native27unrolled_elementwise_kernelIZZZNS0_12_GLOBAL__N_121bessel_y1_kernel_cudaERNS_18TensorIteratorBaseEENKUlvE_clEvENKUlvE0_clEvEUlfE_St5arrayIPcLm2EELi4E23TrivialOffsetCalculatorILi1EjESC_NS0_6memory15LoadWithoutCastENSD_16StoreWithoutCastEEEviT_T0_T2_T3_T4_T5_,comdat
.Lfunc_end18:
	.size	_ZN2at6native27unrolled_elementwise_kernelIZZZNS0_12_GLOBAL__N_121bessel_y1_kernel_cudaERNS_18TensorIteratorBaseEENKUlvE_clEvENKUlvE0_clEvEUlfE_St5arrayIPcLm2EELi4E23TrivialOffsetCalculatorILi1EjESC_NS0_6memory15LoadWithoutCastENSD_16StoreWithoutCastEEEviT_T0_T2_T3_T4_T5_, .Lfunc_end18-_ZN2at6native27unrolled_elementwise_kernelIZZZNS0_12_GLOBAL__N_121bessel_y1_kernel_cudaERNS_18TensorIteratorBaseEENKUlvE_clEvENKUlvE0_clEvEUlfE_St5arrayIPcLm2EELi4E23TrivialOffsetCalculatorILi1EjESC_NS0_6memory15LoadWithoutCastENSD_16StoreWithoutCastEEEviT_T0_T2_T3_T4_T5_
                                        ; -- End function
	.set _ZN2at6native27unrolled_elementwise_kernelIZZZNS0_12_GLOBAL__N_121bessel_y1_kernel_cudaERNS_18TensorIteratorBaseEENKUlvE_clEvENKUlvE0_clEvEUlfE_St5arrayIPcLm2EELi4E23TrivialOffsetCalculatorILi1EjESC_NS0_6memory15LoadWithoutCastENSD_16StoreWithoutCastEEEviT_T0_T2_T3_T4_T5_.num_vgpr, max(32, .L_ZN2at6native25elementwise_kernel_helperILb0EZZZNS0_12_GLOBAL__N_121bessel_y1_kernel_cudaERNS_18TensorIteratorBaseEENKUlvE_clEvENKUlvE0_clEvEUlfE_NS0_6memory8policies11unroll_baseILi256ESt5arrayIPcLm2EE23TrivialOffsetCalculatorILi1EjESF_NS8_15LoadWithoutCastENS8_16StoreWithoutCastELi4ELi1EEEEEvT0_T1_.num_vgpr)
	.set _ZN2at6native27unrolled_elementwise_kernelIZZZNS0_12_GLOBAL__N_121bessel_y1_kernel_cudaERNS_18TensorIteratorBaseEENKUlvE_clEvENKUlvE0_clEvEUlfE_St5arrayIPcLm2EELi4E23TrivialOffsetCalculatorILi1EjESC_NS0_6memory15LoadWithoutCastENSD_16StoreWithoutCastEEEviT_T0_T2_T3_T4_T5_.num_agpr, max(0, .L_ZN2at6native25elementwise_kernel_helperILb0EZZZNS0_12_GLOBAL__N_121bessel_y1_kernel_cudaERNS_18TensorIteratorBaseEENKUlvE_clEvENKUlvE0_clEvEUlfE_NS0_6memory8policies11unroll_baseILi256ESt5arrayIPcLm2EE23TrivialOffsetCalculatorILi1EjESF_NS8_15LoadWithoutCastENS8_16StoreWithoutCastELi4ELi1EEEEEvT0_T1_.num_agpr)
	.set _ZN2at6native27unrolled_elementwise_kernelIZZZNS0_12_GLOBAL__N_121bessel_y1_kernel_cudaERNS_18TensorIteratorBaseEENKUlvE_clEvENKUlvE0_clEvEUlfE_St5arrayIPcLm2EELi4E23TrivialOffsetCalculatorILi1EjESC_NS0_6memory15LoadWithoutCastENSD_16StoreWithoutCastEEEviT_T0_T2_T3_T4_T5_.numbered_sgpr, max(33, .L_ZN2at6native25elementwise_kernel_helperILb0EZZZNS0_12_GLOBAL__N_121bessel_y1_kernel_cudaERNS_18TensorIteratorBaseEENKUlvE_clEvENKUlvE0_clEvEUlfE_NS0_6memory8policies11unroll_baseILi256ESt5arrayIPcLm2EE23TrivialOffsetCalculatorILi1EjESF_NS8_15LoadWithoutCastENS8_16StoreWithoutCastELi4ELi1EEEEEvT0_T1_.numbered_sgpr)
	.set _ZN2at6native27unrolled_elementwise_kernelIZZZNS0_12_GLOBAL__N_121bessel_y1_kernel_cudaERNS_18TensorIteratorBaseEENKUlvE_clEvENKUlvE0_clEvEUlfE_St5arrayIPcLm2EELi4E23TrivialOffsetCalculatorILi1EjESC_NS0_6memory15LoadWithoutCastENSD_16StoreWithoutCastEEEviT_T0_T2_T3_T4_T5_.num_named_barrier, max(0, .L_ZN2at6native25elementwise_kernel_helperILb0EZZZNS0_12_GLOBAL__N_121bessel_y1_kernel_cudaERNS_18TensorIteratorBaseEENKUlvE_clEvENKUlvE0_clEvEUlfE_NS0_6memory8policies11unroll_baseILi256ESt5arrayIPcLm2EE23TrivialOffsetCalculatorILi1EjESF_NS8_15LoadWithoutCastENS8_16StoreWithoutCastELi4ELi1EEEEEvT0_T1_.num_named_barrier)
	.set _ZN2at6native27unrolled_elementwise_kernelIZZZNS0_12_GLOBAL__N_121bessel_y1_kernel_cudaERNS_18TensorIteratorBaseEENKUlvE_clEvENKUlvE0_clEvEUlfE_St5arrayIPcLm2EELi4E23TrivialOffsetCalculatorILi1EjESC_NS0_6memory15LoadWithoutCastENSD_16StoreWithoutCastEEEviT_T0_T2_T3_T4_T5_.private_seg_size, 0+max(.L_ZN2at6native25elementwise_kernel_helperILb0EZZZNS0_12_GLOBAL__N_121bessel_y1_kernel_cudaERNS_18TensorIteratorBaseEENKUlvE_clEvENKUlvE0_clEvEUlfE_NS0_6memory8policies11unroll_baseILi256ESt5arrayIPcLm2EE23TrivialOffsetCalculatorILi1EjESF_NS8_15LoadWithoutCastENS8_16StoreWithoutCastELi4ELi1EEEEEvT0_T1_.private_seg_size)
	.set _ZN2at6native27unrolled_elementwise_kernelIZZZNS0_12_GLOBAL__N_121bessel_y1_kernel_cudaERNS_18TensorIteratorBaseEENKUlvE_clEvENKUlvE0_clEvEUlfE_St5arrayIPcLm2EELi4E23TrivialOffsetCalculatorILi1EjESC_NS0_6memory15LoadWithoutCastENSD_16StoreWithoutCastEEEviT_T0_T2_T3_T4_T5_.uses_vcc, or(1, .L_ZN2at6native25elementwise_kernel_helperILb0EZZZNS0_12_GLOBAL__N_121bessel_y1_kernel_cudaERNS_18TensorIteratorBaseEENKUlvE_clEvENKUlvE0_clEvEUlfE_NS0_6memory8policies11unroll_baseILi256ESt5arrayIPcLm2EE23TrivialOffsetCalculatorILi1EjESF_NS8_15LoadWithoutCastENS8_16StoreWithoutCastELi4ELi1EEEEEvT0_T1_.uses_vcc)
	.set _ZN2at6native27unrolled_elementwise_kernelIZZZNS0_12_GLOBAL__N_121bessel_y1_kernel_cudaERNS_18TensorIteratorBaseEENKUlvE_clEvENKUlvE0_clEvEUlfE_St5arrayIPcLm2EELi4E23TrivialOffsetCalculatorILi1EjESC_NS0_6memory15LoadWithoutCastENSD_16StoreWithoutCastEEEviT_T0_T2_T3_T4_T5_.uses_flat_scratch, or(0, .L_ZN2at6native25elementwise_kernel_helperILb0EZZZNS0_12_GLOBAL__N_121bessel_y1_kernel_cudaERNS_18TensorIteratorBaseEENKUlvE_clEvENKUlvE0_clEvEUlfE_NS0_6memory8policies11unroll_baseILi256ESt5arrayIPcLm2EE23TrivialOffsetCalculatorILi1EjESF_NS8_15LoadWithoutCastENS8_16StoreWithoutCastELi4ELi1EEEEEvT0_T1_.uses_flat_scratch)
	.set _ZN2at6native27unrolled_elementwise_kernelIZZZNS0_12_GLOBAL__N_121bessel_y1_kernel_cudaERNS_18TensorIteratorBaseEENKUlvE_clEvENKUlvE0_clEvEUlfE_St5arrayIPcLm2EELi4E23TrivialOffsetCalculatorILi1EjESC_NS0_6memory15LoadWithoutCastENSD_16StoreWithoutCastEEEviT_T0_T2_T3_T4_T5_.has_dyn_sized_stack, or(0, .L_ZN2at6native25elementwise_kernel_helperILb0EZZZNS0_12_GLOBAL__N_121bessel_y1_kernel_cudaERNS_18TensorIteratorBaseEENKUlvE_clEvENKUlvE0_clEvEUlfE_NS0_6memory8policies11unroll_baseILi256ESt5arrayIPcLm2EE23TrivialOffsetCalculatorILi1EjESF_NS8_15LoadWithoutCastENS8_16StoreWithoutCastELi4ELi1EEEEEvT0_T1_.has_dyn_sized_stack)
	.set _ZN2at6native27unrolled_elementwise_kernelIZZZNS0_12_GLOBAL__N_121bessel_y1_kernel_cudaERNS_18TensorIteratorBaseEENKUlvE_clEvENKUlvE0_clEvEUlfE_St5arrayIPcLm2EELi4E23TrivialOffsetCalculatorILi1EjESC_NS0_6memory15LoadWithoutCastENSD_16StoreWithoutCastEEEviT_T0_T2_T3_T4_T5_.has_recursion, or(0, .L_ZN2at6native25elementwise_kernel_helperILb0EZZZNS0_12_GLOBAL__N_121bessel_y1_kernel_cudaERNS_18TensorIteratorBaseEENKUlvE_clEvENKUlvE0_clEvEUlfE_NS0_6memory8policies11unroll_baseILi256ESt5arrayIPcLm2EE23TrivialOffsetCalculatorILi1EjESF_NS8_15LoadWithoutCastENS8_16StoreWithoutCastELi4ELi1EEEEEvT0_T1_.has_recursion)
	.set _ZN2at6native27unrolled_elementwise_kernelIZZZNS0_12_GLOBAL__N_121bessel_y1_kernel_cudaERNS_18TensorIteratorBaseEENKUlvE_clEvENKUlvE0_clEvEUlfE_St5arrayIPcLm2EELi4E23TrivialOffsetCalculatorILi1EjESC_NS0_6memory15LoadWithoutCastENSD_16StoreWithoutCastEEEviT_T0_T2_T3_T4_T5_.has_indirect_call, or(0, .L_ZN2at6native25elementwise_kernel_helperILb0EZZZNS0_12_GLOBAL__N_121bessel_y1_kernel_cudaERNS_18TensorIteratorBaseEENKUlvE_clEvENKUlvE0_clEvEUlfE_NS0_6memory8policies11unroll_baseILi256ESt5arrayIPcLm2EE23TrivialOffsetCalculatorILi1EjESF_NS8_15LoadWithoutCastENS8_16StoreWithoutCastELi4ELi1EEEEEvT0_T1_.has_indirect_call)
	.section	.AMDGPU.csdata,"",@progbits
; Kernel info:
; codeLenInByte = 124
; TotalNumSgprs: 35
; NumVgprs: 50
; ScratchSize: 0
; MemoryBound: 0
; FloatMode: 240
; IeeeMode: 1
; LDSByteSize: 0 bytes/workgroup (compile time only)
; SGPRBlocks: 0
; VGPRBlocks: 3
; NumSGPRsForWavesPerEU: 35
; NumVGPRsForWavesPerEU: 50
; NamedBarCnt: 0
; Occupancy: 16
; WaveLimiterHint : 0
; COMPUTE_PGM_RSRC2:SCRATCH_EN: 0
; COMPUTE_PGM_RSRC2:USER_SGPR: 2
; COMPUTE_PGM_RSRC2:TRAP_HANDLER: 0
; COMPUTE_PGM_RSRC2:TGID_X_EN: 1
; COMPUTE_PGM_RSRC2:TGID_Y_EN: 0
; COMPUTE_PGM_RSRC2:TGID_Z_EN: 0
; COMPUTE_PGM_RSRC2:TIDIG_COMP_CNT: 0
	.section	.text._ZN2at6native32elementwise_kernel_manual_unrollILi128ELi4EZNS0_22gpu_kernel_impl_nocastIZZZNS0_12_GLOBAL__N_121bessel_y1_kernel_cudaERNS_18TensorIteratorBaseEENKUlvE_clEvENKUlvE0_clEvEUlfE_EEvS5_RKT_EUlibE_EEviT1_,"axG",@progbits,_ZN2at6native32elementwise_kernel_manual_unrollILi128ELi4EZNS0_22gpu_kernel_impl_nocastIZZZNS0_12_GLOBAL__N_121bessel_y1_kernel_cudaERNS_18TensorIteratorBaseEENKUlvE_clEvENKUlvE0_clEvEUlfE_EEvS5_RKT_EUlibE_EEviT1_,comdat
	.globl	_ZN2at6native32elementwise_kernel_manual_unrollILi128ELi4EZNS0_22gpu_kernel_impl_nocastIZZZNS0_12_GLOBAL__N_121bessel_y1_kernel_cudaERNS_18TensorIteratorBaseEENKUlvE_clEvENKUlvE0_clEvEUlfE_EEvS5_RKT_EUlibE_EEviT1_ ; -- Begin function _ZN2at6native32elementwise_kernel_manual_unrollILi128ELi4EZNS0_22gpu_kernel_impl_nocastIZZZNS0_12_GLOBAL__N_121bessel_y1_kernel_cudaERNS_18TensorIteratorBaseEENKUlvE_clEvENKUlvE0_clEvEUlfE_EEvS5_RKT_EUlibE_EEviT1_
	.p2align	8
	.type	_ZN2at6native32elementwise_kernel_manual_unrollILi128ELi4EZNS0_22gpu_kernel_impl_nocastIZZZNS0_12_GLOBAL__N_121bessel_y1_kernel_cudaERNS_18TensorIteratorBaseEENKUlvE_clEvENKUlvE0_clEvEUlfE_EEvS5_RKT_EUlibE_EEviT1_,@function
_ZN2at6native32elementwise_kernel_manual_unrollILi128ELi4EZNS0_22gpu_kernel_impl_nocastIZZZNS0_12_GLOBAL__N_121bessel_y1_kernel_cudaERNS_18TensorIteratorBaseEENKUlvE_clEvENKUlvE0_clEvEUlfE_EEvS5_RKT_EUlibE_EEviT1_: ; @_ZN2at6native32elementwise_kernel_manual_unrollILi128ELi4EZNS0_22gpu_kernel_impl_nocastIZZZNS0_12_GLOBAL__N_121bessel_y1_kernel_cudaERNS_18TensorIteratorBaseEENKUlvE_clEvENKUlvE0_clEvEUlfE_EEvS5_RKT_EUlibE_EEviT1_
; %bb.0:
	s_clause 0x1
	s_load_b32 s28, s[0:1], 0x8
	s_load_b32 s34, s[0:1], 0x0
	s_bfe_u32 s2, ttmp6, 0x4000c
	s_and_b32 s3, ttmp6, 15
	s_add_co_i32 s2, s2, 1
	s_getreg_b32 s4, hwreg(HW_REG_IB_STS2, 6, 4)
	s_mul_i32 s2, ttmp9, s2
	s_add_nc_u64 s[16:17], s[0:1], 8
	s_add_co_i32 s3, s3, s2
	s_cmp_eq_u32 s4, 0
	s_mov_b32 s19, 0
	s_cselect_b32 s2, ttmp9, s3
	s_wait_xcnt 0x0
	s_mov_b32 s0, exec_lo
	v_lshl_or_b32 v2, s2, 9, v0
	s_delay_alu instid0(VALU_DEP_1) | instskip(SKIP_2) | instid1(SALU_CYCLE_1)
	v_or_b32_e32 v8, 0x180, v2
	s_wait_kmcnt 0x0
	s_add_co_i32 s29, s28, -1
	s_cmp_gt_u32 s29, 1
	s_cselect_b32 s30, -1, 0
	v_cmpx_le_i32_e64 s34, v8
	s_xor_b32 s31, exec_lo, s0
	s_cbranch_execz .LBB19_7
; %bb.1:
	s_clause 0x3
	s_load_b128 s[8:11], s[16:17], 0x4
	s_load_b64 s[2:3], s[16:17], 0x14
	s_load_b128 s[12:15], s[16:17], 0xc4
	s_load_b128 s[4:7], s[16:17], 0x148
	s_cmp_lg_u32 s28, 0
	s_add_nc_u64 s[22:23], s[16:17], 0xc4
	s_cselect_b32 s36, -1, 0
	s_min_u32 s35, s29, 15
	s_cmp_gt_u32 s28, 1
	s_mov_b32 s21, s19
	s_cselect_b32 s33, -1, 0
	s_wait_kmcnt 0x0
	s_mov_b32 s18, s9
	s_mov_b32 s20, s2
	s_mov_b32 s9, exec_lo
	v_cmpx_gt_i32_e64 s34, v2
	s_cbranch_execz .LBB19_14
; %bb.2:
	s_and_not1_b32 vcc_lo, exec_lo, s30
	s_cbranch_vccnz .LBB19_21
; %bb.3:
	s_and_not1_b32 vcc_lo, exec_lo, s36
	s_cbranch_vccnz .LBB19_137
; %bb.4:
	s_add_co_i32 s1, s35, 1
	s_cmp_eq_u32 s29, 2
	s_cbranch_scc1 .LBB19_139
; %bb.5:
	v_dual_mov_b32 v0, 0 :: v_dual_mov_b32 v1, 0
	v_mov_b32_e32 v3, v2
	s_and_b32 s0, s1, 28
	s_mov_b32 s2, 0
	s_mov_b64 s[24:25], s[16:17]
	s_mov_b64 s[26:27], s[22:23]
.LBB19_6:                               ; =>This Inner Loop Header: Depth=1
	s_clause 0x1
	s_load_b256 s[40:47], s[24:25], 0x4
	s_load_b128 s[56:59], s[24:25], 0x24
	s_load_b256 s[48:55], s[26:27], 0x0
	s_add_co_i32 s2, s2, 4
	s_wait_xcnt 0x0
	s_add_nc_u64 s[24:25], s[24:25], 48
	s_cmp_lg_u32 s0, s2
	s_add_nc_u64 s[26:27], s[26:27], 32
	s_wait_kmcnt 0x0
	v_mul_hi_u32 v4, s41, v3
	s_delay_alu instid0(VALU_DEP_1) | instskip(NEXT) | instid1(VALU_DEP_1)
	v_add_nc_u32_e32 v4, v3, v4
	v_lshrrev_b32_e32 v4, s42, v4
	s_delay_alu instid0(VALU_DEP_1) | instskip(NEXT) | instid1(VALU_DEP_1)
	v_mul_hi_u32 v5, s44, v4
	v_add_nc_u32_e32 v5, v4, v5
	s_delay_alu instid0(VALU_DEP_1) | instskip(NEXT) | instid1(VALU_DEP_1)
	v_lshrrev_b32_e32 v5, s45, v5
	v_mul_hi_u32 v6, s47, v5
	s_delay_alu instid0(VALU_DEP_1) | instskip(SKIP_1) | instid1(VALU_DEP_1)
	v_add_nc_u32_e32 v6, v5, v6
	v_mul_lo_u32 v7, v4, s40
	v_sub_nc_u32_e32 v3, v3, v7
	v_mul_lo_u32 v7, v5, s43
	s_delay_alu instid0(VALU_DEP_4) | instskip(NEXT) | instid1(VALU_DEP_3)
	v_lshrrev_b32_e32 v6, s56, v6
	v_mad_u32 v1, v3, s49, v1
	v_mad_u32 v0, v3, s48, v0
	s_delay_alu instid0(VALU_DEP_4) | instskip(NEXT) | instid1(VALU_DEP_4)
	v_sub_nc_u32_e32 v3, v4, v7
	v_mul_hi_u32 v8, s58, v6
	v_mul_lo_u32 v4, v6, s46
	s_delay_alu instid0(VALU_DEP_3) | instskip(SKIP_1) | instid1(VALU_DEP_4)
	v_mad_u32 v1, v3, s51, v1
	v_mad_u32 v0, v3, s50, v0
	v_add_nc_u32_e32 v7, v6, v8
	s_delay_alu instid0(VALU_DEP_1) | instskip(NEXT) | instid1(VALU_DEP_1)
	v_dual_sub_nc_u32 v4, v5, v4 :: v_dual_lshrrev_b32 v3, s59, v7
	v_mad_u32 v1, v4, s53, v1
	s_delay_alu instid0(VALU_DEP_4) | instskip(NEXT) | instid1(VALU_DEP_3)
	v_mad_u32 v0, v4, s52, v0
	v_mul_lo_u32 v5, v3, s57
	s_delay_alu instid0(VALU_DEP_1) | instskip(NEXT) | instid1(VALU_DEP_1)
	v_sub_nc_u32_e32 v4, v6, v5
	v_mad_u32 v1, v4, s55, v1
	s_delay_alu instid0(VALU_DEP_4)
	v_mad_u32 v0, v4, s54, v0
	s_cbranch_scc1 .LBB19_6
	s_branch .LBB19_140
.LBB19_7:
	s_and_not1_saveexec_b32 s0, s31
	s_cbranch_execz .LBB19_197
.LBB19_8:
	v_cndmask_b32_e64 v6, 0, 1, s30
	s_and_not1_b32 vcc_lo, exec_lo, s30
	s_cbranch_vccnz .LBB19_20
; %bb.9:
	s_cmp_lg_u32 s28, 0
	s_mov_b32 s6, 0
	s_cbranch_scc0 .LBB19_23
; %bb.10:
	s_min_u32 s1, s29, 15
	s_delay_alu instid0(SALU_CYCLE_1)
	s_add_co_i32 s1, s1, 1
	s_cmp_eq_u32 s29, 2
	s_cbranch_scc1 .LBB19_24
; %bb.11:
	v_dual_mov_b32 v0, 0 :: v_dual_mov_b32 v1, 0
	v_mov_b32_e32 v3, v2
	s_and_b32 s0, s1, 28
	s_add_nc_u64 s[2:3], s[16:17], 0xc4
	s_mov_b32 s7, 0
	s_mov_b64 s[4:5], s[16:17]
.LBB19_12:                              ; =>This Inner Loop Header: Depth=1
	s_clause 0x1
	s_load_b256 s[8:15], s[4:5], 0x4
	s_load_b128 s[36:39], s[4:5], 0x24
	s_load_b256 s[20:27], s[2:3], 0x0
	s_add_co_i32 s7, s7, 4
	s_wait_xcnt 0x0
	s_add_nc_u64 s[4:5], s[4:5], 48
	s_cmp_lg_u32 s0, s7
	s_add_nc_u64 s[2:3], s[2:3], 32
	s_wait_kmcnt 0x0
	v_mul_hi_u32 v4, s9, v3
	s_delay_alu instid0(VALU_DEP_1) | instskip(NEXT) | instid1(VALU_DEP_1)
	v_add_nc_u32_e32 v4, v3, v4
	v_lshrrev_b32_e32 v4, s10, v4
	s_delay_alu instid0(VALU_DEP_1) | instskip(NEXT) | instid1(VALU_DEP_1)
	v_mul_hi_u32 v5, s12, v4
	v_add_nc_u32_e32 v5, v4, v5
	s_delay_alu instid0(VALU_DEP_1) | instskip(NEXT) | instid1(VALU_DEP_1)
	v_lshrrev_b32_e32 v5, s13, v5
	v_mul_hi_u32 v7, s15, v5
	s_delay_alu instid0(VALU_DEP_1) | instskip(SKIP_1) | instid1(VALU_DEP_2)
	v_add_nc_u32_e32 v7, v5, v7
	v_mul_lo_u32 v9, v4, s8
	v_lshrrev_b32_e32 v7, s36, v7
	s_delay_alu instid0(VALU_DEP_1) | instskip(NEXT) | instid1(VALU_DEP_3)
	v_mul_hi_u32 v10, s38, v7
	v_sub_nc_u32_e32 v3, v3, v9
	v_mul_lo_u32 v9, v5, s11
	s_delay_alu instid0(VALU_DEP_2) | instskip(SKIP_1) | instid1(VALU_DEP_3)
	v_mad_u32 v1, v3, s21, v1
	v_mad_u32 v0, v3, s20, v0
	v_dual_sub_nc_u32 v3, v4, v9 :: v_dual_add_nc_u32 v9, v7, v10
	v_mul_lo_u32 v4, v7, s14
	s_delay_alu instid0(VALU_DEP_2) | instskip(NEXT) | instid1(VALU_DEP_4)
	v_mad_u32 v1, v3, s23, v1
	v_mad_u32 v0, v3, s22, v0
	s_delay_alu instid0(VALU_DEP_3) | instskip(NEXT) | instid1(VALU_DEP_1)
	v_dual_lshrrev_b32 v3, s39, v9 :: v_dual_sub_nc_u32 v4, v5, v4
	v_mul_lo_u32 v5, v3, s37
	s_delay_alu instid0(VALU_DEP_2) | instskip(NEXT) | instid1(VALU_DEP_4)
	v_mad_u32 v1, v4, s25, v1
	v_mad_u32 v0, v4, s24, v0
	s_delay_alu instid0(VALU_DEP_3) | instskip(NEXT) | instid1(VALU_DEP_1)
	v_sub_nc_u32_e32 v4, v7, v5
	v_mad_u32 v1, v4, s27, v1
	s_delay_alu instid0(VALU_DEP_3)
	v_mad_u32 v0, v4, s26, v0
	s_cbranch_scc1 .LBB19_12
; %bb.13:
	s_and_b32 s4, s1, 3
	s_mov_b32 s1, 0
	s_cmp_eq_u32 s4, 0
	s_cbranch_scc0 .LBB19_25
	s_branch .LBB19_27
.LBB19_14:
	s_or_b32 exec_lo, exec_lo, s9
	s_delay_alu instid0(SALU_CYCLE_1)
	s_mov_b32 s9, exec_lo
	v_cmpx_gt_i32_e64 s34, v2
	s_cbranch_execz .LBB19_163
.LBB19_15:
	s_and_not1_b32 vcc_lo, exec_lo, s30
	s_cbranch_vccnz .LBB19_22
; %bb.16:
	s_and_not1_b32 vcc_lo, exec_lo, s36
	s_cbranch_vccnz .LBB19_138
; %bb.17:
	s_add_co_i32 s1, s35, 1
	s_cmp_eq_u32 s29, 2
	s_cbranch_scc1 .LBB19_171
; %bb.18:
	v_dual_mov_b32 v0, 0 :: v_dual_mov_b32 v1, 0
	v_mov_b32_e32 v3, v2
	s_and_b32 s0, s1, 28
	s_mov_b32 s2, 0
	s_mov_b64 s[24:25], s[16:17]
	s_mov_b64 s[26:27], s[22:23]
.LBB19_19:                              ; =>This Inner Loop Header: Depth=1
	s_clause 0x1
	s_load_b256 s[40:47], s[24:25], 0x4
	s_load_b128 s[56:59], s[24:25], 0x24
	s_load_b256 s[48:55], s[26:27], 0x0
	s_add_co_i32 s2, s2, 4
	s_wait_xcnt 0x0
	s_add_nc_u64 s[24:25], s[24:25], 48
	s_cmp_eq_u32 s0, s2
	s_add_nc_u64 s[26:27], s[26:27], 32
	s_wait_kmcnt 0x0
	v_mul_hi_u32 v4, s41, v3
	s_delay_alu instid0(VALU_DEP_1) | instskip(NEXT) | instid1(VALU_DEP_1)
	v_add_nc_u32_e32 v4, v3, v4
	v_lshrrev_b32_e32 v4, s42, v4
	s_delay_alu instid0(VALU_DEP_1) | instskip(NEXT) | instid1(VALU_DEP_1)
	v_mul_hi_u32 v5, s44, v4
	v_add_nc_u32_e32 v5, v4, v5
	s_delay_alu instid0(VALU_DEP_1) | instskip(NEXT) | instid1(VALU_DEP_1)
	v_lshrrev_b32_e32 v5, s45, v5
	v_mul_hi_u32 v6, s47, v5
	s_delay_alu instid0(VALU_DEP_1) | instskip(SKIP_1) | instid1(VALU_DEP_1)
	v_add_nc_u32_e32 v6, v5, v6
	v_mul_lo_u32 v7, v4, s40
	v_sub_nc_u32_e32 v3, v3, v7
	v_mul_lo_u32 v7, v5, s43
	s_delay_alu instid0(VALU_DEP_4) | instskip(NEXT) | instid1(VALU_DEP_3)
	v_lshrrev_b32_e32 v6, s56, v6
	v_mad_u32 v1, v3, s49, v1
	v_mad_u32 v0, v3, s48, v0
	s_delay_alu instid0(VALU_DEP_4) | instskip(NEXT) | instid1(VALU_DEP_4)
	v_sub_nc_u32_e32 v3, v4, v7
	v_mul_hi_u32 v8, s58, v6
	v_mul_lo_u32 v4, v6, s46
	s_delay_alu instid0(VALU_DEP_3) | instskip(SKIP_1) | instid1(VALU_DEP_4)
	v_mad_u32 v1, v3, s51, v1
	v_mad_u32 v0, v3, s50, v0
	v_add_nc_u32_e32 v7, v6, v8
	s_delay_alu instid0(VALU_DEP_1) | instskip(NEXT) | instid1(VALU_DEP_1)
	v_dual_sub_nc_u32 v4, v5, v4 :: v_dual_lshrrev_b32 v3, s59, v7
	v_mad_u32 v1, v4, s53, v1
	s_delay_alu instid0(VALU_DEP_4) | instskip(NEXT) | instid1(VALU_DEP_3)
	v_mad_u32 v0, v4, s52, v0
	v_mul_lo_u32 v5, v3, s57
	s_delay_alu instid0(VALU_DEP_1) | instskip(NEXT) | instid1(VALU_DEP_1)
	v_sub_nc_u32_e32 v4, v6, v5
	v_mad_u32 v1, v4, s55, v1
	s_delay_alu instid0(VALU_DEP_4)
	v_mad_u32 v0, v4, s54, v0
	s_cbranch_scc0 .LBB19_19
	s_branch .LBB19_172
.LBB19_20:
	s_mov_b32 s6, -1
                                        ; implicit-def: $vgpr1
	s_branch .LBB19_27
.LBB19_21:
                                        ; implicit-def: $vgpr1
	s_branch .LBB19_144
.LBB19_22:
                                        ; implicit-def: $vgpr1
	s_branch .LBB19_176
.LBB19_23:
	v_dual_mov_b32 v1, 0 :: v_dual_mov_b32 v0, 0
	s_branch .LBB19_27
.LBB19_24:
	v_mov_b64_e32 v[0:1], 0
	v_mov_b32_e32 v3, v2
	s_mov_b32 s0, 0
	s_and_b32 s4, s1, 3
	s_mov_b32 s1, 0
	s_cmp_eq_u32 s4, 0
	s_cbranch_scc1 .LBB19_27
.LBB19_25:
	s_lshl_b32 s2, s0, 3
	s_mov_b32 s3, s1
	s_mul_u64 s[8:9], s[0:1], 12
	s_add_nc_u64 s[2:3], s[16:17], s[2:3]
	s_delay_alu instid0(SALU_CYCLE_1)
	s_add_nc_u64 s[0:1], s[2:3], 0xc4
	s_add_nc_u64 s[2:3], s[16:17], s[8:9]
.LBB19_26:                              ; =>This Inner Loop Header: Depth=1
	s_load_b96 s[8:10], s[2:3], 0x4
	s_add_co_i32 s4, s4, -1
	s_wait_xcnt 0x0
	s_add_nc_u64 s[2:3], s[2:3], 12
	s_cmp_lg_u32 s4, 0
	s_wait_kmcnt 0x0
	v_mul_hi_u32 v4, s9, v3
	s_delay_alu instid0(VALU_DEP_1) | instskip(NEXT) | instid1(VALU_DEP_1)
	v_add_nc_u32_e32 v4, v3, v4
	v_lshrrev_b32_e32 v4, s10, v4
	s_load_b64 s[10:11], s[0:1], 0x0
	s_wait_xcnt 0x0
	s_add_nc_u64 s[0:1], s[0:1], 8
	s_delay_alu instid0(VALU_DEP_1) | instskip(NEXT) | instid1(VALU_DEP_1)
	v_mul_lo_u32 v5, v4, s8
	v_sub_nc_u32_e32 v3, v3, v5
	s_wait_kmcnt 0x0
	s_delay_alu instid0(VALU_DEP_1)
	v_mad_u32 v1, v3, s11, v1
	v_mad_u32 v0, v3, s10, v0
	v_mov_b32_e32 v3, v4
	s_cbranch_scc1 .LBB19_26
.LBB19_27:
	s_and_not1_b32 vcc_lo, exec_lo, s6
	s_cbranch_vccnz .LBB19_30
; %bb.28:
	s_clause 0x1
	s_load_b96 s[0:2], s[16:17], 0x4
	s_load_b64 s[4:5], s[16:17], 0xc4
	s_cmp_lt_u32 s28, 2
	s_wait_kmcnt 0x0
	v_mul_hi_u32 v0, s1, v2
	s_delay_alu instid0(VALU_DEP_1) | instskip(NEXT) | instid1(VALU_DEP_1)
	v_add_nc_u32_e32 v0, v2, v0
	v_lshrrev_b32_e32 v3, s2, v0
	s_delay_alu instid0(VALU_DEP_1) | instskip(NEXT) | instid1(VALU_DEP_1)
	v_mul_lo_u32 v0, v3, s0
	v_sub_nc_u32_e32 v0, v2, v0
	s_delay_alu instid0(VALU_DEP_1)
	v_mul_lo_u32 v1, v0, s5
	v_mul_lo_u32 v0, v0, s4
	s_cbranch_scc1 .LBB19_30
; %bb.29:
	s_clause 0x1
	s_load_b96 s[0:2], s[16:17], 0x10
	s_load_b64 s[4:5], s[16:17], 0xcc
	s_wait_kmcnt 0x0
	v_mul_hi_u32 v4, s1, v3
	s_delay_alu instid0(VALU_DEP_1) | instskip(NEXT) | instid1(VALU_DEP_1)
	v_add_nc_u32_e32 v4, v3, v4
	v_lshrrev_b32_e32 v4, s2, v4
	s_delay_alu instid0(VALU_DEP_1) | instskip(NEXT) | instid1(VALU_DEP_1)
	v_mul_lo_u32 v4, v4, s0
	v_sub_nc_u32_e32 v3, v3, v4
	s_delay_alu instid0(VALU_DEP_1)
	v_mad_u32 v0, v3, s4, v0
	v_mad_u32 v1, v3, s5, v1
.LBB19_30:
	v_cmp_ne_u32_e32 vcc_lo, 1, v6
	v_add_nc_u32_e32 v3, 0x80, v2
	s_cbranch_vccnz .LBB19_36
; %bb.31:
	s_cmp_lg_u32 s28, 0
	s_mov_b32 s6, 0
	s_cbranch_scc0 .LBB19_37
; %bb.32:
	s_min_u32 s1, s29, 15
	s_delay_alu instid0(SALU_CYCLE_1)
	s_add_co_i32 s1, s1, 1
	s_cmp_eq_u32 s29, 2
	s_cbranch_scc1 .LBB19_38
; %bb.33:
	v_dual_mov_b32 v4, 0 :: v_dual_mov_b32 v5, 0
	v_mov_b32_e32 v7, v3
	s_and_b32 s0, s1, 28
	s_add_nc_u64 s[2:3], s[16:17], 0xc4
	s_mov_b32 s7, 0
	s_mov_b64 s[4:5], s[16:17]
.LBB19_34:                              ; =>This Inner Loop Header: Depth=1
	s_clause 0x1
	s_load_b256 s[8:15], s[4:5], 0x4
	s_load_b128 s[36:39], s[4:5], 0x24
	s_load_b256 s[20:27], s[2:3], 0x0
	s_add_co_i32 s7, s7, 4
	s_wait_xcnt 0x0
	s_add_nc_u64 s[4:5], s[4:5], 48
	s_cmp_lg_u32 s0, s7
	s_add_nc_u64 s[2:3], s[2:3], 32
	s_wait_kmcnt 0x0
	v_mul_hi_u32 v9, s9, v7
	s_delay_alu instid0(VALU_DEP_1) | instskip(NEXT) | instid1(VALU_DEP_1)
	v_add_nc_u32_e32 v9, v7, v9
	v_lshrrev_b32_e32 v9, s10, v9
	s_delay_alu instid0(VALU_DEP_1) | instskip(NEXT) | instid1(VALU_DEP_1)
	v_mul_hi_u32 v10, s12, v9
	v_add_nc_u32_e32 v10, v9, v10
	s_delay_alu instid0(VALU_DEP_1) | instskip(NEXT) | instid1(VALU_DEP_1)
	v_lshrrev_b32_e32 v10, s13, v10
	v_mul_hi_u32 v11, s15, v10
	s_delay_alu instid0(VALU_DEP_1) | instskip(SKIP_1) | instid1(VALU_DEP_1)
	v_add_nc_u32_e32 v11, v10, v11
	v_mul_lo_u32 v12, v9, s8
	v_sub_nc_u32_e32 v7, v7, v12
	v_mul_lo_u32 v12, v10, s11
	s_delay_alu instid0(VALU_DEP_4) | instskip(NEXT) | instid1(VALU_DEP_3)
	v_lshrrev_b32_e32 v11, s36, v11
	v_mad_u32 v5, v7, s21, v5
	v_mad_u32 v4, v7, s20, v4
	s_delay_alu instid0(VALU_DEP_4) | instskip(NEXT) | instid1(VALU_DEP_4)
	v_sub_nc_u32_e32 v7, v9, v12
	v_mul_hi_u32 v13, s38, v11
	v_mul_lo_u32 v9, v11, s14
	s_delay_alu instid0(VALU_DEP_3) | instskip(SKIP_1) | instid1(VALU_DEP_4)
	v_mad_u32 v5, v7, s23, v5
	v_mad_u32 v4, v7, s22, v4
	v_add_nc_u32_e32 v12, v11, v13
	s_delay_alu instid0(VALU_DEP_1) | instskip(NEXT) | instid1(VALU_DEP_1)
	v_dual_sub_nc_u32 v9, v10, v9 :: v_dual_lshrrev_b32 v7, s39, v12
	v_mad_u32 v5, v9, s25, v5
	s_delay_alu instid0(VALU_DEP_4) | instskip(NEXT) | instid1(VALU_DEP_3)
	v_mad_u32 v4, v9, s24, v4
	v_mul_lo_u32 v10, v7, s37
	s_delay_alu instid0(VALU_DEP_1) | instskip(NEXT) | instid1(VALU_DEP_1)
	v_sub_nc_u32_e32 v9, v11, v10
	v_mad_u32 v5, v9, s27, v5
	s_delay_alu instid0(VALU_DEP_4)
	v_mad_u32 v4, v9, s26, v4
	s_cbranch_scc1 .LBB19_34
; %bb.35:
	s_and_b32 s4, s1, 3
	s_mov_b32 s1, 0
	s_cmp_eq_u32 s4, 0
	s_cbranch_scc0 .LBB19_39
	s_branch .LBB19_41
.LBB19_36:
	s_mov_b32 s6, -1
                                        ; implicit-def: $vgpr5
	s_branch .LBB19_41
.LBB19_37:
	v_dual_mov_b32 v5, 0 :: v_dual_mov_b32 v4, 0
	s_branch .LBB19_41
.LBB19_38:
	v_mov_b64_e32 v[4:5], 0
	v_mov_b32_e32 v7, v3
	s_mov_b32 s0, 0
	s_and_b32 s4, s1, 3
	s_mov_b32 s1, 0
	s_cmp_eq_u32 s4, 0
	s_cbranch_scc1 .LBB19_41
.LBB19_39:
	s_lshl_b32 s2, s0, 3
	s_mov_b32 s3, s1
	s_mul_u64 s[8:9], s[0:1], 12
	s_add_nc_u64 s[2:3], s[16:17], s[2:3]
	s_delay_alu instid0(SALU_CYCLE_1)
	s_add_nc_u64 s[0:1], s[2:3], 0xc4
	s_add_nc_u64 s[2:3], s[16:17], s[8:9]
.LBB19_40:                              ; =>This Inner Loop Header: Depth=1
	s_load_b96 s[8:10], s[2:3], 0x4
	s_add_co_i32 s4, s4, -1
	s_wait_xcnt 0x0
	s_add_nc_u64 s[2:3], s[2:3], 12
	s_cmp_lg_u32 s4, 0
	s_wait_kmcnt 0x0
	v_mul_hi_u32 v9, s9, v7
	s_delay_alu instid0(VALU_DEP_1) | instskip(NEXT) | instid1(VALU_DEP_1)
	v_add_nc_u32_e32 v9, v7, v9
	v_lshrrev_b32_e32 v9, s10, v9
	s_load_b64 s[10:11], s[0:1], 0x0
	s_wait_xcnt 0x0
	s_add_nc_u64 s[0:1], s[0:1], 8
	s_delay_alu instid0(VALU_DEP_1) | instskip(NEXT) | instid1(VALU_DEP_1)
	v_mul_lo_u32 v10, v9, s8
	v_sub_nc_u32_e32 v7, v7, v10
	s_wait_kmcnt 0x0
	s_delay_alu instid0(VALU_DEP_1)
	v_mad_u32 v5, v7, s11, v5
	v_mad_u32 v4, v7, s10, v4
	v_mov_b32_e32 v7, v9
	s_cbranch_scc1 .LBB19_40
.LBB19_41:
	s_and_not1_b32 vcc_lo, exec_lo, s6
	s_cbranch_vccnz .LBB19_44
; %bb.42:
	s_clause 0x1
	s_load_b96 s[0:2], s[16:17], 0x4
	s_load_b64 s[4:5], s[16:17], 0xc4
	s_cmp_lt_u32 s28, 2
	s_wait_kmcnt 0x0
	v_mul_hi_u32 v4, s1, v3
	s_delay_alu instid0(VALU_DEP_1) | instskip(NEXT) | instid1(VALU_DEP_1)
	v_add_nc_u32_e32 v4, v3, v4
	v_lshrrev_b32_e32 v7, s2, v4
	s_delay_alu instid0(VALU_DEP_1) | instskip(NEXT) | instid1(VALU_DEP_1)
	v_mul_lo_u32 v4, v7, s0
	v_sub_nc_u32_e32 v3, v3, v4
	s_delay_alu instid0(VALU_DEP_1)
	v_mul_lo_u32 v5, v3, s5
	v_mul_lo_u32 v4, v3, s4
	s_cbranch_scc1 .LBB19_44
; %bb.43:
	s_clause 0x1
	s_load_b96 s[0:2], s[16:17], 0x10
	s_load_b64 s[4:5], s[16:17], 0xcc
	s_wait_kmcnt 0x0
	v_mul_hi_u32 v3, s1, v7
	s_delay_alu instid0(VALU_DEP_1) | instskip(NEXT) | instid1(VALU_DEP_1)
	v_add_nc_u32_e32 v3, v7, v3
	v_lshrrev_b32_e32 v3, s2, v3
	s_delay_alu instid0(VALU_DEP_1) | instskip(NEXT) | instid1(VALU_DEP_1)
	v_mul_lo_u32 v3, v3, s0
	v_sub_nc_u32_e32 v3, v7, v3
	s_delay_alu instid0(VALU_DEP_1)
	v_mad_u32 v4, v3, s4, v4
	v_mad_u32 v5, v3, s5, v5
.LBB19_44:
	v_cmp_ne_u32_e32 vcc_lo, 1, v6
	v_add_nc_u32_e32 v7, 0x100, v2
	s_cbranch_vccnz .LBB19_50
; %bb.45:
	s_cmp_lg_u32 s28, 0
	s_mov_b32 s6, 0
	s_cbranch_scc0 .LBB19_51
; %bb.46:
	s_min_u32 s1, s29, 15
	s_delay_alu instid0(SALU_CYCLE_1)
	s_add_co_i32 s1, s1, 1
	s_cmp_eq_u32 s29, 2
	s_cbranch_scc1 .LBB19_52
; %bb.47:
	v_dual_mov_b32 v2, 0 :: v_dual_mov_b32 v3, 0
	v_mov_b32_e32 v9, v7
	s_and_b32 s0, s1, 28
	s_add_nc_u64 s[2:3], s[16:17], 0xc4
	s_mov_b32 s7, 0
	s_mov_b64 s[4:5], s[16:17]
.LBB19_48:                              ; =>This Inner Loop Header: Depth=1
	s_clause 0x1
	s_load_b256 s[8:15], s[4:5], 0x4
	s_load_b128 s[36:39], s[4:5], 0x24
	s_load_b256 s[20:27], s[2:3], 0x0
	s_add_co_i32 s7, s7, 4
	s_wait_xcnt 0x0
	s_add_nc_u64 s[4:5], s[4:5], 48
	s_cmp_lg_u32 s0, s7
	s_add_nc_u64 s[2:3], s[2:3], 32
	s_wait_kmcnt 0x0
	v_mul_hi_u32 v10, s9, v9
	s_delay_alu instid0(VALU_DEP_1) | instskip(NEXT) | instid1(VALU_DEP_1)
	v_add_nc_u32_e32 v10, v9, v10
	v_lshrrev_b32_e32 v10, s10, v10
	s_delay_alu instid0(VALU_DEP_1) | instskip(NEXT) | instid1(VALU_DEP_1)
	v_mul_hi_u32 v11, s12, v10
	v_add_nc_u32_e32 v11, v10, v11
	s_delay_alu instid0(VALU_DEP_1) | instskip(NEXT) | instid1(VALU_DEP_1)
	v_lshrrev_b32_e32 v11, s13, v11
	v_mul_hi_u32 v12, s15, v11
	s_delay_alu instid0(VALU_DEP_1) | instskip(SKIP_1) | instid1(VALU_DEP_1)
	v_add_nc_u32_e32 v12, v11, v12
	v_mul_lo_u32 v13, v10, s8
	v_sub_nc_u32_e32 v9, v9, v13
	v_mul_lo_u32 v13, v11, s11
	s_delay_alu instid0(VALU_DEP_4) | instskip(NEXT) | instid1(VALU_DEP_3)
	v_lshrrev_b32_e32 v12, s36, v12
	v_mad_u32 v3, v9, s21, v3
	v_mad_u32 v2, v9, s20, v2
	s_delay_alu instid0(VALU_DEP_4) | instskip(NEXT) | instid1(VALU_DEP_4)
	v_sub_nc_u32_e32 v9, v10, v13
	v_mul_hi_u32 v14, s38, v12
	v_mul_lo_u32 v10, v12, s14
	s_delay_alu instid0(VALU_DEP_3) | instskip(SKIP_1) | instid1(VALU_DEP_4)
	v_mad_u32 v3, v9, s23, v3
	v_mad_u32 v2, v9, s22, v2
	v_add_nc_u32_e32 v13, v12, v14
	s_delay_alu instid0(VALU_DEP_1) | instskip(NEXT) | instid1(VALU_DEP_1)
	v_dual_sub_nc_u32 v10, v11, v10 :: v_dual_lshrrev_b32 v9, s39, v13
	v_mad_u32 v3, v10, s25, v3
	s_delay_alu instid0(VALU_DEP_4) | instskip(NEXT) | instid1(VALU_DEP_3)
	v_mad_u32 v2, v10, s24, v2
	v_mul_lo_u32 v11, v9, s37
	s_delay_alu instid0(VALU_DEP_1) | instskip(NEXT) | instid1(VALU_DEP_1)
	v_sub_nc_u32_e32 v10, v12, v11
	v_mad_u32 v3, v10, s27, v3
	s_delay_alu instid0(VALU_DEP_4)
	v_mad_u32 v2, v10, s26, v2
	s_cbranch_scc1 .LBB19_48
; %bb.49:
	s_and_b32 s4, s1, 3
	s_mov_b32 s1, 0
	s_cmp_eq_u32 s4, 0
	s_cbranch_scc0 .LBB19_53
	s_branch .LBB19_55
.LBB19_50:
	s_mov_b32 s6, -1
                                        ; implicit-def: $vgpr3
	s_branch .LBB19_55
.LBB19_51:
	v_dual_mov_b32 v3, 0 :: v_dual_mov_b32 v2, 0
	s_branch .LBB19_55
.LBB19_52:
	v_mov_b64_e32 v[2:3], 0
	v_mov_b32_e32 v9, v7
	s_mov_b32 s0, 0
	s_and_b32 s4, s1, 3
	s_mov_b32 s1, 0
	s_cmp_eq_u32 s4, 0
	s_cbranch_scc1 .LBB19_55
.LBB19_53:
	s_lshl_b32 s2, s0, 3
	s_mov_b32 s3, s1
	s_mul_u64 s[8:9], s[0:1], 12
	s_add_nc_u64 s[2:3], s[16:17], s[2:3]
	s_delay_alu instid0(SALU_CYCLE_1)
	s_add_nc_u64 s[0:1], s[2:3], 0xc4
	s_add_nc_u64 s[2:3], s[16:17], s[8:9]
.LBB19_54:                              ; =>This Inner Loop Header: Depth=1
	s_load_b96 s[8:10], s[2:3], 0x4
	s_add_co_i32 s4, s4, -1
	s_wait_xcnt 0x0
	s_add_nc_u64 s[2:3], s[2:3], 12
	s_cmp_lg_u32 s4, 0
	s_wait_kmcnt 0x0
	v_mul_hi_u32 v10, s9, v9
	s_delay_alu instid0(VALU_DEP_1) | instskip(NEXT) | instid1(VALU_DEP_1)
	v_add_nc_u32_e32 v10, v9, v10
	v_lshrrev_b32_e32 v10, s10, v10
	s_load_b64 s[10:11], s[0:1], 0x0
	s_wait_xcnt 0x0
	s_add_nc_u64 s[0:1], s[0:1], 8
	s_delay_alu instid0(VALU_DEP_1) | instskip(NEXT) | instid1(VALU_DEP_1)
	v_mul_lo_u32 v11, v10, s8
	v_sub_nc_u32_e32 v9, v9, v11
	s_wait_kmcnt 0x0
	s_delay_alu instid0(VALU_DEP_1)
	v_mad_u32 v3, v9, s11, v3
	v_mad_u32 v2, v9, s10, v2
	v_mov_b32_e32 v9, v10
	s_cbranch_scc1 .LBB19_54
.LBB19_55:
	s_and_not1_b32 vcc_lo, exec_lo, s6
	s_cbranch_vccnz .LBB19_58
; %bb.56:
	s_clause 0x1
	s_load_b96 s[0:2], s[16:17], 0x4
	s_load_b64 s[4:5], s[16:17], 0xc4
	s_cmp_lt_u32 s28, 2
	s_wait_kmcnt 0x0
	v_mul_hi_u32 v2, s1, v7
	s_delay_alu instid0(VALU_DEP_1) | instskip(NEXT) | instid1(VALU_DEP_1)
	v_add_nc_u32_e32 v2, v7, v2
	v_lshrrev_b32_e32 v9, s2, v2
	s_delay_alu instid0(VALU_DEP_1) | instskip(NEXT) | instid1(VALU_DEP_1)
	v_mul_lo_u32 v2, v9, s0
	v_sub_nc_u32_e32 v2, v7, v2
	s_delay_alu instid0(VALU_DEP_1)
	v_mul_lo_u32 v3, v2, s5
	v_mul_lo_u32 v2, v2, s4
	s_cbranch_scc1 .LBB19_58
; %bb.57:
	s_clause 0x1
	s_load_b96 s[0:2], s[16:17], 0x10
	s_load_b64 s[4:5], s[16:17], 0xcc
	s_wait_kmcnt 0x0
	v_mul_hi_u32 v7, s1, v9
	s_delay_alu instid0(VALU_DEP_1) | instskip(NEXT) | instid1(VALU_DEP_1)
	v_add_nc_u32_e32 v7, v9, v7
	v_lshrrev_b32_e32 v7, s2, v7
	s_delay_alu instid0(VALU_DEP_1) | instskip(NEXT) | instid1(VALU_DEP_1)
	v_mul_lo_u32 v7, v7, s0
	v_sub_nc_u32_e32 v7, v9, v7
	s_delay_alu instid0(VALU_DEP_1)
	v_mad_u32 v2, v7, s4, v2
	v_mad_u32 v3, v7, s5, v3
.LBB19_58:
	v_cmp_ne_u32_e32 vcc_lo, 1, v6
	s_cbranch_vccnz .LBB19_64
; %bb.59:
	s_cmp_lg_u32 s28, 0
	s_mov_b32 s6, 0
	s_cbranch_scc0 .LBB19_65
; %bb.60:
	s_min_u32 s1, s29, 15
	s_delay_alu instid0(SALU_CYCLE_1)
	s_add_co_i32 s1, s1, 1
	s_cmp_eq_u32 s29, 2
	s_cbranch_scc1 .LBB19_66
; %bb.61:
	v_dual_mov_b32 v6, 0 :: v_dual_mov_b32 v7, 0
	v_mov_b32_e32 v9, v8
	s_and_b32 s0, s1, 28
	s_add_nc_u64 s[2:3], s[16:17], 0xc4
	s_mov_b32 s7, 0
	s_mov_b64 s[4:5], s[16:17]
.LBB19_62:                              ; =>This Inner Loop Header: Depth=1
	s_clause 0x1
	s_load_b256 s[8:15], s[4:5], 0x4
	s_load_b128 s[36:39], s[4:5], 0x24
	s_load_b256 s[20:27], s[2:3], 0x0
	s_add_co_i32 s7, s7, 4
	s_wait_xcnt 0x0
	s_add_nc_u64 s[4:5], s[4:5], 48
	s_cmp_lg_u32 s0, s7
	s_add_nc_u64 s[2:3], s[2:3], 32
	s_wait_kmcnt 0x0
	v_mul_hi_u32 v10, s9, v9
	s_delay_alu instid0(VALU_DEP_1) | instskip(NEXT) | instid1(VALU_DEP_1)
	v_add_nc_u32_e32 v10, v9, v10
	v_lshrrev_b32_e32 v10, s10, v10
	s_delay_alu instid0(VALU_DEP_1) | instskip(NEXT) | instid1(VALU_DEP_1)
	v_mul_hi_u32 v11, s12, v10
	v_add_nc_u32_e32 v11, v10, v11
	s_delay_alu instid0(VALU_DEP_1) | instskip(NEXT) | instid1(VALU_DEP_1)
	v_lshrrev_b32_e32 v11, s13, v11
	v_mul_hi_u32 v12, s15, v11
	s_delay_alu instid0(VALU_DEP_1) | instskip(SKIP_1) | instid1(VALU_DEP_1)
	v_add_nc_u32_e32 v12, v11, v12
	v_mul_lo_u32 v13, v10, s8
	v_sub_nc_u32_e32 v9, v9, v13
	v_mul_lo_u32 v13, v11, s11
	s_delay_alu instid0(VALU_DEP_4) | instskip(NEXT) | instid1(VALU_DEP_3)
	v_lshrrev_b32_e32 v12, s36, v12
	v_mad_u32 v7, v9, s21, v7
	v_mad_u32 v6, v9, s20, v6
	s_delay_alu instid0(VALU_DEP_4) | instskip(NEXT) | instid1(VALU_DEP_4)
	v_sub_nc_u32_e32 v9, v10, v13
	v_mul_hi_u32 v14, s38, v12
	v_mul_lo_u32 v10, v12, s14
	s_delay_alu instid0(VALU_DEP_3) | instskip(SKIP_1) | instid1(VALU_DEP_4)
	v_mad_u32 v7, v9, s23, v7
	v_mad_u32 v6, v9, s22, v6
	v_add_nc_u32_e32 v13, v12, v14
	s_delay_alu instid0(VALU_DEP_1) | instskip(NEXT) | instid1(VALU_DEP_1)
	v_dual_sub_nc_u32 v10, v11, v10 :: v_dual_lshrrev_b32 v9, s39, v13
	v_mad_u32 v7, v10, s25, v7
	s_delay_alu instid0(VALU_DEP_4) | instskip(NEXT) | instid1(VALU_DEP_3)
	v_mad_u32 v6, v10, s24, v6
	v_mul_lo_u32 v11, v9, s37
	s_delay_alu instid0(VALU_DEP_1) | instskip(NEXT) | instid1(VALU_DEP_1)
	v_sub_nc_u32_e32 v10, v12, v11
	v_mad_u32 v7, v10, s27, v7
	s_delay_alu instid0(VALU_DEP_4)
	v_mad_u32 v6, v10, s26, v6
	s_cbranch_scc1 .LBB19_62
; %bb.63:
	s_and_b32 s4, s1, 3
	s_mov_b32 s1, 0
	s_cmp_eq_u32 s4, 0
	s_cbranch_scc0 .LBB19_67
	s_branch .LBB19_69
.LBB19_64:
	s_mov_b32 s6, -1
                                        ; implicit-def: $vgpr7
	s_branch .LBB19_69
.LBB19_65:
	v_dual_mov_b32 v7, 0 :: v_dual_mov_b32 v6, 0
	s_branch .LBB19_69
.LBB19_66:
	v_mov_b64_e32 v[6:7], 0
	v_mov_b32_e32 v9, v8
	s_mov_b32 s0, 0
	s_and_b32 s4, s1, 3
	s_mov_b32 s1, 0
	s_cmp_eq_u32 s4, 0
	s_cbranch_scc1 .LBB19_69
.LBB19_67:
	s_lshl_b32 s2, s0, 3
	s_mov_b32 s3, s1
	s_mul_u64 s[8:9], s[0:1], 12
	s_add_nc_u64 s[2:3], s[16:17], s[2:3]
	s_delay_alu instid0(SALU_CYCLE_1)
	s_add_nc_u64 s[0:1], s[2:3], 0xc4
	s_add_nc_u64 s[2:3], s[16:17], s[8:9]
.LBB19_68:                              ; =>This Inner Loop Header: Depth=1
	s_load_b96 s[8:10], s[2:3], 0x4
	s_add_co_i32 s4, s4, -1
	s_wait_xcnt 0x0
	s_add_nc_u64 s[2:3], s[2:3], 12
	s_cmp_lg_u32 s4, 0
	s_wait_kmcnt 0x0
	v_mul_hi_u32 v10, s9, v9
	s_delay_alu instid0(VALU_DEP_1) | instskip(NEXT) | instid1(VALU_DEP_1)
	v_add_nc_u32_e32 v10, v9, v10
	v_lshrrev_b32_e32 v10, s10, v10
	s_load_b64 s[10:11], s[0:1], 0x0
	s_wait_xcnt 0x0
	s_add_nc_u64 s[0:1], s[0:1], 8
	s_delay_alu instid0(VALU_DEP_1) | instskip(NEXT) | instid1(VALU_DEP_1)
	v_mul_lo_u32 v11, v10, s8
	v_sub_nc_u32_e32 v9, v9, v11
	s_wait_kmcnt 0x0
	s_delay_alu instid0(VALU_DEP_1)
	v_mad_u32 v7, v9, s11, v7
	v_mad_u32 v6, v9, s10, v6
	v_mov_b32_e32 v9, v10
	s_cbranch_scc1 .LBB19_68
.LBB19_69:
	s_and_not1_b32 vcc_lo, exec_lo, s6
	s_cbranch_vccnz .LBB19_72
; %bb.70:
	s_clause 0x1
	s_load_b96 s[0:2], s[16:17], 0x4
	s_load_b64 s[4:5], s[16:17], 0xc4
	s_cmp_lt_u32 s28, 2
	s_wait_kmcnt 0x0
	v_mul_hi_u32 v6, s1, v8
	s_delay_alu instid0(VALU_DEP_1) | instskip(NEXT) | instid1(VALU_DEP_1)
	v_add_nc_u32_e32 v6, v8, v6
	v_lshrrev_b32_e32 v9, s2, v6
	s_delay_alu instid0(VALU_DEP_1) | instskip(NEXT) | instid1(VALU_DEP_1)
	v_mul_lo_u32 v6, v9, s0
	v_sub_nc_u32_e32 v6, v8, v6
	s_delay_alu instid0(VALU_DEP_1)
	v_mul_lo_u32 v7, v6, s5
	v_mul_lo_u32 v6, v6, s4
	s_cbranch_scc1 .LBB19_72
; %bb.71:
	s_clause 0x1
	s_load_b96 s[0:2], s[16:17], 0x10
	s_load_b64 s[4:5], s[16:17], 0xcc
	s_wait_kmcnt 0x0
	v_mul_hi_u32 v8, s1, v9
	s_delay_alu instid0(VALU_DEP_1) | instskip(NEXT) | instid1(VALU_DEP_1)
	v_add_nc_u32_e32 v8, v9, v8
	v_lshrrev_b32_e32 v8, s2, v8
	s_delay_alu instid0(VALU_DEP_1) | instskip(NEXT) | instid1(VALU_DEP_1)
	v_mul_lo_u32 v8, v8, s0
	v_sub_nc_u32_e32 v8, v9, v8
	s_delay_alu instid0(VALU_DEP_1)
	v_mad_u32 v6, v8, s4, v6
	v_mad_u32 v7, v8, s5, v7
.LBB19_72:
	s_load_b128 s[4:7], s[16:17], 0x148
	s_mov_b32 s0, exec_lo
	s_wait_kmcnt 0x0
	global_load_b32 v8, v1, s[6:7]
                                        ; implicit-def: $vgpr1
	s_wait_loadcnt 0x0
	v_cmpx_ge_f32_e32 0x40a00000, v8
	s_xor_b32 s3, exec_lo, s0
	s_cbranch_execz .LBB19_78
; %bb.73:
	v_mov_b32_e32 v1, 0xff800000
	s_mov_b32 s8, exec_lo
	v_cmpx_neq_f32_e32 0, v8
	s_cbranch_execz .LBB19_77
; %bb.74:
	v_mov_b32_e32 v1, 0x7fc00000
	s_mov_b32 s9, exec_lo
	v_cmpx_nge_f32_e32 0, v8
	s_cbranch_execz .LBB19_76
; %bb.75:
	v_mul_f32_e32 v10, v8, v8
	v_mov_b64_e32 v[12:13], 0x4c8c277d4e9695f3
	v_mov_b64_e32 v[16:17], 0x508bc61dd316b96b
	;; [unrolled: 1-line block ×4, first 2 shown]
	v_dual_fmaak_f32 v1, 0, v10, 0x4414934d :: v_dual_mul_f32 v14, 0, v10
	v_fmaak_f32 v9, 0, v10, 0x441b3589
	v_mov_b64_e32 v[22:23], 0x5832585252d295d0
	v_cmp_gt_f32_e64 s0, 0x800000, v8
	s_delay_alu instid0(VALU_DEP_4) | instskip(SKIP_2) | instid1(VALU_DEP_3)
	v_fmaak_f32 v1, v10, v1, 0x48660b06
	v_div_scale_f32 v27, s2, -1.0, v8, -1.0
	v_fmaak_f32 v9, v10, v9, 0x487af6d0
	v_mul_f32_e32 v15, v10, v1
	s_delay_alu instid0(VALU_DEP_2) | instskip(NEXT) | instid1(VALU_DEP_2)
	v_fmaak_f32 v1, v10, v9, 0x4c9f4aa7
	v_pk_add_f32 v[12:13], v[14:15], v[12:13]
	s_delay_alu instid0(VALU_DEP_2) | instskip(NEXT) | instid1(VALU_DEP_2)
	v_fmaak_f32 v1, v10, v1, 0x50a509fc
	v_pk_fma_f32 v[12:13], v[10:11], v[12:13], v[16:17] op_sel_hi:[0,1,1]
	v_mov_b64_e32 v[16:17], 0x580d1937d9e700d2
	s_delay_alu instid0(VALU_DEP_3) | instskip(NEXT) | instid1(VALU_DEP_3)
	v_mul_f32_e32 v15, v10, v1
	v_pk_fma_f32 v[12:13], v[10:11], v[12:13], v[18:19] op_sel_hi:[0,1,1]
	v_mov_b64_e32 v[18:19], 0x5b741f1e5c33cd68
	s_delay_alu instid0(VALU_DEP_3) | instskip(SKIP_1) | instid1(VALU_DEP_4)
	v_pk_add_f32 v[14:15], v[14:15], v[20:21]
	v_mov_b64_e32 v[20:21], 0x5b9f0600d6845497
	v_pk_fma_f32 v[12:13], v[10:11], v[12:13], v[16:17] op_sel_hi:[0,1,1]
	v_mov_b64_e32 v[16:17], 0x5e5c878ddd2cf20b
	s_delay_alu instid0(VALU_DEP_4) | instskip(SKIP_1) | instid1(VALU_DEP_4)
	v_pk_fma_f32 v[14:15], v[10:11], v[14:15], v[22:23] op_sel_hi:[0,1,1]
	v_mov_b64_e32 v[22:23], 0x5e93bcac59515a15
	v_pk_fma_f32 v[12:13], v[10:11], v[12:13], v[18:19] op_sel_hi:[0,1,1]
	v_div_scale_f32 v18, null, v8, v8, -1.0
	s_delay_alu instid0(VALU_DEP_4) | instskip(NEXT) | instid1(VALU_DEP_3)
	v_pk_fma_f32 v[14:15], v[10:11], v[14:15], v[20:21] op_sel_hi:[0,1,1]
	v_pk_fma_f32 v[12:13], v[10:11], v[12:13], v[16:17] op_sel_hi:[0,1,1]
	s_delay_alu instid0(VALU_DEP_2) | instskip(SKIP_1) | instid1(VALU_DEP_3)
	v_pk_fma_f32 v[14:15], v[10:11], v[14:15], v[22:23] op_sel_hi:[0,1,1]
	v_cndmask_b32_e64 v11, 0, 32, s0
	v_div_scale_f32 v1, null, v13, v13, v12
	v_div_scale_f32 v21, vcc_lo, v12, v13, v12
	s_delay_alu instid0(VALU_DEP_4) | instskip(NEXT) | instid1(VALU_DEP_3)
	v_div_scale_f32 v9, null, v15, v15, v14
	v_rcp_f32_e32 v16, v1
	v_ldexp_f32 v11, v8, v11
	v_div_scale_f32 v22, s1, v14, v15, v14
	s_delay_alu instid0(VALU_DEP_3) | instskip(NEXT) | instid1(VALU_DEP_2)
	v_rcp_f32_e32 v17, v9
	v_log_f32_e32 v24, v11
	s_delay_alu instid0(TRANS32_DEP_3) | instskip(NEXT) | instid1(TRANS32_DEP_2)
	v_fma_f32 v19, -v1, v16, 1.0
	v_fma_f32 v20, -v9, v17, 1.0
	s_delay_alu instid0(VALU_DEP_2)
	v_fmac_f32_e32 v16, v19, v16
	v_rcp_f32_e32 v19, v18
	s_delay_alu instid0(TRANS32_DEP_2) | instid1(VALU_DEP_2)
	v_dual_mul_f32 v28, 0x3f317217, v24 :: v_dual_fmac_f32 v17, v20, v17
	s_delay_alu instid0(VALU_DEP_2) | instskip(NEXT) | instid1(TRANS32_DEP_1)
	v_mul_f32_e32 v20, v21, v16
	v_fma_f32 v11, -v18, v19, 1.0
	s_delay_alu instid0(VALU_DEP_2) | instskip(NEXT) | instid1(VALU_DEP_1)
	v_dual_mul_f32 v23, v22, v17 :: v_dual_fma_f32 v25, -v1, v20, v21
	v_fma_f32 v26, -v9, v23, v22
	s_delay_alu instid0(VALU_DEP_2) | instskip(SKIP_1) | instid1(VALU_DEP_2)
	v_dual_fmac_f32 v20, v25, v16 :: v_dual_fmac_f32 v19, v11, v19
	v_fma_f32 v11, 0x3f317217, v24, -v28
	v_dual_fmac_f32 v23, v26, v17 :: v_dual_fma_f32 v1, -v1, v20, v21
	s_delay_alu instid0(VALU_DEP_3) | instskip(NEXT) | instid1(VALU_DEP_2)
	v_mul_f32_e32 v21, v27, v19
	v_fma_f32 v9, -v9, v23, v22
	s_delay_alu instid0(VALU_DEP_3) | instskip(SKIP_1) | instid1(VALU_DEP_3)
	v_div_fmas_f32 v1, v1, v16, v20
	s_mov_b32 vcc_lo, s1
	v_fma_f32 v20, -v18, v21, v27
	s_delay_alu instid0(VALU_DEP_3) | instskip(SKIP_2) | instid1(VALU_DEP_3)
	v_div_fmas_f32 v9, v9, v17, v23
	v_mov_b64_e32 v[16:17], 0xc16ae95ac244dfb3
	v_cmp_gt_f32_e64 vcc_lo, 0x7f800000, |v24|
	v_div_fixup_f32 v9, v9, v15, v14
	v_cndmask_b32_e64 v14, 0, 0x41b17218, s0
	s_delay_alu instid0(VALU_DEP_2) | instskip(SKIP_2) | instid1(VALU_DEP_1)
	v_mul_f32_e32 v9, v8, v9
	v_fmamk_f32 v22, v24, 0x3377d1cf, v11
	v_pk_add_f32 v[10:11], v[10:11], v[16:17] op_sel_hi:[0,1]
	v_dual_mul_f32 v9, v11, v9 :: v_dual_fmac_f32 v21, v20, v19
	s_delay_alu instid0(VALU_DEP_1) | instskip(NEXT) | instid1(VALU_DEP_1)
	v_dual_fmac_f32 v22, 0x3f317217, v24 :: v_dual_mul_f32 v9, v10, v9
	v_dual_fma_f32 v15, -v18, v21, v27 :: v_dual_cndmask_b32 v16, v24, v22, vcc_lo
	s_mov_b32 vcc_lo, s2
	s_delay_alu instid0(VALU_DEP_1) | instskip(NEXT) | instid1(VALU_DEP_2)
	v_div_fmas_f32 v11, v15, v19, v21
	v_sub_f32_e32 v14, v16, v14
	s_delay_alu instid0(VALU_DEP_2) | instskip(NEXT) | instid1(VALU_DEP_1)
	v_div_fixup_f32 v10, v11, v8, -1.0
	v_fmac_f32_e32 v10, v14, v9
	v_div_fixup_f32 v9, v1, v13, v12
	s_delay_alu instid0(VALU_DEP_2) | instskip(NEXT) | instid1(VALU_DEP_1)
	v_mul_f32_e32 v1, 0x3f22f983, v10
	v_fmac_f32_e32 v1, v8, v9
.LBB19_76:
	s_or_b32 exec_lo, exec_lo, s9
.LBB19_77:
	s_delay_alu instid0(SALU_CYCLE_1)
	s_or_b32 exec_lo, exec_lo, s8
                                        ; implicit-def: $vgpr8
.LBB19_78:
	s_and_not1_saveexec_b32 s3, s3
	s_cbranch_execz .LBB19_88
; %bb.79:
	v_add_f32_e32 v1, 0xc016cbe4, v8
                                        ; implicit-def: $vgpr11
                                        ; implicit-def: $vgpr10
	s_delay_alu instid0(VALU_DEP_1) | instskip(NEXT) | instid1(VALU_DEP_1)
	v_and_b32_e32 v9, 0x7fffffff, v1
	v_lshrrev_b32_e32 v12, 23, v9
	v_cmp_ngt_f32_e64 s2, 0x48000000, |v1|
	s_and_saveexec_b32 s0, s2
	s_delay_alu instid0(SALU_CYCLE_1)
	s_xor_b32 s8, exec_lo, s0
	s_cbranch_execz .LBB19_81
; %bb.80:
	s_mov_b32 s0, 0x7fffff
	v_mov_b32_e32 v11, 0
	v_and_or_b32 v10, v9, s0, 0x800000
	s_mov_b64 s[0:1], 0xfe5163ab
	v_add_nc_u32_e32 v13, 0xffffff88, v12
	s_delay_alu instid0(VALU_DEP_2) | instskip(NEXT) | instid1(VALU_DEP_2)
	v_mul_u64_e32 v[14:15], s[0:1], v[10:11]
	v_cmp_lt_u32_e32 vcc_lo, 63, v13
	s_delay_alu instid0(VALU_DEP_2) | instskip(SKIP_2) | instid1(VALU_DEP_3)
	v_dual_mov_b32 v16, v15 :: v_dual_mov_b32 v17, v11
	v_dual_mov_b32 v19, v11 :: v_dual_mov_b32 v21, v11
	v_dual_mov_b32 v23, v11 :: v_dual_mov_b32 v25, v11
	v_mad_nc_u64_u32 v[16:17], 0x3c439041, v10, v[16:17]
	v_cndmask_b32_e64 v15, 0, 0xffffffc0, vcc_lo
	s_delay_alu instid0(VALU_DEP_2) | instskip(NEXT) | instid1(VALU_DEP_1)
	v_mov_b32_e32 v18, v17
	v_mad_nc_u64_u32 v[18:19], 0xdb629599, v10, v[18:19]
	s_delay_alu instid0(VALU_DEP_1) | instskip(NEXT) | instid1(VALU_DEP_1)
	v_dual_mov_b32 v20, v19 :: v_dual_cndmask_b32 v14, v18, v14, vcc_lo
	v_mad_nc_u64_u32 v[20:21], 0xf534ddc0, v10, v[20:21]
	s_delay_alu instid0(VALU_DEP_1) | instskip(NEXT) | instid1(VALU_DEP_1)
	v_mov_b32_e32 v22, v21
	v_mad_nc_u64_u32 v[22:23], 0xfc2757d1, v10, v[22:23]
	s_delay_alu instid0(VALU_DEP_1) | instskip(NEXT) | instid1(VALU_DEP_1)
	v_dual_mov_b32 v24, v23 :: v_dual_cndmask_b32 v19, v22, v18
	v_mad_nc_u64_u32 v[24:25], 0x4e441529, v10, v[24:25]
	v_add_nc_u32_e32 v13, v15, v13
	s_delay_alu instid0(VALU_DEP_2) | instskip(NEXT) | instid1(VALU_DEP_3)
	v_dual_mov_b32 v27, v11 :: v_dual_cndmask_b32 v17, v24, v20, vcc_lo
	v_mov_b32_e32 v26, v25
	s_delay_alu instid0(VALU_DEP_3) | instskip(NEXT) | instid1(VALU_DEP_2)
	v_cmp_lt_u32_e64 s0, 31, v13
	v_mad_nc_u64_u32 v[10:11], 0xa2f9836e, v10, v[26:27]
	s_delay_alu instid0(VALU_DEP_2) | instskip(NEXT) | instid1(VALU_DEP_1)
	v_cndmask_b32_e64 v15, 0, 0xffffffe0, s0
	v_dual_cndmask_b32 v10, v10, v22 :: v_dual_add_nc_u32 v13, v15, v13
	s_delay_alu instid0(VALU_DEP_1) | instskip(NEXT) | instid1(VALU_DEP_4)
	v_cmp_lt_u32_e64 s1, 31, v13
	v_cndmask_b32_e32 v11, v11, v24, vcc_lo
	s_delay_alu instid0(VALU_DEP_2) | instskip(NEXT) | instid1(VALU_DEP_1)
	v_cndmask_b32_e64 v15, 0, 0xffffffe0, s1
	v_dual_add_nc_u32 v13, v15, v13 :: v_dual_cndmask_b32 v15, v20, v16, vcc_lo
	s_delay_alu instid0(VALU_DEP_3) | instskip(NEXT) | instid1(VALU_DEP_2)
	v_dual_cndmask_b32 v16, v10, v17, s0 :: v_dual_cndmask_b32 v10, v11, v10, s0
	v_dual_cndmask_b32 v11, v17, v19, s0 :: v_dual_sub_nc_u32 v17, 32, v13
	s_delay_alu instid0(VALU_DEP_3) | instskip(SKIP_1) | instid1(VALU_DEP_3)
	v_cndmask_b32_e64 v19, v19, v15, s0
	v_cmp_eq_u32_e32 vcc_lo, 0, v13
	v_dual_cndmask_b32 v10, v10, v16, s1 :: v_dual_cndmask_b32 v16, v16, v11, s1
	s_delay_alu instid0(VALU_DEP_1) | instskip(NEXT) | instid1(VALU_DEP_1)
	v_alignbit_b32 v20, v10, v16, v17
	v_dual_cndmask_b32 v11, v11, v19, s1 :: v_dual_cndmask_b32 v10, v20, v10, vcc_lo
	s_delay_alu instid0(VALU_DEP_1) | instskip(SKIP_1) | instid1(VALU_DEP_3)
	v_alignbit_b32 v18, v16, v11, v17
	v_cndmask_b32_e64 v13, v15, v14, s0
	v_bfe_u32 v15, v10, 29, 1
	s_delay_alu instid0(VALU_DEP_2) | instskip(NEXT) | instid1(VALU_DEP_2)
	v_dual_cndmask_b32 v14, v18, v16, vcc_lo :: v_dual_cndmask_b32 v13, v19, v13, s1
	v_sub_nc_u32_e32 v18, 0, v15
	s_delay_alu instid0(VALU_DEP_2) | instskip(NEXT) | instid1(VALU_DEP_3)
	v_alignbit_b32 v16, v10, v14, 30
	v_alignbit_b32 v17, v11, v13, v17
	s_delay_alu instid0(VALU_DEP_1) | instskip(NEXT) | instid1(VALU_DEP_1)
	v_dual_cndmask_b32 v11, v17, v11, vcc_lo :: v_dual_bitop2_b32 v16, v16, v18 bitop3:0x14
	v_clz_i32_u32_e32 v17, v16
	s_delay_alu instid0(VALU_DEP_2) | instskip(SKIP_1) | instid1(VALU_DEP_3)
	v_alignbit_b32 v14, v14, v11, 30
	v_alignbit_b32 v11, v11, v13, 30
	v_min_u32_e32 v17, 32, v17
	s_delay_alu instid0(VALU_DEP_3) | instskip(NEXT) | instid1(VALU_DEP_3)
	v_xor_b32_e32 v13, v14, v18
	v_xor_b32_e32 v11, v11, v18
	s_delay_alu instid0(VALU_DEP_3) | instskip(SKIP_1) | instid1(VALU_DEP_1)
	v_dual_lshrrev_b32 v18, 29, v10 :: v_dual_lshlrev_b32 v19, 23, v17
	v_sub_nc_u32_e32 v14, 31, v17
	v_alignbit_b32 v16, v16, v13, v14
	s_delay_alu instid0(VALU_DEP_4) | instskip(NEXT) | instid1(VALU_DEP_4)
	v_alignbit_b32 v11, v13, v11, v14
	v_lshlrev_b32_e32 v13, 31, v18
	s_delay_alu instid0(VALU_DEP_2) | instskip(NEXT) | instid1(VALU_DEP_2)
	v_alignbit_b32 v14, v16, v11, 9
	v_dual_lshrrev_b32 v16, 9, v16 :: v_dual_bitop2_b32 v18, 0.5, v13 bitop3:0x54
	v_or_b32_e32 v13, 0x33000000, v13
	s_delay_alu instid0(VALU_DEP_3) | instskip(NEXT) | instid1(VALU_DEP_3)
	v_clz_i32_u32_e32 v20, v14
	v_sub_nc_u32_e32 v18, v18, v19
	s_delay_alu instid0(VALU_DEP_2) | instskip(NEXT) | instid1(VALU_DEP_1)
	v_min_u32_e32 v19, 32, v20
	v_add_lshl_u32 v17, v19, v17, 23
	s_delay_alu instid0(VALU_DEP_1) | instskip(SKIP_1) | instid1(VALU_DEP_1)
	v_dual_sub_nc_u32 v13, v13, v17 :: v_dual_bitop2_b32 v16, v16, v18 bitop3:0x54
	v_not_b32_e32 v18, v19
	v_alignbit_b32 v11, v14, v11, v18
	s_delay_alu instid0(VALU_DEP_1) | instskip(NEXT) | instid1(VALU_DEP_1)
	v_dual_mul_f32 v20, 0x3fc90fda, v16 :: v_dual_lshrrev_b32 v11, 9, v11
	v_or_b32_e32 v11, v13, v11
	s_delay_alu instid0(VALU_DEP_2) | instskip(NEXT) | instid1(VALU_DEP_1)
	v_fma_f32 v14, 0x3fc90fda, v16, -v20
	v_fmamk_f32 v14, v16, 0x33a22168, v14
	s_delay_alu instid0(VALU_DEP_1) | instskip(NEXT) | instid1(VALU_DEP_1)
	v_dual_fmac_f32 v14, 0x3fc90fda, v11 :: v_dual_lshrrev_b32 v11, 30, v10
	v_dual_add_f32 v10, v20, v14 :: v_dual_add_nc_u32 v11, v15, v11
	s_or_saveexec_b32 s0, s8
	v_mul_f32_e64 v15, 0x3f22f983, |v1|
	s_xor_b32 exec_lo, exec_lo, s0
	s_branch .LBB19_82
.LBB19_81:
	s_or_saveexec_b32 s0, s8
	v_mul_f32_e64 v15, 0x3f22f983, |v1|
	s_xor_b32 exec_lo, exec_lo, s0
.LBB19_82:
	s_delay_alu instid0(VALU_DEP_1) | instskip(NEXT) | instid1(VALU_DEP_1)
	v_rndne_f32_e32 v11, v15
	v_fma_f32 v10, 0xbfc90fda, v11, |v1|
	s_delay_alu instid0(VALU_DEP_1) | instskip(NEXT) | instid1(VALU_DEP_1)
	v_fmamk_f32 v10, v11, 0xb3a22168, v10
	v_fmamk_f32 v10, v11, 0xa7c234c4, v10
	v_cvt_i32_f32_e32 v11, v11
; %bb.83:
	s_or_b32 exec_lo, exec_lo, s0
                                        ; implicit-def: $vgpr14
                                        ; implicit-def: $vgpr13
	s_and_saveexec_b32 s0, s2
	s_delay_alu instid0(SALU_CYCLE_1)
	s_xor_b32 s2, exec_lo, s0
	s_cbranch_execz .LBB19_85
; %bb.84:
	s_mov_b32 s0, 0x7fffff
	v_mov_b32_e32 v15, 0
	v_and_or_b32 v14, v9, s0, 0x800000
	s_mov_b64 s[0:1], 0xfe5163ab
	s_delay_alu instid0(VALU_DEP_1) | instid1(SALU_CYCLE_1)
	v_mul_u64_e32 v[16:17], s[0:1], v[14:15]
	s_delay_alu instid0(VALU_DEP_1) | instskip(SKIP_2) | instid1(VALU_DEP_3)
	v_dual_mov_b32 v18, v17 :: v_dual_mov_b32 v19, v15
	v_dual_mov_b32 v21, v15 :: v_dual_mov_b32 v23, v15
	;; [unrolled: 1-line block ×3, first 2 shown]
	v_mad_nc_u64_u32 v[18:19], 0x3c439041, v14, v[18:19]
	v_add_nc_u32_e32 v17, 0xffffff88, v12
	s_delay_alu instid0(VALU_DEP_1) | instskip(NEXT) | instid1(VALU_DEP_3)
	v_cmp_lt_u32_e32 vcc_lo, 63, v17
	v_mov_b32_e32 v20, v19
	v_cndmask_b32_e64 v19, 0, 0xffffffc0, vcc_lo
	s_delay_alu instid0(VALU_DEP_2) | instskip(NEXT) | instid1(VALU_DEP_1)
	v_mad_nc_u64_u32 v[20:21], 0xdb629599, v14, v[20:21]
	v_dual_mov_b32 v22, v21 :: v_dual_cndmask_b32 v16, v20, v16, vcc_lo
	s_delay_alu instid0(VALU_DEP_1) | instskip(NEXT) | instid1(VALU_DEP_1)
	v_mad_nc_u64_u32 v[22:23], 0xf534ddc0, v14, v[22:23]
	v_mov_b32_e32 v24, v23
	s_delay_alu instid0(VALU_DEP_1) | instskip(NEXT) | instid1(VALU_DEP_1)
	v_mad_nc_u64_u32 v[24:25], 0xfc2757d1, v14, v[24:25]
	v_mov_b32_e32 v26, v25
	s_delay_alu instid0(VALU_DEP_1) | instskip(NEXT) | instid1(VALU_DEP_1)
	v_mad_nc_u64_u32 v[12:13], 0x4e441529, v14, v[26:27]
	v_dual_mov_b32 v26, v13 :: v_dual_add_nc_u32 v17, v19, v17
	s_delay_alu instid0(VALU_DEP_1) | instskip(NEXT) | instid1(VALU_DEP_3)
	v_cmp_lt_u32_e64 s0, 31, v17
	v_cndmask_b32_e32 v19, v12, v22, vcc_lo
	s_delay_alu instid0(VALU_DEP_3) | instskip(NEXT) | instid1(VALU_DEP_3)
	v_mad_nc_u64_u32 v[14:15], 0xa2f9836e, v14, v[26:27]
	v_cndmask_b32_e64 v13, 0, 0xffffffe0, s0
	s_delay_alu instid0(VALU_DEP_1) | instskip(NEXT) | instid1(VALU_DEP_1)
	v_add_nc_u32_e32 v13, v13, v17
	v_cmp_lt_u32_e64 s1, 31, v13
	s_delay_alu instid0(VALU_DEP_4) | instskip(NEXT) | instid1(VALU_DEP_2)
	v_cndmask_b32_e32 v12, v15, v12, vcc_lo
	v_cndmask_b32_e64 v17, 0, 0xffffffe0, s1
	s_delay_alu instid0(VALU_DEP_1) | instskip(SKIP_1) | instid1(VALU_DEP_2)
	v_dual_cndmask_b32 v14, v14, v24 :: v_dual_add_nc_u32 v13, v17, v13
	v_dual_cndmask_b32 v15, v24, v20, vcc_lo :: v_dual_cndmask_b32 v17, v22, v18, vcc_lo
	v_dual_cndmask_b32 v18, v14, v19, s0 :: v_dual_cndmask_b32 v12, v12, v14, s0
	s_delay_alu instid0(VALU_DEP_3) | instskip(NEXT) | instid1(VALU_DEP_3)
	v_cmp_eq_u32_e32 vcc_lo, 0, v13
	v_dual_cndmask_b32 v14, v19, v15, s0 :: v_dual_sub_nc_u32 v19, 32, v13
	s_delay_alu instid0(VALU_DEP_3) | instskip(NEXT) | instid1(VALU_DEP_2)
	v_dual_cndmask_b32 v15, v15, v17, s0 :: v_dual_cndmask_b32 v12, v12, v18, s1
	v_dual_cndmask_b32 v13, v17, v16, s0 :: v_dual_cndmask_b32 v18, v18, v14, s1
	s_delay_alu instid0(VALU_DEP_2) | instskip(NEXT) | instid1(VALU_DEP_2)
	v_cndmask_b32_e64 v14, v14, v15, s1
	v_alignbit_b32 v21, v12, v18, v19
	s_delay_alu instid0(VALU_DEP_2) | instskip(NEXT) | instid1(VALU_DEP_1)
	v_alignbit_b32 v20, v18, v14, v19
	v_dual_cndmask_b32 v12, v21, v12, vcc_lo :: v_dual_cndmask_b32 v16, v20, v18, vcc_lo
	s_delay_alu instid0(VALU_DEP_1) | instskip(NEXT) | instid1(VALU_DEP_1)
	v_bfe_u32 v17, v12, 29, 1
	v_sub_nc_u32_e32 v18, 0, v17
	v_cndmask_b32_e64 v13, v15, v13, s1
	s_delay_alu instid0(VALU_DEP_4) | instskip(NEXT) | instid1(VALU_DEP_1)
	v_alignbit_b32 v15, v12, v16, 30
	v_xor_b32_e32 v15, v15, v18
	s_delay_alu instid0(VALU_DEP_3) | instskip(NEXT) | instid1(VALU_DEP_1)
	v_alignbit_b32 v19, v14, v13, v19
	v_cndmask_b32_e32 v14, v19, v14, vcc_lo
	s_delay_alu instid0(VALU_DEP_3) | instskip(NEXT) | instid1(VALU_DEP_2)
	v_clz_i32_u32_e32 v19, v15
	v_alignbit_b32 v16, v16, v14, 30
	s_delay_alu instid0(VALU_DEP_2) | instskip(SKIP_1) | instid1(VALU_DEP_2)
	v_min_u32_e32 v19, 32, v19
	v_alignbit_b32 v13, v14, v13, 30
	v_dual_sub_nc_u32 v16, 31, v19 :: v_dual_bitop2_b32 v14, v16, v18 bitop3:0x14
	s_delay_alu instid0(VALU_DEP_2) | instskip(SKIP_1) | instid1(VALU_DEP_3)
	v_dual_lshrrev_b32 v18, 29, v12 :: v_dual_bitop2_b32 v13, v13, v18 bitop3:0x14
	v_dual_lshlrev_b32 v20, 23, v19 :: v_dual_lshrrev_b32 v12, 30, v12
	v_alignbit_b32 v15, v15, v14, v16
	s_delay_alu instid0(VALU_DEP_3) | instskip(NEXT) | instid1(VALU_DEP_4)
	v_alignbit_b32 v13, v14, v13, v16
	v_lshlrev_b32_e32 v14, 31, v18
	s_delay_alu instid0(VALU_DEP_2) | instskip(NEXT) | instid1(VALU_DEP_2)
	v_alignbit_b32 v16, v15, v13, 9
	v_dual_lshrrev_b32 v15, 9, v15 :: v_dual_bitop2_b32 v18, 0.5, v14 bitop3:0x54
	v_or_b32_e32 v14, 0x33000000, v14
	s_delay_alu instid0(VALU_DEP_3) | instskip(NEXT) | instid1(VALU_DEP_3)
	v_clz_i32_u32_e32 v21, v16
	v_sub_nc_u32_e32 v18, v18, v20
	s_delay_alu instid0(VALU_DEP_2) | instskip(NEXT) | instid1(VALU_DEP_1)
	v_min_u32_e32 v20, 32, v21
	v_add_lshl_u32 v19, v20, v19, 23
	s_delay_alu instid0(VALU_DEP_3) | instskip(SKIP_1) | instid1(VALU_DEP_3)
	v_or_b32_e32 v15, v15, v18
	v_not_b32_e32 v18, v20
	v_sub_nc_u32_e32 v14, v14, v19
	s_delay_alu instid0(VALU_DEP_3) | instskip(NEXT) | instid1(VALU_DEP_3)
	v_mul_f32_e32 v21, 0x3fc90fda, v15
	v_alignbit_b32 v13, v16, v13, v18
	s_delay_alu instid0(VALU_DEP_2) | instskip(NEXT) | instid1(VALU_DEP_2)
	v_fma_f32 v16, 0x3fc90fda, v15, -v21
	v_lshrrev_b32_e32 v13, 9, v13
	s_delay_alu instid0(VALU_DEP_2) | instskip(NEXT) | instid1(VALU_DEP_2)
	v_fmamk_f32 v15, v15, 0x33a22168, v16
	v_dual_add_nc_u32 v14, v17, v12 :: v_dual_bitop2_b32 v13, v14, v13 bitop3:0x54
	s_delay_alu instid0(VALU_DEP_1) | instskip(NEXT) | instid1(VALU_DEP_1)
	v_fmac_f32_e32 v15, 0x3fc90fda, v13
	v_add_f32_e32 v13, v21, v15
                                        ; implicit-def: $vgpr15
	s_and_not1_saveexec_b32 s0, s2
	s_cbranch_execnz .LBB19_86
	s_branch .LBB19_87
.LBB19_85:
	s_and_not1_saveexec_b32 s0, s2
.LBB19_86:
	v_rndne_f32_e32 v12, v15
	s_delay_alu instid0(VALU_DEP_1) | instskip(SKIP_1) | instid1(VALU_DEP_2)
	v_fma_f32 v13, 0xbfc90fda, v12, |v1|
	v_cvt_i32_f32_e32 v14, v12
	v_fmamk_f32 v13, v12, 0xb3a22168, v13
	s_delay_alu instid0(VALU_DEP_1)
	v_fmamk_f32 v13, v12, 0xa7c234c4, v13
.LBB19_87:
	s_or_b32 exec_lo, exec_lo, s0
	v_div_scale_f32 v12, null, v8, v8, 0x40a00000
	v_div_scale_f32 v17, vcc_lo, 0x40a00000, v8, 0x40a00000
	s_mov_b32 s0, 0xb94c1982
	v_rcp_f32_e32 v15, v12
	v_mul_f32_e32 v24, 0x4f800000, v8
	s_mov_b32 s1, 0x37d75334
	v_xor_b32_e32 v9, v9, v1
	v_and_b32_e32 v19, 1, v14
	s_delay_alu instid0(TRANS32_DEP_1) | instskip(NEXT) | instid1(VALU_DEP_1)
	v_fma_f32 v16, -v12, v15, 1.0
	v_fmac_f32_e32 v15, v16, v15
	s_delay_alu instid0(VALU_DEP_1) | instskip(NEXT) | instid1(VALU_DEP_1)
	v_mul_f32_e32 v16, v17, v15
	v_fma_f32 v18, -v12, v16, v17
	s_delay_alu instid0(VALU_DEP_1) | instskip(NEXT) | instid1(VALU_DEP_1)
	v_dual_fmac_f32 v16, v18, v15 :: v_dual_mul_f32 v18, v13, v13
	v_fma_f32 v12, -v12, v16, v17
	s_delay_alu instid0(VALU_DEP_2) | instskip(NEXT) | instid1(VALU_DEP_2)
	v_fmaak_f32 v27, s0, v18, 0x3c0881c4
	v_div_fmas_f32 v12, v12, v15, v16
	v_mul_f32_e32 v15, v10, v10
	s_delay_alu instid0(VALU_DEP_3) | instskip(SKIP_1) | instid1(VALU_DEP_4)
	v_fmaak_f32 v27, v18, v27, 0xbe2aaa9d
	v_dual_lshlrev_b32 v11, 30, v11 :: v_dual_bitop2_b32 v16, 1, v11 bitop3:0x40
	v_div_fixup_f32 v12, v12, v8, 0x40a00000
	s_delay_alu instid0(VALU_DEP_4) | instskip(SKIP_1) | instid1(VALU_DEP_4)
	v_fmaak_f32 v25, s0, v15, 0x3c0881c4
	v_cmp_gt_f32_e64 s0, 0xf800000, v8
	v_cmp_eq_u32_e64 s2, 0, v16
	v_and_b32_e32 v11, 0x80000000, v11
	v_mul_f32_e32 v17, v12, v12
	v_dual_fmaak_f32 v25, v15, v25, 0xbe2aaa9d :: v_dual_lshlrev_b32 v14, 30, v14
	v_dual_mul_f32 v27, v18, v27 :: v_dual_fmaak_f32 v28, s1, v18, 0xbab64f3b
	s_delay_alu instid0(VALU_DEP_3) | instskip(SKIP_2) | instid1(VALU_DEP_4)
	v_fmaak_f32 v20, 0, v17, 0x3d513fd3
	v_fmaak_f32 v23, 0, v17, 0x3a47c962
	;; [unrolled: 1-line block ×3, first 2 shown]
	v_dual_mul_f32 v25, v15, v25 :: v_dual_fmac_f32 v13, v13, v27
	s_delay_alu instid0(VALU_DEP_4) | instskip(NEXT) | instid1(VALU_DEP_4)
	v_fmaak_f32 v20, v17, v20, 0x409f6dae
	v_fmaak_f32 v23, v17, v23, 0x3d95ca45
	;; [unrolled: 1-line block ×3, first 2 shown]
	s_delay_alu instid0(VALU_DEP_4) | instskip(NEXT) | instid1(VALU_DEP_4)
	v_dual_fmac_f32 v10, v10, v25 :: v_dual_cndmask_b32 v8, v8, v24, s0
	v_fmaak_f32 v20, v17, v20, 0x4297a5cd
	s_delay_alu instid0(VALU_DEP_3) | instskip(NEXT) | instid1(VALU_DEP_3)
	v_fmaak_f32 v28, v18, v28, 0xbf000004
	v_sqrt_f32_e32 v31, v8
	v_fmaak_f32 v21, v17, v21, 0x3d8cfeeb
	v_fmaak_f32 v23, v17, v23, 0x3f9047f6
	;; [unrolled: 1-line block ×4, first 2 shown]
	v_fma_f32 v18, v18, v28, 1.0
	s_delay_alu instid0(VALU_DEP_4) | instskip(SKIP_1) | instid1(VALU_DEP_4)
	v_fmaak_f32 v23, v17, v23, 0x40a39628
	v_dual_fmaak_f32 v21, v17, v21, 0x3f8d754e :: v_dual_add_nc_u32 v36, 1, v31
	v_fmaak_f32 v20, v17, v20, 0x4431b6ce
	s_delay_alu instid0(VALU_DEP_3) | instskip(NEXT) | instid1(VALU_DEP_3)
	v_fmaak_f32 v23, v17, v23, 0x4106c8e4
	v_fmaak_f32 v21, v17, v21, 0x40a25d18
	s_delay_alu instid0(VALU_DEP_3) | instskip(NEXT) | instid1(VALU_DEP_3)
	v_fmaak_f32 v20, v17, v20, 0x44155f56
	;; [unrolled: 3-line block ×3, first 2 shown]
	v_fmaak_f32 v20, v17, v20, 0x4353b052
	s_delay_alu instid0(VALU_DEP_3) | instskip(NEXT) | instid1(VALU_DEP_3)
	v_fma_f32 v23, v17, v23, 1.0
	v_fmaak_f32 v21, v17, v21, 0x40a6b6ea
	s_delay_alu instid0(VALU_DEP_1) | instskip(NEXT) | instid1(VALU_DEP_1)
	v_fma_f32 v21, v17, v21, 1.0
	v_div_scale_f32 v34, vcc_lo, v23, v21, v23
	v_fmaak_f32 v22, v17, v22, 0x44840e5d
	s_delay_alu instid0(VALU_DEP_1) | instskip(NEXT) | instid1(VALU_DEP_1)
	v_fmaak_f32 v22, v17, v22, 0x459bd349
	v_fmaak_f32 v22, v17, v22, 0x46156947
	s_delay_alu instid0(VALU_DEP_1) | instskip(NEXT) | instid1(VALU_DEP_1)
	v_fmaak_f32 v22, v17, v22, 0x45f9e855
	v_fmaak_f32 v22, v17, v22, 0x4530a316
	s_delay_alu instid0(VALU_DEP_1) | instskip(SKIP_2) | instid1(VALU_DEP_2)
	v_fmaak_f32 v22, v17, v22, 0x43a80bfb
	v_fmaak_f32 v17, v17, v20, 0x41c9a7fa
	v_div_scale_f32 v20, null, v21, v21, v23
	v_div_scale_f32 v24, null, v22, v22, v17
	s_delay_alu instid0(VALU_DEP_2) | instskip(NEXT) | instid1(VALU_DEP_1)
	v_rcp_f32_e32 v29, v20
	v_rcp_f32_e32 v30, v24
	s_delay_alu instid0(TRANS32_DEP_2) | instskip(NEXT) | instid1(TRANS32_DEP_1)
	v_fma_f32 v32, -v20, v29, 1.0
	v_fma_f32 v33, -v24, v30, 1.0
	s_delay_alu instid0(VALU_DEP_1) | instskip(NEXT) | instid1(VALU_DEP_1)
	v_dual_fmac_f32 v29, v32, v29 :: v_dual_fmac_f32 v30, v33, v30
	v_dual_add_nc_u32 v33, -1, v31 :: v_dual_mul_f32 v35, v34, v29
	s_delay_alu instid0(VALU_DEP_1) | instskip(SKIP_2) | instid1(VALU_DEP_2)
	v_fma_f32 v25, -v20, v35, v34
	v_fmaak_f32 v26, s1, v15, 0xbab64f3b
	v_div_scale_f32 v32, s1, v17, v22, v17
	v_dual_fmac_f32 v35, v25, v29 :: v_dual_fmaak_f32 v26, v15, v26, 0x3d2aabf7
	s_delay_alu instid0(VALU_DEP_2) | instskip(NEXT) | instid1(VALU_DEP_2)
	v_mul_f32_e32 v37, v32, v30
	v_fmaak_f32 v26, v15, v26, 0xbf000004
	s_delay_alu instid0(VALU_DEP_1) | instskip(NEXT) | instid1(VALU_DEP_1)
	v_fma_f32 v15, v15, v26, 1.0
	v_cndmask_b32_e64 v10, v15, v10, s2
	v_cmp_eq_u32_e64 s2, 0, v19
	v_fma_f32 v26, -v24, v37, v32
	v_dual_fma_f32 v27, -v33, v31, v8 :: v_dual_fma_f32 v25, -v36, v31, v8
	s_delay_alu instid0(VALU_DEP_3) | instskip(NEXT) | instid1(VALU_DEP_3)
	v_dual_fma_f32 v15, -v20, v35, v34 :: v_dual_cndmask_b32 v13, -v13, v18, s2
	v_fmac_f32_e32 v37, v26, v30
	v_xor3_b32 v9, v9, v11, v10
	s_delay_alu instid0(VALU_DEP_3) | instskip(SKIP_3) | instid1(VALU_DEP_1)
	v_div_fmas_f32 v15, v15, v29, v35
	s_mov_b32 vcc_lo, s1
	v_cmp_lt_f32_e64 s1, 0, v25
	v_fma_f32 v16, -v24, v37, v32
	v_div_fmas_f32 v16, v16, v30, v37
	v_cmp_ge_f32_e32 vcc_lo, 0, v27
	s_delay_alu instid0(VALU_DEP_2) | instskip(SKIP_4) | instid1(VALU_DEP_4)
	v_div_fixup_f32 v10, v16, v22, v17
	v_cndmask_b32_e32 v18, v31, v33, vcc_lo
	v_cmp_class_f32_e64 vcc_lo, v1, 0x1f8
	v_bitop3_b32 v1, v14, v13, 0x80000000 bitop3:0x6c
	v_div_fixup_f32 v13, v15, v21, v23
	v_dual_mul_f32 v10, v12, v10 :: v_dual_cndmask_b32 v11, v18, v36, s1
	v_cndmask_b32_e32 v9, 0x7fc00000, v9, vcc_lo
	s_delay_alu instid0(VALU_DEP_4) | instskip(SKIP_1) | instid1(VALU_DEP_2)
	v_cndmask_b32_e32 v1, 0x7fc00000, v1, vcc_lo
	v_cmp_class_f32_e64 vcc_lo, v8, 0x260
	v_dual_mul_f32 v12, 0x37800000, v11 :: v_dual_mul_f32 v1, v10, v1
	s_delay_alu instid0(VALU_DEP_1) | instskip(NEXT) | instid1(VALU_DEP_1)
	v_dual_cndmask_b32 v10, v11, v12, s0 :: v_dual_fmac_f32 v1, v13, v9
	v_dual_cndmask_b32 v8, v10, v8 :: v_dual_mul_f32 v1, 0x3f4c422a, v1
	s_delay_alu instid0(VALU_DEP_1) | instskip(NEXT) | instid1(VALU_DEP_1)
	v_div_scale_f32 v9, null, v8, v8, v1
	v_rcp_f32_e32 v10, v9
	v_nop
	s_delay_alu instid0(TRANS32_DEP_1) | instskip(NEXT) | instid1(VALU_DEP_1)
	v_fma_f32 v11, -v9, v10, 1.0
	v_fmac_f32_e32 v10, v11, v10
	v_div_scale_f32 v11, vcc_lo, v1, v8, v1
	s_delay_alu instid0(VALU_DEP_1) | instskip(NEXT) | instid1(VALU_DEP_1)
	v_mul_f32_e32 v12, v11, v10
	v_fma_f32 v13, -v9, v12, v11
	s_delay_alu instid0(VALU_DEP_1) | instskip(NEXT) | instid1(VALU_DEP_1)
	v_fmac_f32_e32 v12, v13, v10
	v_fma_f32 v9, -v9, v12, v11
	s_delay_alu instid0(VALU_DEP_1) | instskip(NEXT) | instid1(VALU_DEP_1)
	v_div_fmas_f32 v9, v9, v10, v12
	v_div_fixup_f32 v1, v9, v8, v1
.LBB19_88:
	s_or_b32 exec_lo, exec_lo, s3
	global_load_b32 v8, v5, s[6:7]
                                        ; implicit-def: $vgpr5
	s_mov_b32 s0, exec_lo
	s_wait_loadcnt 0x0
	v_cmpx_ge_f32_e32 0x40a00000, v8
	s_xor_b32 s3, exec_lo, s0
	s_cbranch_execz .LBB19_94
; %bb.89:
	v_mov_b32_e32 v5, 0xff800000
	s_mov_b32 s8, exec_lo
	v_cmpx_neq_f32_e32 0, v8
	s_cbranch_execz .LBB19_93
; %bb.90:
	v_mov_b32_e32 v5, 0x7fc00000
	s_mov_b32 s9, exec_lo
	v_cmpx_nge_f32_e32 0, v8
	s_cbranch_execz .LBB19_92
; %bb.91:
	v_mul_f32_e32 v10, v8, v8
	v_mov_b64_e32 v[12:13], 0x4c8c277d4e9695f3
	v_mov_b64_e32 v[16:17], 0x508bc61dd316b96b
	;; [unrolled: 1-line block ×4, first 2 shown]
	v_dual_fmaak_f32 v5, 0, v10, 0x4414934d :: v_dual_mul_f32 v14, 0, v10
	v_fmaak_f32 v9, 0, v10, 0x441b3589
	v_mov_b64_e32 v[22:23], 0x5832585252d295d0
	v_cmp_gt_f32_e64 s0, 0x800000, v8
	s_delay_alu instid0(VALU_DEP_4) | instskip(SKIP_2) | instid1(VALU_DEP_3)
	v_fmaak_f32 v5, v10, v5, 0x48660b06
	v_div_scale_f32 v27, s2, -1.0, v8, -1.0
	v_fmaak_f32 v9, v10, v9, 0x487af6d0
	v_mul_f32_e32 v15, v10, v5
	s_delay_alu instid0(VALU_DEP_2) | instskip(NEXT) | instid1(VALU_DEP_2)
	v_fmaak_f32 v5, v10, v9, 0x4c9f4aa7
	v_pk_add_f32 v[12:13], v[14:15], v[12:13]
	s_delay_alu instid0(VALU_DEP_2) | instskip(NEXT) | instid1(VALU_DEP_2)
	v_fmaak_f32 v5, v10, v5, 0x50a509fc
	v_pk_fma_f32 v[12:13], v[10:11], v[12:13], v[16:17] op_sel_hi:[0,1,1]
	v_mov_b64_e32 v[16:17], 0x580d1937d9e700d2
	s_delay_alu instid0(VALU_DEP_3) | instskip(NEXT) | instid1(VALU_DEP_3)
	v_mul_f32_e32 v15, v10, v5
	v_pk_fma_f32 v[12:13], v[10:11], v[12:13], v[18:19] op_sel_hi:[0,1,1]
	v_mov_b64_e32 v[18:19], 0x5b741f1e5c33cd68
	s_delay_alu instid0(VALU_DEP_3) | instskip(SKIP_1) | instid1(VALU_DEP_4)
	v_pk_add_f32 v[14:15], v[14:15], v[20:21]
	v_mov_b64_e32 v[20:21], 0x5b9f0600d6845497
	v_pk_fma_f32 v[12:13], v[10:11], v[12:13], v[16:17] op_sel_hi:[0,1,1]
	v_mov_b64_e32 v[16:17], 0x5e5c878ddd2cf20b
	s_delay_alu instid0(VALU_DEP_4) | instskip(SKIP_1) | instid1(VALU_DEP_4)
	v_pk_fma_f32 v[14:15], v[10:11], v[14:15], v[22:23] op_sel_hi:[0,1,1]
	v_mov_b64_e32 v[22:23], 0x5e93bcac59515a15
	v_pk_fma_f32 v[12:13], v[10:11], v[12:13], v[18:19] op_sel_hi:[0,1,1]
	v_div_scale_f32 v18, null, v8, v8, -1.0
	s_delay_alu instid0(VALU_DEP_4) | instskip(NEXT) | instid1(VALU_DEP_3)
	v_pk_fma_f32 v[14:15], v[10:11], v[14:15], v[20:21] op_sel_hi:[0,1,1]
	v_pk_fma_f32 v[12:13], v[10:11], v[12:13], v[16:17] op_sel_hi:[0,1,1]
	s_delay_alu instid0(VALU_DEP_2) | instskip(SKIP_1) | instid1(VALU_DEP_3)
	v_pk_fma_f32 v[14:15], v[10:11], v[14:15], v[22:23] op_sel_hi:[0,1,1]
	v_cndmask_b32_e64 v11, 0, 32, s0
	v_div_scale_f32 v5, null, v13, v13, v12
	v_div_scale_f32 v21, vcc_lo, v12, v13, v12
	s_delay_alu instid0(VALU_DEP_4) | instskip(NEXT) | instid1(VALU_DEP_3)
	v_div_scale_f32 v9, null, v15, v15, v14
	v_rcp_f32_e32 v16, v5
	v_ldexp_f32 v11, v8, v11
	v_div_scale_f32 v22, s1, v14, v15, v14
	s_delay_alu instid0(VALU_DEP_3) | instskip(NEXT) | instid1(VALU_DEP_2)
	v_rcp_f32_e32 v17, v9
	v_log_f32_e32 v24, v11
	s_delay_alu instid0(TRANS32_DEP_3) | instskip(NEXT) | instid1(TRANS32_DEP_2)
	v_fma_f32 v19, -v5, v16, 1.0
	v_fma_f32 v20, -v9, v17, 1.0
	s_delay_alu instid0(VALU_DEP_2)
	v_fmac_f32_e32 v16, v19, v16
	v_rcp_f32_e32 v19, v18
	s_delay_alu instid0(TRANS32_DEP_2) | instid1(VALU_DEP_2)
	v_dual_mul_f32 v28, 0x3f317217, v24 :: v_dual_fmac_f32 v17, v20, v17
	s_delay_alu instid0(VALU_DEP_2) | instskip(NEXT) | instid1(TRANS32_DEP_1)
	v_mul_f32_e32 v20, v21, v16
	v_fma_f32 v11, -v18, v19, 1.0
	s_delay_alu instid0(VALU_DEP_2) | instskip(NEXT) | instid1(VALU_DEP_1)
	v_dual_mul_f32 v23, v22, v17 :: v_dual_fma_f32 v25, -v5, v20, v21
	v_fma_f32 v26, -v9, v23, v22
	s_delay_alu instid0(VALU_DEP_2) | instskip(SKIP_1) | instid1(VALU_DEP_2)
	v_dual_fmac_f32 v20, v25, v16 :: v_dual_fmac_f32 v19, v11, v19
	v_fma_f32 v11, 0x3f317217, v24, -v28
	v_dual_fmac_f32 v23, v26, v17 :: v_dual_fma_f32 v5, -v5, v20, v21
	s_delay_alu instid0(VALU_DEP_3) | instskip(NEXT) | instid1(VALU_DEP_2)
	v_mul_f32_e32 v21, v27, v19
	v_fma_f32 v9, -v9, v23, v22
	s_delay_alu instid0(VALU_DEP_3) | instskip(SKIP_1) | instid1(VALU_DEP_3)
	v_div_fmas_f32 v5, v5, v16, v20
	s_mov_b32 vcc_lo, s1
	v_fma_f32 v20, -v18, v21, v27
	s_delay_alu instid0(VALU_DEP_3) | instskip(SKIP_2) | instid1(VALU_DEP_3)
	v_div_fmas_f32 v9, v9, v17, v23
	v_mov_b64_e32 v[16:17], 0xc16ae95ac244dfb3
	v_cmp_gt_f32_e64 vcc_lo, 0x7f800000, |v24|
	v_div_fixup_f32 v9, v9, v15, v14
	v_cndmask_b32_e64 v14, 0, 0x41b17218, s0
	s_delay_alu instid0(VALU_DEP_2) | instskip(SKIP_2) | instid1(VALU_DEP_1)
	v_mul_f32_e32 v9, v8, v9
	v_fmamk_f32 v22, v24, 0x3377d1cf, v11
	v_pk_add_f32 v[10:11], v[10:11], v[16:17] op_sel_hi:[0,1]
	v_dual_mul_f32 v9, v11, v9 :: v_dual_fmac_f32 v21, v20, v19
	s_delay_alu instid0(VALU_DEP_1) | instskip(NEXT) | instid1(VALU_DEP_1)
	v_dual_fmac_f32 v22, 0x3f317217, v24 :: v_dual_mul_f32 v9, v10, v9
	v_dual_fma_f32 v15, -v18, v21, v27 :: v_dual_cndmask_b32 v16, v24, v22, vcc_lo
	s_mov_b32 vcc_lo, s2
	s_delay_alu instid0(VALU_DEP_1) | instskip(NEXT) | instid1(VALU_DEP_2)
	v_div_fmas_f32 v11, v15, v19, v21
	v_sub_f32_e32 v14, v16, v14
	s_delay_alu instid0(VALU_DEP_2) | instskip(NEXT) | instid1(VALU_DEP_1)
	v_div_fixup_f32 v10, v11, v8, -1.0
	v_fmac_f32_e32 v10, v14, v9
	v_div_fixup_f32 v9, v5, v13, v12
	s_delay_alu instid0(VALU_DEP_2) | instskip(NEXT) | instid1(VALU_DEP_1)
	v_mul_f32_e32 v5, 0x3f22f983, v10
	v_fmac_f32_e32 v5, v8, v9
.LBB19_92:
	s_or_b32 exec_lo, exec_lo, s9
.LBB19_93:
	s_delay_alu instid0(SALU_CYCLE_1)
	s_or_b32 exec_lo, exec_lo, s8
                                        ; implicit-def: $vgpr8
.LBB19_94:
	s_and_not1_saveexec_b32 s3, s3
	s_cbranch_execz .LBB19_104
; %bb.95:
	v_add_f32_e32 v5, 0xc016cbe4, v8
                                        ; implicit-def: $vgpr11
                                        ; implicit-def: $vgpr10
	s_delay_alu instid0(VALU_DEP_1) | instskip(NEXT) | instid1(VALU_DEP_1)
	v_and_b32_e32 v9, 0x7fffffff, v5
	v_lshrrev_b32_e32 v12, 23, v9
	v_cmp_ngt_f32_e64 s2, 0x48000000, |v5|
	s_and_saveexec_b32 s0, s2
	s_delay_alu instid0(SALU_CYCLE_1)
	s_xor_b32 s8, exec_lo, s0
	s_cbranch_execz .LBB19_97
; %bb.96:
	s_mov_b32 s0, 0x7fffff
	v_mov_b32_e32 v11, 0
	v_and_or_b32 v10, v9, s0, 0x800000
	s_mov_b64 s[0:1], 0xfe5163ab
	v_add_nc_u32_e32 v13, 0xffffff88, v12
	s_delay_alu instid0(VALU_DEP_2) | instskip(NEXT) | instid1(VALU_DEP_2)
	v_mul_u64_e32 v[14:15], s[0:1], v[10:11]
	v_cmp_lt_u32_e32 vcc_lo, 63, v13
	s_delay_alu instid0(VALU_DEP_2) | instskip(SKIP_2) | instid1(VALU_DEP_3)
	v_dual_mov_b32 v16, v15 :: v_dual_mov_b32 v17, v11
	v_dual_mov_b32 v19, v11 :: v_dual_mov_b32 v21, v11
	;; [unrolled: 1-line block ×3, first 2 shown]
	v_mad_nc_u64_u32 v[16:17], 0x3c439041, v10, v[16:17]
	v_cndmask_b32_e64 v15, 0, 0xffffffc0, vcc_lo
	s_delay_alu instid0(VALU_DEP_2) | instskip(NEXT) | instid1(VALU_DEP_1)
	v_mov_b32_e32 v18, v17
	v_mad_nc_u64_u32 v[18:19], 0xdb629599, v10, v[18:19]
	s_delay_alu instid0(VALU_DEP_1) | instskip(NEXT) | instid1(VALU_DEP_1)
	v_dual_mov_b32 v20, v19 :: v_dual_cndmask_b32 v14, v18, v14, vcc_lo
	v_mad_nc_u64_u32 v[20:21], 0xf534ddc0, v10, v[20:21]
	s_delay_alu instid0(VALU_DEP_1) | instskip(NEXT) | instid1(VALU_DEP_1)
	v_mov_b32_e32 v22, v21
	v_mad_nc_u64_u32 v[22:23], 0xfc2757d1, v10, v[22:23]
	s_delay_alu instid0(VALU_DEP_1) | instskip(NEXT) | instid1(VALU_DEP_1)
	v_dual_mov_b32 v24, v23 :: v_dual_cndmask_b32 v19, v22, v18
	v_mad_nc_u64_u32 v[24:25], 0x4e441529, v10, v[24:25]
	v_add_nc_u32_e32 v13, v15, v13
	s_delay_alu instid0(VALU_DEP_2) | instskip(NEXT) | instid1(VALU_DEP_3)
	v_dual_mov_b32 v27, v11 :: v_dual_cndmask_b32 v17, v24, v20, vcc_lo
	v_mov_b32_e32 v26, v25
	s_delay_alu instid0(VALU_DEP_3) | instskip(NEXT) | instid1(VALU_DEP_2)
	v_cmp_lt_u32_e64 s0, 31, v13
	v_mad_nc_u64_u32 v[10:11], 0xa2f9836e, v10, v[26:27]
	s_delay_alu instid0(VALU_DEP_2) | instskip(NEXT) | instid1(VALU_DEP_1)
	v_cndmask_b32_e64 v15, 0, 0xffffffe0, s0
	v_dual_cndmask_b32 v10, v10, v22 :: v_dual_add_nc_u32 v13, v15, v13
	s_delay_alu instid0(VALU_DEP_1) | instskip(NEXT) | instid1(VALU_DEP_4)
	v_cmp_lt_u32_e64 s1, 31, v13
	v_cndmask_b32_e32 v11, v11, v24, vcc_lo
	s_delay_alu instid0(VALU_DEP_2) | instskip(NEXT) | instid1(VALU_DEP_1)
	v_cndmask_b32_e64 v15, 0, 0xffffffe0, s1
	v_dual_add_nc_u32 v13, v15, v13 :: v_dual_cndmask_b32 v15, v20, v16, vcc_lo
	s_delay_alu instid0(VALU_DEP_3) | instskip(NEXT) | instid1(VALU_DEP_2)
	v_dual_cndmask_b32 v16, v10, v17, s0 :: v_dual_cndmask_b32 v10, v11, v10, s0
	v_dual_cndmask_b32 v11, v17, v19, s0 :: v_dual_sub_nc_u32 v17, 32, v13
	s_delay_alu instid0(VALU_DEP_3) | instskip(SKIP_1) | instid1(VALU_DEP_3)
	v_cndmask_b32_e64 v19, v19, v15, s0
	v_cmp_eq_u32_e32 vcc_lo, 0, v13
	v_dual_cndmask_b32 v10, v10, v16, s1 :: v_dual_cndmask_b32 v16, v16, v11, s1
	s_delay_alu instid0(VALU_DEP_1) | instskip(NEXT) | instid1(VALU_DEP_1)
	v_alignbit_b32 v20, v10, v16, v17
	v_dual_cndmask_b32 v11, v11, v19, s1 :: v_dual_cndmask_b32 v10, v20, v10, vcc_lo
	s_delay_alu instid0(VALU_DEP_1) | instskip(SKIP_1) | instid1(VALU_DEP_3)
	v_alignbit_b32 v18, v16, v11, v17
	v_cndmask_b32_e64 v13, v15, v14, s0
	v_bfe_u32 v15, v10, 29, 1
	s_delay_alu instid0(VALU_DEP_2) | instskip(NEXT) | instid1(VALU_DEP_2)
	v_dual_cndmask_b32 v14, v18, v16, vcc_lo :: v_dual_cndmask_b32 v13, v19, v13, s1
	v_sub_nc_u32_e32 v18, 0, v15
	s_delay_alu instid0(VALU_DEP_2) | instskip(NEXT) | instid1(VALU_DEP_3)
	v_alignbit_b32 v16, v10, v14, 30
	v_alignbit_b32 v17, v11, v13, v17
	s_delay_alu instid0(VALU_DEP_1) | instskip(NEXT) | instid1(VALU_DEP_1)
	v_dual_cndmask_b32 v11, v17, v11, vcc_lo :: v_dual_bitop2_b32 v16, v16, v18 bitop3:0x14
	v_clz_i32_u32_e32 v17, v16
	s_delay_alu instid0(VALU_DEP_2) | instskip(SKIP_1) | instid1(VALU_DEP_3)
	v_alignbit_b32 v14, v14, v11, 30
	v_alignbit_b32 v11, v11, v13, 30
	v_min_u32_e32 v17, 32, v17
	s_delay_alu instid0(VALU_DEP_3) | instskip(NEXT) | instid1(VALU_DEP_3)
	v_xor_b32_e32 v13, v14, v18
	v_xor_b32_e32 v11, v11, v18
	s_delay_alu instid0(VALU_DEP_3) | instskip(SKIP_1) | instid1(VALU_DEP_1)
	v_dual_lshrrev_b32 v18, 29, v10 :: v_dual_lshlrev_b32 v19, 23, v17
	v_sub_nc_u32_e32 v14, 31, v17
	v_alignbit_b32 v16, v16, v13, v14
	s_delay_alu instid0(VALU_DEP_4) | instskip(NEXT) | instid1(VALU_DEP_4)
	v_alignbit_b32 v11, v13, v11, v14
	v_lshlrev_b32_e32 v13, 31, v18
	s_delay_alu instid0(VALU_DEP_2) | instskip(NEXT) | instid1(VALU_DEP_2)
	v_alignbit_b32 v14, v16, v11, 9
	v_dual_lshrrev_b32 v16, 9, v16 :: v_dual_bitop2_b32 v18, 0.5, v13 bitop3:0x54
	v_or_b32_e32 v13, 0x33000000, v13
	s_delay_alu instid0(VALU_DEP_3) | instskip(NEXT) | instid1(VALU_DEP_3)
	v_clz_i32_u32_e32 v20, v14
	v_sub_nc_u32_e32 v18, v18, v19
	s_delay_alu instid0(VALU_DEP_2) | instskip(NEXT) | instid1(VALU_DEP_1)
	v_min_u32_e32 v19, 32, v20
	v_add_lshl_u32 v17, v19, v17, 23
	s_delay_alu instid0(VALU_DEP_1) | instskip(SKIP_1) | instid1(VALU_DEP_1)
	v_dual_sub_nc_u32 v13, v13, v17 :: v_dual_bitop2_b32 v16, v16, v18 bitop3:0x54
	v_not_b32_e32 v18, v19
	v_alignbit_b32 v11, v14, v11, v18
	s_delay_alu instid0(VALU_DEP_1) | instskip(NEXT) | instid1(VALU_DEP_1)
	v_dual_mul_f32 v20, 0x3fc90fda, v16 :: v_dual_lshrrev_b32 v11, 9, v11
	v_or_b32_e32 v11, v13, v11
	s_delay_alu instid0(VALU_DEP_2) | instskip(NEXT) | instid1(VALU_DEP_1)
	v_fma_f32 v14, 0x3fc90fda, v16, -v20
	v_fmamk_f32 v14, v16, 0x33a22168, v14
	s_delay_alu instid0(VALU_DEP_1) | instskip(NEXT) | instid1(VALU_DEP_1)
	v_dual_fmac_f32 v14, 0x3fc90fda, v11 :: v_dual_lshrrev_b32 v11, 30, v10
	v_dual_add_f32 v10, v20, v14 :: v_dual_add_nc_u32 v11, v15, v11
	s_or_saveexec_b32 s0, s8
	v_mul_f32_e64 v15, 0x3f22f983, |v5|
	s_xor_b32 exec_lo, exec_lo, s0
	s_branch .LBB19_98
.LBB19_97:
	s_or_saveexec_b32 s0, s8
	v_mul_f32_e64 v15, 0x3f22f983, |v5|
	s_xor_b32 exec_lo, exec_lo, s0
.LBB19_98:
	s_delay_alu instid0(VALU_DEP_1) | instskip(NEXT) | instid1(VALU_DEP_1)
	v_rndne_f32_e32 v11, v15
	v_fma_f32 v10, 0xbfc90fda, v11, |v5|
	s_delay_alu instid0(VALU_DEP_1) | instskip(NEXT) | instid1(VALU_DEP_1)
	v_fmamk_f32 v10, v11, 0xb3a22168, v10
	v_fmamk_f32 v10, v11, 0xa7c234c4, v10
	v_cvt_i32_f32_e32 v11, v11
; %bb.99:
	s_or_b32 exec_lo, exec_lo, s0
                                        ; implicit-def: $vgpr14
                                        ; implicit-def: $vgpr13
	s_and_saveexec_b32 s0, s2
	s_delay_alu instid0(SALU_CYCLE_1)
	s_xor_b32 s2, exec_lo, s0
	s_cbranch_execz .LBB19_101
; %bb.100:
	s_mov_b32 s0, 0x7fffff
	v_mov_b32_e32 v15, 0
	v_and_or_b32 v14, v9, s0, 0x800000
	s_mov_b64 s[0:1], 0xfe5163ab
	s_delay_alu instid0(VALU_DEP_1) | instid1(SALU_CYCLE_1)
	v_mul_u64_e32 v[16:17], s[0:1], v[14:15]
	s_delay_alu instid0(VALU_DEP_1) | instskip(SKIP_2) | instid1(VALU_DEP_3)
	v_dual_mov_b32 v18, v17 :: v_dual_mov_b32 v19, v15
	v_dual_mov_b32 v21, v15 :: v_dual_mov_b32 v23, v15
	;; [unrolled: 1-line block ×3, first 2 shown]
	v_mad_nc_u64_u32 v[18:19], 0x3c439041, v14, v[18:19]
	v_add_nc_u32_e32 v17, 0xffffff88, v12
	s_delay_alu instid0(VALU_DEP_1) | instskip(NEXT) | instid1(VALU_DEP_3)
	v_cmp_lt_u32_e32 vcc_lo, 63, v17
	v_mov_b32_e32 v20, v19
	v_cndmask_b32_e64 v19, 0, 0xffffffc0, vcc_lo
	s_delay_alu instid0(VALU_DEP_2) | instskip(NEXT) | instid1(VALU_DEP_1)
	v_mad_nc_u64_u32 v[20:21], 0xdb629599, v14, v[20:21]
	v_dual_mov_b32 v22, v21 :: v_dual_cndmask_b32 v16, v20, v16, vcc_lo
	s_delay_alu instid0(VALU_DEP_1) | instskip(NEXT) | instid1(VALU_DEP_1)
	v_mad_nc_u64_u32 v[22:23], 0xf534ddc0, v14, v[22:23]
	v_mov_b32_e32 v24, v23
	s_delay_alu instid0(VALU_DEP_1) | instskip(NEXT) | instid1(VALU_DEP_1)
	v_mad_nc_u64_u32 v[24:25], 0xfc2757d1, v14, v[24:25]
	v_mov_b32_e32 v26, v25
	s_delay_alu instid0(VALU_DEP_1) | instskip(NEXT) | instid1(VALU_DEP_1)
	v_mad_nc_u64_u32 v[12:13], 0x4e441529, v14, v[26:27]
	v_dual_mov_b32 v26, v13 :: v_dual_add_nc_u32 v17, v19, v17
	s_delay_alu instid0(VALU_DEP_1) | instskip(NEXT) | instid1(VALU_DEP_3)
	v_cmp_lt_u32_e64 s0, 31, v17
	v_cndmask_b32_e32 v19, v12, v22, vcc_lo
	s_delay_alu instid0(VALU_DEP_3) | instskip(NEXT) | instid1(VALU_DEP_3)
	v_mad_nc_u64_u32 v[14:15], 0xa2f9836e, v14, v[26:27]
	v_cndmask_b32_e64 v13, 0, 0xffffffe0, s0
	s_delay_alu instid0(VALU_DEP_1) | instskip(NEXT) | instid1(VALU_DEP_1)
	v_add_nc_u32_e32 v13, v13, v17
	v_cmp_lt_u32_e64 s1, 31, v13
	s_delay_alu instid0(VALU_DEP_4) | instskip(NEXT) | instid1(VALU_DEP_2)
	v_cndmask_b32_e32 v12, v15, v12, vcc_lo
	v_cndmask_b32_e64 v17, 0, 0xffffffe0, s1
	s_delay_alu instid0(VALU_DEP_1) | instskip(SKIP_1) | instid1(VALU_DEP_2)
	v_dual_cndmask_b32 v14, v14, v24 :: v_dual_add_nc_u32 v13, v17, v13
	v_dual_cndmask_b32 v15, v24, v20, vcc_lo :: v_dual_cndmask_b32 v17, v22, v18, vcc_lo
	v_dual_cndmask_b32 v18, v14, v19, s0 :: v_dual_cndmask_b32 v12, v12, v14, s0
	s_delay_alu instid0(VALU_DEP_3) | instskip(NEXT) | instid1(VALU_DEP_3)
	v_cmp_eq_u32_e32 vcc_lo, 0, v13
	v_dual_cndmask_b32 v14, v19, v15, s0 :: v_dual_sub_nc_u32 v19, 32, v13
	s_delay_alu instid0(VALU_DEP_3) | instskip(NEXT) | instid1(VALU_DEP_2)
	v_dual_cndmask_b32 v15, v15, v17, s0 :: v_dual_cndmask_b32 v12, v12, v18, s1
	v_dual_cndmask_b32 v13, v17, v16, s0 :: v_dual_cndmask_b32 v18, v18, v14, s1
	s_delay_alu instid0(VALU_DEP_2) | instskip(NEXT) | instid1(VALU_DEP_2)
	v_cndmask_b32_e64 v14, v14, v15, s1
	v_alignbit_b32 v21, v12, v18, v19
	s_delay_alu instid0(VALU_DEP_2) | instskip(NEXT) | instid1(VALU_DEP_1)
	v_alignbit_b32 v20, v18, v14, v19
	v_dual_cndmask_b32 v12, v21, v12, vcc_lo :: v_dual_cndmask_b32 v16, v20, v18, vcc_lo
	s_delay_alu instid0(VALU_DEP_1) | instskip(NEXT) | instid1(VALU_DEP_1)
	v_bfe_u32 v17, v12, 29, 1
	v_sub_nc_u32_e32 v18, 0, v17
	v_cndmask_b32_e64 v13, v15, v13, s1
	s_delay_alu instid0(VALU_DEP_4) | instskip(NEXT) | instid1(VALU_DEP_1)
	v_alignbit_b32 v15, v12, v16, 30
	v_xor_b32_e32 v15, v15, v18
	s_delay_alu instid0(VALU_DEP_3) | instskip(NEXT) | instid1(VALU_DEP_1)
	v_alignbit_b32 v19, v14, v13, v19
	v_cndmask_b32_e32 v14, v19, v14, vcc_lo
	s_delay_alu instid0(VALU_DEP_3) | instskip(NEXT) | instid1(VALU_DEP_2)
	v_clz_i32_u32_e32 v19, v15
	v_alignbit_b32 v16, v16, v14, 30
	s_delay_alu instid0(VALU_DEP_2) | instskip(SKIP_1) | instid1(VALU_DEP_2)
	v_min_u32_e32 v19, 32, v19
	v_alignbit_b32 v13, v14, v13, 30
	v_dual_sub_nc_u32 v16, 31, v19 :: v_dual_bitop2_b32 v14, v16, v18 bitop3:0x14
	s_delay_alu instid0(VALU_DEP_2) | instskip(SKIP_1) | instid1(VALU_DEP_3)
	v_dual_lshrrev_b32 v18, 29, v12 :: v_dual_bitop2_b32 v13, v13, v18 bitop3:0x14
	v_dual_lshlrev_b32 v20, 23, v19 :: v_dual_lshrrev_b32 v12, 30, v12
	v_alignbit_b32 v15, v15, v14, v16
	s_delay_alu instid0(VALU_DEP_3) | instskip(NEXT) | instid1(VALU_DEP_4)
	v_alignbit_b32 v13, v14, v13, v16
	v_lshlrev_b32_e32 v14, 31, v18
	s_delay_alu instid0(VALU_DEP_2) | instskip(NEXT) | instid1(VALU_DEP_2)
	v_alignbit_b32 v16, v15, v13, 9
	v_dual_lshrrev_b32 v15, 9, v15 :: v_dual_bitop2_b32 v18, 0.5, v14 bitop3:0x54
	v_or_b32_e32 v14, 0x33000000, v14
	s_delay_alu instid0(VALU_DEP_3) | instskip(NEXT) | instid1(VALU_DEP_3)
	v_clz_i32_u32_e32 v21, v16
	v_sub_nc_u32_e32 v18, v18, v20
	s_delay_alu instid0(VALU_DEP_2) | instskip(NEXT) | instid1(VALU_DEP_1)
	v_min_u32_e32 v20, 32, v21
	v_add_lshl_u32 v19, v20, v19, 23
	s_delay_alu instid0(VALU_DEP_3) | instskip(SKIP_1) | instid1(VALU_DEP_3)
	v_or_b32_e32 v15, v15, v18
	v_not_b32_e32 v18, v20
	v_sub_nc_u32_e32 v14, v14, v19
	s_delay_alu instid0(VALU_DEP_3) | instskip(NEXT) | instid1(VALU_DEP_3)
	v_mul_f32_e32 v21, 0x3fc90fda, v15
	v_alignbit_b32 v13, v16, v13, v18
	s_delay_alu instid0(VALU_DEP_2) | instskip(NEXT) | instid1(VALU_DEP_2)
	v_fma_f32 v16, 0x3fc90fda, v15, -v21
	v_lshrrev_b32_e32 v13, 9, v13
	s_delay_alu instid0(VALU_DEP_2) | instskip(NEXT) | instid1(VALU_DEP_2)
	v_fmamk_f32 v15, v15, 0x33a22168, v16
	v_dual_add_nc_u32 v14, v17, v12 :: v_dual_bitop2_b32 v13, v14, v13 bitop3:0x54
	s_delay_alu instid0(VALU_DEP_1) | instskip(NEXT) | instid1(VALU_DEP_1)
	v_fmac_f32_e32 v15, 0x3fc90fda, v13
	v_add_f32_e32 v13, v21, v15
                                        ; implicit-def: $vgpr15
	s_and_not1_saveexec_b32 s0, s2
	s_cbranch_execnz .LBB19_102
	s_branch .LBB19_103
.LBB19_101:
	s_and_not1_saveexec_b32 s0, s2
.LBB19_102:
	v_rndne_f32_e32 v12, v15
	s_delay_alu instid0(VALU_DEP_1) | instskip(SKIP_1) | instid1(VALU_DEP_2)
	v_fma_f32 v13, 0xbfc90fda, v12, |v5|
	v_cvt_i32_f32_e32 v14, v12
	v_fmamk_f32 v13, v12, 0xb3a22168, v13
	s_delay_alu instid0(VALU_DEP_1)
	v_fmamk_f32 v13, v12, 0xa7c234c4, v13
.LBB19_103:
	s_or_b32 exec_lo, exec_lo, s0
	v_div_scale_f32 v12, null, v8, v8, 0x40a00000
	v_div_scale_f32 v17, vcc_lo, 0x40a00000, v8, 0x40a00000
	s_mov_b32 s0, 0xb94c1982
	v_rcp_f32_e32 v15, v12
	v_mul_f32_e32 v24, 0x4f800000, v8
	s_mov_b32 s1, 0x37d75334
	v_xor_b32_e32 v9, v9, v5
	v_and_b32_e32 v19, 1, v14
	s_delay_alu instid0(TRANS32_DEP_1) | instskip(NEXT) | instid1(VALU_DEP_1)
	v_fma_f32 v16, -v12, v15, 1.0
	v_fmac_f32_e32 v15, v16, v15
	s_delay_alu instid0(VALU_DEP_1) | instskip(NEXT) | instid1(VALU_DEP_1)
	v_mul_f32_e32 v16, v17, v15
	v_fma_f32 v18, -v12, v16, v17
	s_delay_alu instid0(VALU_DEP_1) | instskip(NEXT) | instid1(VALU_DEP_1)
	v_dual_fmac_f32 v16, v18, v15 :: v_dual_mul_f32 v18, v13, v13
	v_fma_f32 v12, -v12, v16, v17
	s_delay_alu instid0(VALU_DEP_2) | instskip(NEXT) | instid1(VALU_DEP_2)
	v_fmaak_f32 v27, s0, v18, 0x3c0881c4
	v_div_fmas_f32 v12, v12, v15, v16
	v_mul_f32_e32 v15, v10, v10
	s_delay_alu instid0(VALU_DEP_3) | instskip(SKIP_1) | instid1(VALU_DEP_4)
	v_fmaak_f32 v27, v18, v27, 0xbe2aaa9d
	v_dual_lshlrev_b32 v11, 30, v11 :: v_dual_bitop2_b32 v16, 1, v11 bitop3:0x40
	v_div_fixup_f32 v12, v12, v8, 0x40a00000
	s_delay_alu instid0(VALU_DEP_4) | instskip(SKIP_1) | instid1(VALU_DEP_4)
	v_fmaak_f32 v25, s0, v15, 0x3c0881c4
	v_cmp_gt_f32_e64 s0, 0xf800000, v8
	v_cmp_eq_u32_e64 s2, 0, v16
	v_and_b32_e32 v11, 0x80000000, v11
	v_mul_f32_e32 v17, v12, v12
	v_dual_fmaak_f32 v25, v15, v25, 0xbe2aaa9d :: v_dual_lshlrev_b32 v14, 30, v14
	v_dual_mul_f32 v27, v18, v27 :: v_dual_fmaak_f32 v28, s1, v18, 0xbab64f3b
	s_delay_alu instid0(VALU_DEP_3) | instskip(SKIP_2) | instid1(VALU_DEP_4)
	v_fmaak_f32 v20, 0, v17, 0x3d513fd3
	v_fmaak_f32 v23, 0, v17, 0x3a47c962
	;; [unrolled: 1-line block ×3, first 2 shown]
	v_dual_mul_f32 v25, v15, v25 :: v_dual_fmac_f32 v13, v13, v27
	s_delay_alu instid0(VALU_DEP_4) | instskip(NEXT) | instid1(VALU_DEP_4)
	v_fmaak_f32 v20, v17, v20, 0x409f6dae
	v_fmaak_f32 v23, v17, v23, 0x3d95ca45
	;; [unrolled: 1-line block ×3, first 2 shown]
	s_delay_alu instid0(VALU_DEP_4) | instskip(NEXT) | instid1(VALU_DEP_4)
	v_dual_fmac_f32 v10, v10, v25 :: v_dual_cndmask_b32 v8, v8, v24, s0
	v_fmaak_f32 v20, v17, v20, 0x4297a5cd
	s_delay_alu instid0(VALU_DEP_3) | instskip(NEXT) | instid1(VALU_DEP_3)
	v_fmaak_f32 v28, v18, v28, 0xbf000004
	v_sqrt_f32_e32 v31, v8
	v_fmaak_f32 v21, v17, v21, 0x3d8cfeeb
	v_fmaak_f32 v23, v17, v23, 0x3f9047f6
	;; [unrolled: 1-line block ×4, first 2 shown]
	v_fma_f32 v18, v18, v28, 1.0
	s_delay_alu instid0(VALU_DEP_4) | instskip(SKIP_1) | instid1(VALU_DEP_4)
	v_fmaak_f32 v23, v17, v23, 0x40a39628
	v_dual_fmaak_f32 v21, v17, v21, 0x3f8d754e :: v_dual_add_nc_u32 v36, 1, v31
	v_fmaak_f32 v20, v17, v20, 0x4431b6ce
	s_delay_alu instid0(VALU_DEP_3) | instskip(NEXT) | instid1(VALU_DEP_3)
	v_fmaak_f32 v23, v17, v23, 0x4106c8e4
	v_fmaak_f32 v21, v17, v21, 0x40a25d18
	s_delay_alu instid0(VALU_DEP_3) | instskip(NEXT) | instid1(VALU_DEP_3)
	v_fmaak_f32 v20, v17, v20, 0x44155f56
	v_fmaak_f32 v23, v17, v23, 0x40a6dd51
	s_delay_alu instid0(VALU_DEP_3) | instskip(NEXT) | instid1(VALU_DEP_3)
	v_fmaak_f32 v21, v17, v21, 0x410665cf
	v_fmaak_f32 v20, v17, v20, 0x4353b052
	s_delay_alu instid0(VALU_DEP_3) | instskip(NEXT) | instid1(VALU_DEP_3)
	v_fma_f32 v23, v17, v23, 1.0
	v_fmaak_f32 v21, v17, v21, 0x40a6b6ea
	s_delay_alu instid0(VALU_DEP_1) | instskip(NEXT) | instid1(VALU_DEP_1)
	v_fma_f32 v21, v17, v21, 1.0
	v_div_scale_f32 v34, vcc_lo, v23, v21, v23
	v_fmaak_f32 v22, v17, v22, 0x44840e5d
	s_delay_alu instid0(VALU_DEP_1) | instskip(NEXT) | instid1(VALU_DEP_1)
	v_fmaak_f32 v22, v17, v22, 0x459bd349
	v_fmaak_f32 v22, v17, v22, 0x46156947
	s_delay_alu instid0(VALU_DEP_1) | instskip(NEXT) | instid1(VALU_DEP_1)
	v_fmaak_f32 v22, v17, v22, 0x45f9e855
	v_fmaak_f32 v22, v17, v22, 0x4530a316
	s_delay_alu instid0(VALU_DEP_1) | instskip(SKIP_2) | instid1(VALU_DEP_2)
	v_fmaak_f32 v22, v17, v22, 0x43a80bfb
	v_fmaak_f32 v17, v17, v20, 0x41c9a7fa
	v_div_scale_f32 v20, null, v21, v21, v23
	v_div_scale_f32 v24, null, v22, v22, v17
	s_delay_alu instid0(VALU_DEP_2) | instskip(NEXT) | instid1(VALU_DEP_1)
	v_rcp_f32_e32 v29, v20
	v_rcp_f32_e32 v30, v24
	s_delay_alu instid0(TRANS32_DEP_2) | instskip(NEXT) | instid1(TRANS32_DEP_1)
	v_fma_f32 v32, -v20, v29, 1.0
	v_fma_f32 v33, -v24, v30, 1.0
	s_delay_alu instid0(VALU_DEP_1) | instskip(NEXT) | instid1(VALU_DEP_1)
	v_dual_fmac_f32 v29, v32, v29 :: v_dual_fmac_f32 v30, v33, v30
	v_dual_add_nc_u32 v33, -1, v31 :: v_dual_mul_f32 v35, v34, v29
	s_delay_alu instid0(VALU_DEP_1) | instskip(SKIP_2) | instid1(VALU_DEP_2)
	v_fma_f32 v25, -v20, v35, v34
	v_fmaak_f32 v26, s1, v15, 0xbab64f3b
	v_div_scale_f32 v32, s1, v17, v22, v17
	v_dual_fmac_f32 v35, v25, v29 :: v_dual_fmaak_f32 v26, v15, v26, 0x3d2aabf7
	s_delay_alu instid0(VALU_DEP_2) | instskip(NEXT) | instid1(VALU_DEP_2)
	v_mul_f32_e32 v37, v32, v30
	v_fmaak_f32 v26, v15, v26, 0xbf000004
	s_delay_alu instid0(VALU_DEP_1) | instskip(NEXT) | instid1(VALU_DEP_1)
	v_fma_f32 v15, v15, v26, 1.0
	v_cndmask_b32_e64 v10, v15, v10, s2
	v_cmp_eq_u32_e64 s2, 0, v19
	v_fma_f32 v26, -v24, v37, v32
	v_dual_fma_f32 v27, -v33, v31, v8 :: v_dual_fma_f32 v25, -v36, v31, v8
	s_delay_alu instid0(VALU_DEP_3) | instskip(NEXT) | instid1(VALU_DEP_3)
	v_dual_fma_f32 v15, -v20, v35, v34 :: v_dual_cndmask_b32 v13, -v13, v18, s2
	v_fmac_f32_e32 v37, v26, v30
	v_xor3_b32 v9, v9, v11, v10
	s_delay_alu instid0(VALU_DEP_3) | instskip(SKIP_3) | instid1(VALU_DEP_1)
	v_div_fmas_f32 v15, v15, v29, v35
	s_mov_b32 vcc_lo, s1
	v_cmp_lt_f32_e64 s1, 0, v25
	v_fma_f32 v16, -v24, v37, v32
	v_div_fmas_f32 v16, v16, v30, v37
	v_cmp_ge_f32_e32 vcc_lo, 0, v27
	s_delay_alu instid0(VALU_DEP_2) | instskip(SKIP_4) | instid1(VALU_DEP_4)
	v_div_fixup_f32 v10, v16, v22, v17
	v_cndmask_b32_e32 v18, v31, v33, vcc_lo
	v_cmp_class_f32_e64 vcc_lo, v5, 0x1f8
	v_bitop3_b32 v5, v14, v13, 0x80000000 bitop3:0x6c
	v_div_fixup_f32 v13, v15, v21, v23
	v_dual_mul_f32 v10, v12, v10 :: v_dual_cndmask_b32 v11, v18, v36, s1
	v_cndmask_b32_e32 v9, 0x7fc00000, v9, vcc_lo
	s_delay_alu instid0(VALU_DEP_4) | instskip(SKIP_1) | instid1(VALU_DEP_2)
	v_cndmask_b32_e32 v5, 0x7fc00000, v5, vcc_lo
	v_cmp_class_f32_e64 vcc_lo, v8, 0x260
	v_dual_mul_f32 v12, 0x37800000, v11 :: v_dual_mul_f32 v5, v10, v5
	s_delay_alu instid0(VALU_DEP_1) | instskip(NEXT) | instid1(VALU_DEP_1)
	v_dual_cndmask_b32 v10, v11, v12, s0 :: v_dual_fmac_f32 v5, v13, v9
	v_dual_cndmask_b32 v8, v10, v8 :: v_dual_mul_f32 v5, 0x3f4c422a, v5
	s_delay_alu instid0(VALU_DEP_1) | instskip(NEXT) | instid1(VALU_DEP_1)
	v_div_scale_f32 v9, null, v8, v8, v5
	v_rcp_f32_e32 v10, v9
	v_nop
	s_delay_alu instid0(TRANS32_DEP_1) | instskip(NEXT) | instid1(VALU_DEP_1)
	v_fma_f32 v11, -v9, v10, 1.0
	v_fmac_f32_e32 v10, v11, v10
	v_div_scale_f32 v11, vcc_lo, v5, v8, v5
	s_delay_alu instid0(VALU_DEP_1) | instskip(NEXT) | instid1(VALU_DEP_1)
	v_mul_f32_e32 v12, v11, v10
	v_fma_f32 v13, -v9, v12, v11
	s_delay_alu instid0(VALU_DEP_1) | instskip(NEXT) | instid1(VALU_DEP_1)
	v_fmac_f32_e32 v12, v13, v10
	v_fma_f32 v9, -v9, v12, v11
	s_delay_alu instid0(VALU_DEP_1) | instskip(NEXT) | instid1(VALU_DEP_1)
	v_div_fmas_f32 v9, v9, v10, v12
	v_div_fixup_f32 v5, v9, v8, v5
.LBB19_104:
	s_or_b32 exec_lo, exec_lo, s3
	global_load_b32 v8, v3, s[6:7]
                                        ; implicit-def: $vgpr3
	s_mov_b32 s0, exec_lo
	s_wait_loadcnt 0x0
	v_cmpx_ge_f32_e32 0x40a00000, v8
	s_xor_b32 s3, exec_lo, s0
	s_cbranch_execz .LBB19_110
; %bb.105:
	v_mov_b32_e32 v3, 0xff800000
	s_mov_b32 s8, exec_lo
	v_cmpx_neq_f32_e32 0, v8
	s_cbranch_execz .LBB19_109
; %bb.106:
	v_mov_b32_e32 v3, 0x7fc00000
	s_mov_b32 s9, exec_lo
	v_cmpx_nge_f32_e32 0, v8
	s_cbranch_execz .LBB19_108
; %bb.107:
	v_mul_f32_e32 v10, v8, v8
	v_mov_b64_e32 v[12:13], 0x4c8c277d4e9695f3
	v_mov_b64_e32 v[16:17], 0x508bc61dd316b96b
	;; [unrolled: 1-line block ×4, first 2 shown]
	v_dual_fmaak_f32 v3, 0, v10, 0x4414934d :: v_dual_mul_f32 v14, 0, v10
	v_fmaak_f32 v9, 0, v10, 0x441b3589
	v_mov_b64_e32 v[22:23], 0x5832585252d295d0
	v_cmp_gt_f32_e64 s0, 0x800000, v8
	s_delay_alu instid0(VALU_DEP_4) | instskip(SKIP_2) | instid1(VALU_DEP_3)
	v_fmaak_f32 v3, v10, v3, 0x48660b06
	v_div_scale_f32 v27, s2, -1.0, v8, -1.0
	v_fmaak_f32 v9, v10, v9, 0x487af6d0
	v_mul_f32_e32 v15, v10, v3
	s_delay_alu instid0(VALU_DEP_2) | instskip(NEXT) | instid1(VALU_DEP_2)
	v_fmaak_f32 v3, v10, v9, 0x4c9f4aa7
	v_pk_add_f32 v[12:13], v[14:15], v[12:13]
	s_delay_alu instid0(VALU_DEP_2) | instskip(NEXT) | instid1(VALU_DEP_2)
	v_fmaak_f32 v3, v10, v3, 0x50a509fc
	v_pk_fma_f32 v[12:13], v[10:11], v[12:13], v[16:17] op_sel_hi:[0,1,1]
	v_mov_b64_e32 v[16:17], 0x580d1937d9e700d2
	s_delay_alu instid0(VALU_DEP_3) | instskip(NEXT) | instid1(VALU_DEP_3)
	v_mul_f32_e32 v15, v10, v3
	v_pk_fma_f32 v[12:13], v[10:11], v[12:13], v[18:19] op_sel_hi:[0,1,1]
	v_mov_b64_e32 v[18:19], 0x5b741f1e5c33cd68
	s_delay_alu instid0(VALU_DEP_3) | instskip(SKIP_1) | instid1(VALU_DEP_4)
	v_pk_add_f32 v[14:15], v[14:15], v[20:21]
	v_mov_b64_e32 v[20:21], 0x5b9f0600d6845497
	v_pk_fma_f32 v[12:13], v[10:11], v[12:13], v[16:17] op_sel_hi:[0,1,1]
	v_mov_b64_e32 v[16:17], 0x5e5c878ddd2cf20b
	s_delay_alu instid0(VALU_DEP_4) | instskip(SKIP_1) | instid1(VALU_DEP_4)
	v_pk_fma_f32 v[14:15], v[10:11], v[14:15], v[22:23] op_sel_hi:[0,1,1]
	v_mov_b64_e32 v[22:23], 0x5e93bcac59515a15
	v_pk_fma_f32 v[12:13], v[10:11], v[12:13], v[18:19] op_sel_hi:[0,1,1]
	v_div_scale_f32 v18, null, v8, v8, -1.0
	s_delay_alu instid0(VALU_DEP_4) | instskip(NEXT) | instid1(VALU_DEP_3)
	v_pk_fma_f32 v[14:15], v[10:11], v[14:15], v[20:21] op_sel_hi:[0,1,1]
	v_pk_fma_f32 v[12:13], v[10:11], v[12:13], v[16:17] op_sel_hi:[0,1,1]
	s_delay_alu instid0(VALU_DEP_2) | instskip(SKIP_1) | instid1(VALU_DEP_3)
	v_pk_fma_f32 v[14:15], v[10:11], v[14:15], v[22:23] op_sel_hi:[0,1,1]
	v_cndmask_b32_e64 v11, 0, 32, s0
	v_div_scale_f32 v3, null, v13, v13, v12
	v_div_scale_f32 v21, vcc_lo, v12, v13, v12
	s_delay_alu instid0(VALU_DEP_4) | instskip(NEXT) | instid1(VALU_DEP_3)
	v_div_scale_f32 v9, null, v15, v15, v14
	v_rcp_f32_e32 v16, v3
	v_div_scale_f32 v22, s1, v14, v15, v14
	s_delay_alu instid0(VALU_DEP_2) | instskip(SKIP_1) | instid1(TRANS32_DEP_2)
	v_rcp_f32_e32 v17, v9
	v_ldexp_f32 v11, v8, v11
	v_fma_f32 v19, -v3, v16, 1.0
	s_delay_alu instid0(VALU_DEP_2) | instskip(NEXT) | instid1(TRANS32_DEP_2)
	v_log_f32_e32 v24, v11
	v_fma_f32 v20, -v9, v17, 1.0
	s_delay_alu instid0(VALU_DEP_2) | instskip(SKIP_1) | instid1(VALU_DEP_1)
	v_fmac_f32_e32 v16, v19, v16
	v_rcp_f32_e32 v19, v18
	v_dual_fmac_f32 v17, v20, v17 :: v_dual_mul_f32 v20, v21, v16
	s_delay_alu instid0(VALU_DEP_1) | instskip(NEXT) | instid1(TRANS32_DEP_1)
	v_mul_f32_e32 v23, v22, v17
	v_fma_f32 v11, -v18, v19, 1.0
	s_delay_alu instid0(VALU_DEP_3) | instskip(NEXT) | instid1(VALU_DEP_2)
	v_fma_f32 v25, -v3, v20, v21
	v_dual_mul_f32 v28, 0x3f317217, v24 :: v_dual_fmac_f32 v19, v11, v19
	s_delay_alu instid0(VALU_DEP_2) | instskip(SKIP_1) | instid1(VALU_DEP_3)
	v_fmac_f32_e32 v20, v25, v16
	v_fma_f32 v26, -v9, v23, v22
	v_fma_f32 v11, 0x3f317217, v24, -v28
	s_delay_alu instid0(VALU_DEP_2) | instskip(SKIP_1) | instid1(VALU_DEP_2)
	v_dual_fma_f32 v3, -v3, v20, v21 :: v_dual_fmac_f32 v23, v26, v17
	v_mul_f32_e32 v21, v27, v19
	v_div_fmas_f32 v3, v3, v16, v20
	s_delay_alu instid0(VALU_DEP_2) | instskip(SKIP_1) | instid1(VALU_DEP_1)
	v_dual_fma_f32 v9, -v9, v23, v22 :: v_dual_fma_f32 v20, -v18, v21, v27
	s_mov_b32 vcc_lo, s1
	v_div_fmas_f32 v9, v9, v17, v23
	v_mov_b64_e32 v[16:17], 0xc16ae95ac244dfb3
	v_cmp_gt_f32_e64 vcc_lo, 0x7f800000, |v24|
	s_delay_alu instid0(VALU_DEP_3) | instskip(SKIP_1) | instid1(VALU_DEP_2)
	v_div_fixup_f32 v9, v9, v15, v14
	v_cndmask_b32_e64 v14, 0, 0x41b17218, s0
	v_mul_f32_e32 v9, v8, v9
	v_fmamk_f32 v22, v24, 0x3377d1cf, v11
	v_pk_add_f32 v[10:11], v[10:11], v[16:17] op_sel_hi:[0,1]
	s_delay_alu instid0(VALU_DEP_1) | instskip(NEXT) | instid1(VALU_DEP_1)
	v_dual_mul_f32 v9, v11, v9 :: v_dual_fmac_f32 v21, v20, v19
	v_dual_fmac_f32 v22, 0x3f317217, v24 :: v_dual_mul_f32 v9, v10, v9
	s_delay_alu instid0(VALU_DEP_1) | instskip(SKIP_1) | instid1(VALU_DEP_1)
	v_dual_fma_f32 v15, -v18, v21, v27 :: v_dual_cndmask_b32 v16, v24, v22, vcc_lo
	s_mov_b32 vcc_lo, s2
	v_div_fmas_f32 v11, v15, v19, v21
	s_delay_alu instid0(VALU_DEP_2) | instskip(NEXT) | instid1(VALU_DEP_2)
	v_sub_f32_e32 v14, v16, v14
	v_div_fixup_f32 v10, v11, v8, -1.0
	s_delay_alu instid0(VALU_DEP_1) | instskip(SKIP_1) | instid1(VALU_DEP_2)
	v_fmac_f32_e32 v10, v14, v9
	v_div_fixup_f32 v9, v3, v13, v12
	v_mul_f32_e32 v3, 0x3f22f983, v10
	s_delay_alu instid0(VALU_DEP_1)
	v_fmac_f32_e32 v3, v8, v9
.LBB19_108:
	s_or_b32 exec_lo, exec_lo, s9
.LBB19_109:
	s_delay_alu instid0(SALU_CYCLE_1)
	s_or_b32 exec_lo, exec_lo, s8
                                        ; implicit-def: $vgpr8
.LBB19_110:
	s_and_not1_saveexec_b32 s3, s3
	s_cbranch_execz .LBB19_120
; %bb.111:
	v_add_f32_e32 v3, 0xc016cbe4, v8
                                        ; implicit-def: $vgpr11
                                        ; implicit-def: $vgpr10
	s_delay_alu instid0(VALU_DEP_1) | instskip(NEXT) | instid1(VALU_DEP_1)
	v_and_b32_e32 v9, 0x7fffffff, v3
	v_lshrrev_b32_e32 v12, 23, v9
	v_cmp_ngt_f32_e64 s2, 0x48000000, |v3|
	s_and_saveexec_b32 s0, s2
	s_delay_alu instid0(SALU_CYCLE_1)
	s_xor_b32 s8, exec_lo, s0
	s_cbranch_execz .LBB19_113
; %bb.112:
	s_mov_b32 s0, 0x7fffff
	v_mov_b32_e32 v11, 0
	v_and_or_b32 v10, v9, s0, 0x800000
	s_mov_b64 s[0:1], 0xfe5163ab
	v_add_nc_u32_e32 v13, 0xffffff88, v12
	s_delay_alu instid0(VALU_DEP_2) | instskip(NEXT) | instid1(VALU_DEP_2)
	v_mul_u64_e32 v[14:15], s[0:1], v[10:11]
	v_cmp_lt_u32_e32 vcc_lo, 63, v13
	s_delay_alu instid0(VALU_DEP_2) | instskip(SKIP_2) | instid1(VALU_DEP_3)
	v_dual_mov_b32 v16, v15 :: v_dual_mov_b32 v17, v11
	v_dual_mov_b32 v19, v11 :: v_dual_mov_b32 v21, v11
	;; [unrolled: 1-line block ×3, first 2 shown]
	v_mad_nc_u64_u32 v[16:17], 0x3c439041, v10, v[16:17]
	v_cndmask_b32_e64 v15, 0, 0xffffffc0, vcc_lo
	s_delay_alu instid0(VALU_DEP_2) | instskip(NEXT) | instid1(VALU_DEP_1)
	v_mov_b32_e32 v18, v17
	v_mad_nc_u64_u32 v[18:19], 0xdb629599, v10, v[18:19]
	s_delay_alu instid0(VALU_DEP_1) | instskip(NEXT) | instid1(VALU_DEP_1)
	v_dual_mov_b32 v20, v19 :: v_dual_cndmask_b32 v14, v18, v14, vcc_lo
	v_mad_nc_u64_u32 v[20:21], 0xf534ddc0, v10, v[20:21]
	s_delay_alu instid0(VALU_DEP_1) | instskip(NEXT) | instid1(VALU_DEP_1)
	v_mov_b32_e32 v22, v21
	v_mad_nc_u64_u32 v[22:23], 0xfc2757d1, v10, v[22:23]
	s_delay_alu instid0(VALU_DEP_1) | instskip(NEXT) | instid1(VALU_DEP_1)
	v_dual_mov_b32 v24, v23 :: v_dual_cndmask_b32 v19, v22, v18
	v_mad_nc_u64_u32 v[24:25], 0x4e441529, v10, v[24:25]
	v_add_nc_u32_e32 v13, v15, v13
	s_delay_alu instid0(VALU_DEP_2) | instskip(NEXT) | instid1(VALU_DEP_3)
	v_dual_mov_b32 v27, v11 :: v_dual_cndmask_b32 v17, v24, v20, vcc_lo
	v_mov_b32_e32 v26, v25
	s_delay_alu instid0(VALU_DEP_3) | instskip(NEXT) | instid1(VALU_DEP_2)
	v_cmp_lt_u32_e64 s0, 31, v13
	v_mad_nc_u64_u32 v[10:11], 0xa2f9836e, v10, v[26:27]
	s_delay_alu instid0(VALU_DEP_2) | instskip(NEXT) | instid1(VALU_DEP_1)
	v_cndmask_b32_e64 v15, 0, 0xffffffe0, s0
	v_dual_cndmask_b32 v10, v10, v22 :: v_dual_add_nc_u32 v13, v15, v13
	s_delay_alu instid0(VALU_DEP_1) | instskip(NEXT) | instid1(VALU_DEP_4)
	v_cmp_lt_u32_e64 s1, 31, v13
	v_cndmask_b32_e32 v11, v11, v24, vcc_lo
	s_delay_alu instid0(VALU_DEP_2) | instskip(NEXT) | instid1(VALU_DEP_1)
	v_cndmask_b32_e64 v15, 0, 0xffffffe0, s1
	v_dual_add_nc_u32 v13, v15, v13 :: v_dual_cndmask_b32 v15, v20, v16, vcc_lo
	s_delay_alu instid0(VALU_DEP_3) | instskip(NEXT) | instid1(VALU_DEP_2)
	v_dual_cndmask_b32 v16, v10, v17, s0 :: v_dual_cndmask_b32 v10, v11, v10, s0
	v_dual_cndmask_b32 v11, v17, v19, s0 :: v_dual_sub_nc_u32 v17, 32, v13
	s_delay_alu instid0(VALU_DEP_3) | instskip(SKIP_1) | instid1(VALU_DEP_3)
	v_cndmask_b32_e64 v19, v19, v15, s0
	v_cmp_eq_u32_e32 vcc_lo, 0, v13
	v_dual_cndmask_b32 v10, v10, v16, s1 :: v_dual_cndmask_b32 v16, v16, v11, s1
	s_delay_alu instid0(VALU_DEP_1) | instskip(NEXT) | instid1(VALU_DEP_1)
	v_alignbit_b32 v20, v10, v16, v17
	v_dual_cndmask_b32 v11, v11, v19, s1 :: v_dual_cndmask_b32 v10, v20, v10, vcc_lo
	s_delay_alu instid0(VALU_DEP_1) | instskip(SKIP_1) | instid1(VALU_DEP_3)
	v_alignbit_b32 v18, v16, v11, v17
	v_cndmask_b32_e64 v13, v15, v14, s0
	v_bfe_u32 v15, v10, 29, 1
	s_delay_alu instid0(VALU_DEP_2) | instskip(NEXT) | instid1(VALU_DEP_2)
	v_dual_cndmask_b32 v14, v18, v16, vcc_lo :: v_dual_cndmask_b32 v13, v19, v13, s1
	v_sub_nc_u32_e32 v18, 0, v15
	s_delay_alu instid0(VALU_DEP_2) | instskip(NEXT) | instid1(VALU_DEP_3)
	v_alignbit_b32 v16, v10, v14, 30
	v_alignbit_b32 v17, v11, v13, v17
	s_delay_alu instid0(VALU_DEP_1) | instskip(NEXT) | instid1(VALU_DEP_1)
	v_dual_cndmask_b32 v11, v17, v11, vcc_lo :: v_dual_bitop2_b32 v16, v16, v18 bitop3:0x14
	v_clz_i32_u32_e32 v17, v16
	s_delay_alu instid0(VALU_DEP_2) | instskip(SKIP_1) | instid1(VALU_DEP_3)
	v_alignbit_b32 v14, v14, v11, 30
	v_alignbit_b32 v11, v11, v13, 30
	v_min_u32_e32 v17, 32, v17
	s_delay_alu instid0(VALU_DEP_3) | instskip(NEXT) | instid1(VALU_DEP_3)
	v_xor_b32_e32 v13, v14, v18
	v_xor_b32_e32 v11, v11, v18
	s_delay_alu instid0(VALU_DEP_3) | instskip(SKIP_1) | instid1(VALU_DEP_1)
	v_dual_lshrrev_b32 v18, 29, v10 :: v_dual_lshlrev_b32 v19, 23, v17
	v_sub_nc_u32_e32 v14, 31, v17
	v_alignbit_b32 v16, v16, v13, v14
	s_delay_alu instid0(VALU_DEP_4) | instskip(NEXT) | instid1(VALU_DEP_4)
	v_alignbit_b32 v11, v13, v11, v14
	v_lshlrev_b32_e32 v13, 31, v18
	s_delay_alu instid0(VALU_DEP_2) | instskip(NEXT) | instid1(VALU_DEP_2)
	v_alignbit_b32 v14, v16, v11, 9
	v_dual_lshrrev_b32 v16, 9, v16 :: v_dual_bitop2_b32 v18, 0.5, v13 bitop3:0x54
	v_or_b32_e32 v13, 0x33000000, v13
	s_delay_alu instid0(VALU_DEP_3) | instskip(NEXT) | instid1(VALU_DEP_3)
	v_clz_i32_u32_e32 v20, v14
	v_sub_nc_u32_e32 v18, v18, v19
	s_delay_alu instid0(VALU_DEP_2) | instskip(NEXT) | instid1(VALU_DEP_1)
	v_min_u32_e32 v19, 32, v20
	v_add_lshl_u32 v17, v19, v17, 23
	s_delay_alu instid0(VALU_DEP_1) | instskip(SKIP_1) | instid1(VALU_DEP_1)
	v_dual_sub_nc_u32 v13, v13, v17 :: v_dual_bitop2_b32 v16, v16, v18 bitop3:0x54
	v_not_b32_e32 v18, v19
	v_alignbit_b32 v11, v14, v11, v18
	s_delay_alu instid0(VALU_DEP_1) | instskip(NEXT) | instid1(VALU_DEP_1)
	v_dual_mul_f32 v20, 0x3fc90fda, v16 :: v_dual_lshrrev_b32 v11, 9, v11
	v_or_b32_e32 v11, v13, v11
	s_delay_alu instid0(VALU_DEP_2) | instskip(NEXT) | instid1(VALU_DEP_1)
	v_fma_f32 v14, 0x3fc90fda, v16, -v20
	v_fmamk_f32 v14, v16, 0x33a22168, v14
	s_delay_alu instid0(VALU_DEP_1) | instskip(NEXT) | instid1(VALU_DEP_1)
	v_dual_fmac_f32 v14, 0x3fc90fda, v11 :: v_dual_lshrrev_b32 v11, 30, v10
	v_dual_add_f32 v10, v20, v14 :: v_dual_add_nc_u32 v11, v15, v11
	s_or_saveexec_b32 s0, s8
	v_mul_f32_e64 v15, 0x3f22f983, |v3|
	s_xor_b32 exec_lo, exec_lo, s0
	s_branch .LBB19_114
.LBB19_113:
	s_or_saveexec_b32 s0, s8
	v_mul_f32_e64 v15, 0x3f22f983, |v3|
	s_xor_b32 exec_lo, exec_lo, s0
.LBB19_114:
	s_delay_alu instid0(VALU_DEP_1) | instskip(NEXT) | instid1(VALU_DEP_1)
	v_rndne_f32_e32 v11, v15
	v_fma_f32 v10, 0xbfc90fda, v11, |v3|
	s_delay_alu instid0(VALU_DEP_1) | instskip(NEXT) | instid1(VALU_DEP_1)
	v_fmamk_f32 v10, v11, 0xb3a22168, v10
	v_fmamk_f32 v10, v11, 0xa7c234c4, v10
	v_cvt_i32_f32_e32 v11, v11
; %bb.115:
	s_or_b32 exec_lo, exec_lo, s0
                                        ; implicit-def: $vgpr14
                                        ; implicit-def: $vgpr13
	s_and_saveexec_b32 s0, s2
	s_delay_alu instid0(SALU_CYCLE_1)
	s_xor_b32 s2, exec_lo, s0
	s_cbranch_execz .LBB19_117
; %bb.116:
	s_mov_b32 s0, 0x7fffff
	v_mov_b32_e32 v15, 0
	v_and_or_b32 v14, v9, s0, 0x800000
	s_mov_b64 s[0:1], 0xfe5163ab
	s_delay_alu instid0(VALU_DEP_1) | instid1(SALU_CYCLE_1)
	v_mul_u64_e32 v[16:17], s[0:1], v[14:15]
	s_delay_alu instid0(VALU_DEP_1) | instskip(SKIP_2) | instid1(VALU_DEP_3)
	v_dual_mov_b32 v18, v17 :: v_dual_mov_b32 v19, v15
	v_dual_mov_b32 v21, v15 :: v_dual_mov_b32 v23, v15
	v_dual_mov_b32 v25, v15 :: v_dual_mov_b32 v27, v15
	v_mad_nc_u64_u32 v[18:19], 0x3c439041, v14, v[18:19]
	v_add_nc_u32_e32 v17, 0xffffff88, v12
	s_delay_alu instid0(VALU_DEP_1) | instskip(NEXT) | instid1(VALU_DEP_3)
	v_cmp_lt_u32_e32 vcc_lo, 63, v17
	v_mov_b32_e32 v20, v19
	v_cndmask_b32_e64 v19, 0, 0xffffffc0, vcc_lo
	s_delay_alu instid0(VALU_DEP_2) | instskip(NEXT) | instid1(VALU_DEP_1)
	v_mad_nc_u64_u32 v[20:21], 0xdb629599, v14, v[20:21]
	v_dual_mov_b32 v22, v21 :: v_dual_cndmask_b32 v16, v20, v16, vcc_lo
	s_delay_alu instid0(VALU_DEP_1) | instskip(NEXT) | instid1(VALU_DEP_1)
	v_mad_nc_u64_u32 v[22:23], 0xf534ddc0, v14, v[22:23]
	v_mov_b32_e32 v24, v23
	s_delay_alu instid0(VALU_DEP_1) | instskip(NEXT) | instid1(VALU_DEP_1)
	v_mad_nc_u64_u32 v[24:25], 0xfc2757d1, v14, v[24:25]
	v_mov_b32_e32 v26, v25
	s_delay_alu instid0(VALU_DEP_1) | instskip(NEXT) | instid1(VALU_DEP_1)
	v_mad_nc_u64_u32 v[12:13], 0x4e441529, v14, v[26:27]
	v_dual_mov_b32 v26, v13 :: v_dual_add_nc_u32 v17, v19, v17
	s_delay_alu instid0(VALU_DEP_1) | instskip(NEXT) | instid1(VALU_DEP_3)
	v_cmp_lt_u32_e64 s0, 31, v17
	v_cndmask_b32_e32 v19, v12, v22, vcc_lo
	s_delay_alu instid0(VALU_DEP_3) | instskip(NEXT) | instid1(VALU_DEP_3)
	v_mad_nc_u64_u32 v[14:15], 0xa2f9836e, v14, v[26:27]
	v_cndmask_b32_e64 v13, 0, 0xffffffe0, s0
	s_delay_alu instid0(VALU_DEP_1) | instskip(NEXT) | instid1(VALU_DEP_1)
	v_add_nc_u32_e32 v13, v13, v17
	v_cmp_lt_u32_e64 s1, 31, v13
	s_delay_alu instid0(VALU_DEP_4) | instskip(NEXT) | instid1(VALU_DEP_2)
	v_cndmask_b32_e32 v12, v15, v12, vcc_lo
	v_cndmask_b32_e64 v17, 0, 0xffffffe0, s1
	s_delay_alu instid0(VALU_DEP_1) | instskip(SKIP_1) | instid1(VALU_DEP_2)
	v_dual_cndmask_b32 v14, v14, v24 :: v_dual_add_nc_u32 v13, v17, v13
	v_dual_cndmask_b32 v15, v24, v20, vcc_lo :: v_dual_cndmask_b32 v17, v22, v18, vcc_lo
	v_dual_cndmask_b32 v18, v14, v19, s0 :: v_dual_cndmask_b32 v12, v12, v14, s0
	s_delay_alu instid0(VALU_DEP_3) | instskip(NEXT) | instid1(VALU_DEP_3)
	v_cmp_eq_u32_e32 vcc_lo, 0, v13
	v_dual_cndmask_b32 v14, v19, v15, s0 :: v_dual_sub_nc_u32 v19, 32, v13
	s_delay_alu instid0(VALU_DEP_3) | instskip(NEXT) | instid1(VALU_DEP_2)
	v_dual_cndmask_b32 v15, v15, v17, s0 :: v_dual_cndmask_b32 v12, v12, v18, s1
	v_dual_cndmask_b32 v13, v17, v16, s0 :: v_dual_cndmask_b32 v18, v18, v14, s1
	s_delay_alu instid0(VALU_DEP_2) | instskip(NEXT) | instid1(VALU_DEP_2)
	v_cndmask_b32_e64 v14, v14, v15, s1
	v_alignbit_b32 v21, v12, v18, v19
	s_delay_alu instid0(VALU_DEP_2) | instskip(NEXT) | instid1(VALU_DEP_1)
	v_alignbit_b32 v20, v18, v14, v19
	v_dual_cndmask_b32 v12, v21, v12, vcc_lo :: v_dual_cndmask_b32 v16, v20, v18, vcc_lo
	s_delay_alu instid0(VALU_DEP_1) | instskip(NEXT) | instid1(VALU_DEP_1)
	v_bfe_u32 v17, v12, 29, 1
	v_sub_nc_u32_e32 v18, 0, v17
	v_cndmask_b32_e64 v13, v15, v13, s1
	s_delay_alu instid0(VALU_DEP_4) | instskip(NEXT) | instid1(VALU_DEP_1)
	v_alignbit_b32 v15, v12, v16, 30
	v_xor_b32_e32 v15, v15, v18
	s_delay_alu instid0(VALU_DEP_3) | instskip(NEXT) | instid1(VALU_DEP_1)
	v_alignbit_b32 v19, v14, v13, v19
	v_cndmask_b32_e32 v14, v19, v14, vcc_lo
	s_delay_alu instid0(VALU_DEP_3) | instskip(NEXT) | instid1(VALU_DEP_2)
	v_clz_i32_u32_e32 v19, v15
	v_alignbit_b32 v16, v16, v14, 30
	s_delay_alu instid0(VALU_DEP_2) | instskip(SKIP_1) | instid1(VALU_DEP_2)
	v_min_u32_e32 v19, 32, v19
	v_alignbit_b32 v13, v14, v13, 30
	v_dual_sub_nc_u32 v16, 31, v19 :: v_dual_bitop2_b32 v14, v16, v18 bitop3:0x14
	s_delay_alu instid0(VALU_DEP_2) | instskip(SKIP_1) | instid1(VALU_DEP_3)
	v_dual_lshrrev_b32 v18, 29, v12 :: v_dual_bitop2_b32 v13, v13, v18 bitop3:0x14
	v_dual_lshlrev_b32 v20, 23, v19 :: v_dual_lshrrev_b32 v12, 30, v12
	v_alignbit_b32 v15, v15, v14, v16
	s_delay_alu instid0(VALU_DEP_3) | instskip(NEXT) | instid1(VALU_DEP_4)
	v_alignbit_b32 v13, v14, v13, v16
	v_lshlrev_b32_e32 v14, 31, v18
	s_delay_alu instid0(VALU_DEP_2) | instskip(NEXT) | instid1(VALU_DEP_2)
	v_alignbit_b32 v16, v15, v13, 9
	v_dual_lshrrev_b32 v15, 9, v15 :: v_dual_bitop2_b32 v18, 0.5, v14 bitop3:0x54
	v_or_b32_e32 v14, 0x33000000, v14
	s_delay_alu instid0(VALU_DEP_3) | instskip(NEXT) | instid1(VALU_DEP_3)
	v_clz_i32_u32_e32 v21, v16
	v_sub_nc_u32_e32 v18, v18, v20
	s_delay_alu instid0(VALU_DEP_2) | instskip(NEXT) | instid1(VALU_DEP_1)
	v_min_u32_e32 v20, 32, v21
	v_add_lshl_u32 v19, v20, v19, 23
	s_delay_alu instid0(VALU_DEP_3) | instskip(SKIP_1) | instid1(VALU_DEP_3)
	v_or_b32_e32 v15, v15, v18
	v_not_b32_e32 v18, v20
	v_sub_nc_u32_e32 v14, v14, v19
	s_delay_alu instid0(VALU_DEP_3) | instskip(NEXT) | instid1(VALU_DEP_3)
	v_mul_f32_e32 v21, 0x3fc90fda, v15
	v_alignbit_b32 v13, v16, v13, v18
	s_delay_alu instid0(VALU_DEP_2) | instskip(NEXT) | instid1(VALU_DEP_2)
	v_fma_f32 v16, 0x3fc90fda, v15, -v21
	v_lshrrev_b32_e32 v13, 9, v13
	s_delay_alu instid0(VALU_DEP_2) | instskip(NEXT) | instid1(VALU_DEP_2)
	v_fmamk_f32 v15, v15, 0x33a22168, v16
	v_dual_add_nc_u32 v14, v17, v12 :: v_dual_bitop2_b32 v13, v14, v13 bitop3:0x54
	s_delay_alu instid0(VALU_DEP_1) | instskip(NEXT) | instid1(VALU_DEP_1)
	v_fmac_f32_e32 v15, 0x3fc90fda, v13
	v_add_f32_e32 v13, v21, v15
                                        ; implicit-def: $vgpr15
	s_and_not1_saveexec_b32 s0, s2
	s_cbranch_execnz .LBB19_118
	s_branch .LBB19_119
.LBB19_117:
	s_and_not1_saveexec_b32 s0, s2
.LBB19_118:
	v_rndne_f32_e32 v12, v15
	s_delay_alu instid0(VALU_DEP_1) | instskip(SKIP_1) | instid1(VALU_DEP_2)
	v_fma_f32 v13, 0xbfc90fda, v12, |v3|
	v_cvt_i32_f32_e32 v14, v12
	v_fmamk_f32 v13, v12, 0xb3a22168, v13
	s_delay_alu instid0(VALU_DEP_1)
	v_fmamk_f32 v13, v12, 0xa7c234c4, v13
.LBB19_119:
	s_or_b32 exec_lo, exec_lo, s0
	v_div_scale_f32 v12, null, v8, v8, 0x40a00000
	v_div_scale_f32 v17, vcc_lo, 0x40a00000, v8, 0x40a00000
	s_mov_b32 s0, 0xb94c1982
	v_rcp_f32_e32 v15, v12
	v_mul_f32_e32 v24, 0x4f800000, v8
	s_mov_b32 s1, 0x37d75334
	v_xor_b32_e32 v9, v9, v3
	s_delay_alu instid0(TRANS32_DEP_1) | instskip(NEXT) | instid1(VALU_DEP_1)
	v_fma_f32 v16, -v12, v15, 1.0
	v_fmac_f32_e32 v15, v16, v15
	s_delay_alu instid0(VALU_DEP_1) | instskip(NEXT) | instid1(VALU_DEP_1)
	v_mul_f32_e32 v16, v17, v15
	v_fma_f32 v18, -v12, v16, v17
	s_delay_alu instid0(VALU_DEP_1) | instskip(NEXT) | instid1(VALU_DEP_1)
	v_dual_fmac_f32 v16, v18, v15 :: v_dual_mul_f32 v18, v13, v13
	v_fma_f32 v12, -v12, v16, v17
	s_delay_alu instid0(VALU_DEP_2) | instskip(NEXT) | instid1(VALU_DEP_2)
	v_fmaak_f32 v27, s0, v18, 0x3c0881c4
	v_div_fmas_f32 v12, v12, v15, v16
	v_mul_f32_e32 v15, v10, v10
	s_delay_alu instid0(VALU_DEP_3) | instskip(SKIP_1) | instid1(VALU_DEP_4)
	v_fmaak_f32 v27, v18, v27, 0xbe2aaa9d
	v_dual_lshlrev_b32 v11, 30, v11 :: v_dual_bitop2_b32 v16, 1, v11 bitop3:0x40
	v_div_fixup_f32 v12, v12, v8, 0x40a00000
	s_delay_alu instid0(VALU_DEP_4)
	v_fmaak_f32 v25, s0, v15, 0x3c0881c4
	v_cmp_gt_f32_e64 s0, 0xf800000, v8
	v_and_b32_e32 v19, 1, v14
	v_cmp_eq_u32_e64 s2, 0, v16
	v_mul_f32_e32 v17, v12, v12
	v_fmaak_f32 v25, v15, v25, 0xbe2aaa9d
	v_dual_cndmask_b32 v8, v8, v24, s0 :: v_dual_lshlrev_b32 v14, 30, v14
	v_and_b32_e32 v11, 0x80000000, v11
	s_delay_alu instid0(VALU_DEP_4) | instskip(NEXT) | instid1(VALU_DEP_3)
	v_dual_fmaak_f32 v20, 0, v17, 0x3d513fd3 :: v_dual_mul_f32 v27, v18, v27
	v_sqrt_f32_e32 v31, v8
	v_fmaak_f32 v21, 0, v17, 0x3a15c4d9
	v_fmaak_f32 v23, 0, v17, 0x3a47c962
	s_delay_alu instid0(VALU_DEP_3)
	v_dual_fmaak_f32 v20, v17, v20, 0x409f6dae :: v_dual_mul_f32 v25, v15, v25
	v_fmaak_f32 v22, 0, v17, 0x42947983
	s_delay_alu instid0(TRANS32_DEP_1) | instid1(VALU_DEP_4)
	v_dual_fmaak_f32 v21, v17, v21, 0x3d8cfeeb :: v_dual_add_nc_u32 v36, 1, v31
	s_delay_alu instid0(VALU_DEP_3) | instskip(NEXT) | instid1(VALU_DEP_4)
	v_dual_fmaak_f32 v23, v17, v23, 0x3d95ca45 :: v_dual_fmac_f32 v10, v10, v25
	v_fmaak_f32 v20, v17, v20, 0x4297a5cd
	s_delay_alu instid0(VALU_DEP_3) | instskip(SKIP_1) | instid1(VALU_DEP_4)
	v_fmaak_f32 v21, v17, v21, 0x3f8d754e
	v_dual_fmaak_f32 v28, s1, v18, 0xbab64f3b :: v_dual_fmac_f32 v13, v13, v27
	v_fmaak_f32 v23, v17, v23, 0x3f9047f6
	s_delay_alu instid0(VALU_DEP_4) | instskip(NEXT) | instid1(VALU_DEP_4)
	v_fmaak_f32 v20, v17, v20, 0x43b763ca
	v_fmaak_f32 v21, v17, v21, 0x40a25d18
	s_delay_alu instid0(VALU_DEP_4) | instskip(NEXT) | instid1(VALU_DEP_4)
	v_fmaak_f32 v28, v18, v28, 0x3d2aabf7
	;; [unrolled: 3-line block ×5, first 2 shown]
	v_fmaak_f32 v21, v17, v21, 0x40a6b6ea
	s_delay_alu instid0(VALU_DEP_4) | instskip(NEXT) | instid1(VALU_DEP_4)
	v_fma_f32 v18, v18, v28, 1.0
	v_fmaak_f32 v23, v17, v23, 0x40a6dd51
	s_delay_alu instid0(VALU_DEP_4) | instskip(NEXT) | instid1(VALU_DEP_4)
	v_fmaak_f32 v20, v17, v20, 0x4353b052
	v_fma_f32 v21, v17, v21, 1.0
	s_delay_alu instid0(VALU_DEP_3) | instskip(NEXT) | instid1(VALU_DEP_1)
	v_fma_f32 v23, v17, v23, 1.0
	v_div_scale_f32 v34, vcc_lo, v23, v21, v23
	v_fmaak_f32 v22, v17, v22, 0x44840e5d
	s_delay_alu instid0(VALU_DEP_1) | instskip(NEXT) | instid1(VALU_DEP_1)
	v_fmaak_f32 v22, v17, v22, 0x459bd349
	v_fmaak_f32 v22, v17, v22, 0x46156947
	s_delay_alu instid0(VALU_DEP_1) | instskip(NEXT) | instid1(VALU_DEP_1)
	v_fmaak_f32 v22, v17, v22, 0x45f9e855
	v_fmaak_f32 v22, v17, v22, 0x4530a316
	s_delay_alu instid0(VALU_DEP_1) | instskip(SKIP_2) | instid1(VALU_DEP_2)
	v_fmaak_f32 v22, v17, v22, 0x43a80bfb
	v_fmaak_f32 v17, v17, v20, 0x41c9a7fa
	v_div_scale_f32 v20, null, v21, v21, v23
	v_div_scale_f32 v24, null, v22, v22, v17
	s_delay_alu instid0(VALU_DEP_2) | instskip(NEXT) | instid1(VALU_DEP_1)
	v_rcp_f32_e32 v29, v20
	v_rcp_f32_e32 v30, v24
	s_delay_alu instid0(TRANS32_DEP_2) | instskip(NEXT) | instid1(TRANS32_DEP_1)
	v_fma_f32 v32, -v20, v29, 1.0
	v_fma_f32 v33, -v24, v30, 1.0
	s_delay_alu instid0(VALU_DEP_1) | instskip(NEXT) | instid1(VALU_DEP_1)
	v_dual_fmac_f32 v29, v32, v29 :: v_dual_fmac_f32 v30, v33, v30
	v_dual_add_nc_u32 v33, -1, v31 :: v_dual_mul_f32 v35, v34, v29
	s_delay_alu instid0(VALU_DEP_1) | instskip(NEXT) | instid1(VALU_DEP_2)
	v_fma_f32 v27, -v33, v31, v8
	v_fma_f32 v25, -v20, v35, v34
	v_fmaak_f32 v26, s1, v15, 0xbab64f3b
	v_div_scale_f32 v32, s1, v17, v22, v17
	s_delay_alu instid0(VALU_DEP_2) | instskip(NEXT) | instid1(VALU_DEP_2)
	v_dual_fmac_f32 v35, v25, v29 :: v_dual_fmaak_f32 v26, v15, v26, 0x3d2aabf7
	v_mul_f32_e32 v37, v32, v30
	v_fma_f32 v25, -v36, v31, v8
	s_delay_alu instid0(VALU_DEP_3) | instskip(NEXT) | instid1(VALU_DEP_1)
	v_fmaak_f32 v26, v15, v26, 0xbf000004
	v_fma_f32 v15, v15, v26, 1.0
	s_delay_alu instid0(VALU_DEP_1) | instskip(SKIP_3) | instid1(VALU_DEP_4)
	v_cndmask_b32_e64 v10, v15, v10, s2
	v_cmp_eq_u32_e64 s2, 0, v19
	v_fma_f32 v26, -v24, v37, v32
	v_fma_f32 v15, -v20, v35, v34
	v_xor3_b32 v9, v9, v11, v10
	s_delay_alu instid0(VALU_DEP_4) | instskip(NEXT) | instid1(VALU_DEP_4)
	v_cndmask_b32_e64 v13, -v13, v18, s2
	v_fmac_f32_e32 v37, v26, v30
	s_delay_alu instid0(VALU_DEP_4) | instskip(SKIP_2) | instid1(VALU_DEP_3)
	v_div_fmas_f32 v15, v15, v29, v35
	s_mov_b32 vcc_lo, s1
	v_cmp_lt_f32_e64 s1, 0, v25
	v_fma_f32 v16, -v24, v37, v32
	s_delay_alu instid0(VALU_DEP_1) | instskip(SKIP_1) | instid1(VALU_DEP_2)
	v_div_fmas_f32 v16, v16, v30, v37
	v_cmp_ge_f32_e32 vcc_lo, 0, v27
	v_div_fixup_f32 v10, v16, v22, v17
	v_cndmask_b32_e32 v18, v31, v33, vcc_lo
	v_cmp_class_f32_e64 vcc_lo, v3, 0x1f8
	v_bitop3_b32 v3, v14, v13, 0x80000000 bitop3:0x6c
	v_div_fixup_f32 v13, v15, v21, v23
	s_delay_alu instid0(VALU_DEP_4) | instskip(SKIP_1) | instid1(VALU_DEP_4)
	v_dual_mul_f32 v10, v12, v10 :: v_dual_cndmask_b32 v11, v18, v36, s1
	v_cndmask_b32_e32 v9, 0x7fc00000, v9, vcc_lo
	v_cndmask_b32_e32 v3, 0x7fc00000, v3, vcc_lo
	v_cmp_class_f32_e64 vcc_lo, v8, 0x260
	s_delay_alu instid0(VALU_DEP_4) | instskip(NEXT) | instid1(VALU_DEP_1)
	v_mul_f32_e32 v12, 0x37800000, v11
	v_dual_mul_f32 v3, v10, v3 :: v_dual_cndmask_b32 v10, v11, v12, s0
	s_delay_alu instid0(VALU_DEP_1) | instskip(NEXT) | instid1(VALU_DEP_1)
	v_dual_fmac_f32 v3, v13, v9 :: v_dual_cndmask_b32 v8, v10, v8
	v_mul_f32_e32 v3, 0x3f4c422a, v3
	s_delay_alu instid0(VALU_DEP_1) | instskip(NEXT) | instid1(VALU_DEP_1)
	v_div_scale_f32 v9, null, v8, v8, v3
	v_rcp_f32_e32 v10, v9
	v_nop
	s_delay_alu instid0(TRANS32_DEP_1) | instskip(NEXT) | instid1(VALU_DEP_1)
	v_fma_f32 v11, -v9, v10, 1.0
	v_fmac_f32_e32 v10, v11, v10
	v_div_scale_f32 v11, vcc_lo, v3, v8, v3
	s_delay_alu instid0(VALU_DEP_1) | instskip(NEXT) | instid1(VALU_DEP_1)
	v_mul_f32_e32 v12, v11, v10
	v_fma_f32 v13, -v9, v12, v11
	s_delay_alu instid0(VALU_DEP_1) | instskip(NEXT) | instid1(VALU_DEP_1)
	v_fmac_f32_e32 v12, v13, v10
	v_fma_f32 v9, -v9, v12, v11
	s_delay_alu instid0(VALU_DEP_1) | instskip(NEXT) | instid1(VALU_DEP_1)
	v_div_fmas_f32 v9, v9, v10, v12
	v_div_fixup_f32 v3, v9, v8, v3
.LBB19_120:
	s_or_b32 exec_lo, exec_lo, s3
	global_load_b32 v7, v7, s[6:7]
                                        ; implicit-def: $vgpr8
	s_mov_b32 s0, exec_lo
	s_wait_loadcnt 0x0
	v_cmpx_ge_f32_e32 0x40a00000, v7
	s_xor_b32 s3, exec_lo, s0
	s_cbranch_execz .LBB19_126
; %bb.121:
	v_mov_b32_e32 v8, 0xff800000
	s_mov_b32 s6, exec_lo
	v_cmpx_neq_f32_e32 0, v7
	s_cbranch_execz .LBB19_125
; %bb.122:
	v_mov_b32_e32 v8, 0x7fc00000
	s_mov_b32 s7, exec_lo
	v_cmpx_nge_f32_e32 0, v7
	s_cbranch_execz .LBB19_124
; %bb.123:
	v_mul_f32_e32 v8, v7, v7
	v_mov_b64_e32 v[16:17], 0x5461faf856d04aa6
	v_mov_b64_e32 v[18:19], 0x548a37dcce5691e2
	;; [unrolled: 1-line block ×3, first 2 shown]
	v_cmp_gt_f32_e64 s0, 0x800000, v7
	v_dual_fmaak_f32 v9, 0, v8, 0x4414934d :: v_dual_mul_f32 v12, 0, v8
	v_div_scale_f32 v27, s2, -1.0, v7, -1.0
	s_delay_alu instid0(VALU_DEP_2) | instskip(NEXT) | instid1(VALU_DEP_1)
	v_fmaak_f32 v9, v8, v9, 0x48660b06
	v_dual_fmaak_f32 v10, 0, v8, 0x441b3589 :: v_dual_mul_f32 v13, v8, v9
	s_delay_alu instid0(VALU_DEP_1) | instskip(SKIP_1) | instid1(VALU_DEP_2)
	v_fmaak_f32 v14, v8, v10, 0x487af6d0
	v_mov_b64_e32 v[10:11], 0x4c8c277d4e9695f3
	v_fmaak_f32 v9, v8, v14, 0x4c9f4aa7
	v_mov_b64_e32 v[14:15], 0x508bc61dd316b96b
	s_delay_alu instid0(VALU_DEP_3) | instskip(NEXT) | instid1(VALU_DEP_3)
	v_pk_add_f32 v[10:11], v[12:13], v[10:11]
	v_fmaak_f32 v9, v8, v9, 0x50a509fc
	s_delay_alu instid0(VALU_DEP_1) | instskip(SKIP_2) | instid1(VALU_DEP_3)
	v_pk_fma_f32 v[10:11], v[8:9], v[10:11], v[14:15] op_sel_hi:[0,1,1]
	v_mov_b64_e32 v[14:15], 0x580d1937d9e700d2
	v_mul_f32_e32 v13, v8, v9
	v_pk_fma_f32 v[10:11], v[8:9], v[10:11], v[16:17] op_sel_hi:[0,1,1]
	v_mov_b64_e32 v[16:17], 0x5b741f1e5c33cd68
	s_delay_alu instid0(VALU_DEP_3) | instskip(SKIP_1) | instid1(VALU_DEP_4)
	v_pk_add_f32 v[12:13], v[12:13], v[18:19]
	v_mov_b64_e32 v[18:19], 0x5b9f0600d6845497
	v_pk_fma_f32 v[10:11], v[8:9], v[10:11], v[14:15] op_sel_hi:[0,1,1]
	v_mov_b64_e32 v[14:15], 0x5e5c878ddd2cf20b
	s_delay_alu instid0(VALU_DEP_4) | instskip(SKIP_1) | instid1(VALU_DEP_4)
	v_pk_fma_f32 v[12:13], v[8:9], v[12:13], v[20:21] op_sel_hi:[0,1,1]
	v_mov_b64_e32 v[20:21], 0x5e93bcac59515a15
	v_pk_fma_f32 v[10:11], v[8:9], v[10:11], v[16:17] op_sel_hi:[0,1,1]
	s_delay_alu instid0(VALU_DEP_3) | instskip(SKIP_1) | instid1(VALU_DEP_3)
	v_pk_fma_f32 v[12:13], v[8:9], v[12:13], v[18:19] op_sel_hi:[0,1,1]
	v_div_scale_f32 v18, null, v7, v7, -1.0
	v_pk_fma_f32 v[10:11], v[8:9], v[10:11], v[14:15] op_sel_hi:[0,1,1]
	v_cndmask_b32_e64 v15, 0, 32, s0
	s_delay_alu instid0(VALU_DEP_4) | instskip(NEXT) | instid1(VALU_DEP_3)
	v_pk_fma_f32 v[12:13], v[8:9], v[12:13], v[20:21] op_sel_hi:[0,1,1]
	v_div_scale_f32 v9, null, v11, v11, v10
	s_delay_alu instid0(VALU_DEP_2) | instskip(SKIP_1) | instid1(VALU_DEP_3)
	v_div_scale_f32 v14, null, v13, v13, v12
	v_div_scale_f32 v21, vcc_lo, v10, v11, v10
	v_rcp_f32_e32 v16, v9
	s_delay_alu instid0(VALU_DEP_2) | instskip(SKIP_2) | instid1(TRANS32_DEP_2)
	v_rcp_f32_e32 v17, v14
	v_div_scale_f32 v22, s1, v12, v13, v12
	v_ldexp_f32 v15, v7, v15
	v_fma_f32 v19, -v9, v16, 1.0
	s_delay_alu instid0(TRANS32_DEP_1) | instskip(NEXT) | instid1(VALU_DEP_3)
	v_fma_f32 v20, -v14, v17, 1.0
	v_log_f32_e32 v24, v15
	s_delay_alu instid0(VALU_DEP_1) | instskip(SKIP_1) | instid1(VALU_DEP_1)
	v_dual_fmac_f32 v16, v19, v16 :: v_dual_fmac_f32 v17, v20, v17
	v_rcp_f32_e32 v19, v18
	v_dual_mul_f32 v20, v21, v16 :: v_dual_mul_f32 v23, v22, v17
	s_delay_alu instid0(TRANS32_DEP_1) | instskip(NEXT) | instid1(VALU_DEP_2)
	v_fma_f32 v15, -v18, v19, 1.0
	v_fma_f32 v25, -v9, v20, v21
	s_delay_alu instid0(TRANS32_DEP_2) | instid1(VALU_DEP_2)
	v_dual_mul_f32 v28, 0x3f317217, v24 :: v_dual_fmac_f32 v19, v15, v19
	s_delay_alu instid0(VALU_DEP_2) | instskip(NEXT) | instid1(VALU_DEP_2)
	v_dual_fmac_f32 v20, v25, v16 :: v_dual_fma_f32 v26, -v14, v23, v22
	v_fma_f32 v25, 0x3f317217, v24, -v28
	s_delay_alu instid0(VALU_DEP_2) | instskip(NEXT) | instid1(VALU_DEP_4)
	v_dual_fma_f32 v9, -v9, v20, v21 :: v_dual_fmac_f32 v23, v26, v17
	v_mul_f32_e32 v21, v27, v19
	s_delay_alu instid0(VALU_DEP_2) | instskip(NEXT) | instid1(VALU_DEP_3)
	v_div_fmas_f32 v16, v9, v16, v20
	v_fma_f32 v14, -v14, v23, v22
	s_mov_b32 vcc_lo, s1
	s_delay_alu instid0(VALU_DEP_2) | instskip(NEXT) | instid1(VALU_DEP_2)
	v_div_fixup_f32 v10, v16, v11, v10
	v_div_fmas_f32 v9, v14, v17, v23
	v_mov_b64_e32 v[14:15], 0xc16ae95ac244dfb3
	v_fma_f32 v17, -v18, v21, v27
	v_cmp_gt_f32_e64 vcc_lo, 0x7f800000, |v24|
	s_delay_alu instid0(VALU_DEP_4) | instskip(SKIP_2) | instid1(VALU_DEP_3)
	v_div_fixup_f32 v12, v9, v13, v12
	v_cndmask_b32_e64 v13, 0, 0x41b17218, s0
	v_pk_add_f32 v[8:9], v[8:9], v[14:15] op_sel_hi:[0,1]
	v_mul_f32_e32 v12, v7, v12
	s_delay_alu instid0(VALU_DEP_1) | instskip(NEXT) | instid1(VALU_DEP_1)
	v_dual_fmamk_f32 v20, v24, 0x3377d1cf, v25 :: v_dual_mul_f32 v9, v9, v12
	v_dual_fmac_f32 v21, v17, v19 :: v_dual_fmac_f32 v20, 0x3f317217, v24
	s_delay_alu instid0(VALU_DEP_2) | instskip(NEXT) | instid1(VALU_DEP_2)
	v_mul_f32_e32 v8, v8, v9
	v_dual_fma_f32 v14, -v18, v21, v27 :: v_dual_cndmask_b32 v15, v24, v20, vcc_lo
	s_mov_b32 vcc_lo, s2
	s_delay_alu instid0(VALU_DEP_1) | instskip(NEXT) | instid1(VALU_DEP_2)
	v_div_fmas_f32 v12, v14, v19, v21
	v_sub_f32_e32 v13, v15, v13
	s_delay_alu instid0(VALU_DEP_2) | instskip(NEXT) | instid1(VALU_DEP_1)
	v_div_fixup_f32 v9, v12, v7, -1.0
	v_fmac_f32_e32 v9, v13, v8
	s_delay_alu instid0(VALU_DEP_1) | instskip(NEXT) | instid1(VALU_DEP_1)
	v_mul_f32_e32 v8, 0x3f22f983, v9
	v_fmac_f32_e32 v8, v7, v10
.LBB19_124:
	s_or_b32 exec_lo, exec_lo, s7
.LBB19_125:
	s_delay_alu instid0(SALU_CYCLE_1)
	s_or_b32 exec_lo, exec_lo, s6
                                        ; implicit-def: $vgpr7
.LBB19_126:
	s_and_not1_saveexec_b32 s3, s3
	s_cbranch_execz .LBB19_136
; %bb.127:
	v_add_f32_e32 v8, 0xc016cbe4, v7
                                        ; implicit-def: $vgpr11
                                        ; implicit-def: $vgpr10
	s_delay_alu instid0(VALU_DEP_1) | instskip(SKIP_1) | instid1(VALU_DEP_2)
	v_and_b32_e32 v9, 0x7fffffff, v8
	v_cmp_ngt_f32_e64 s2, 0x48000000, |v8|
	v_lshrrev_b32_e32 v12, 23, v9
	s_and_saveexec_b32 s0, s2
	s_delay_alu instid0(SALU_CYCLE_1)
	s_xor_b32 s6, exec_lo, s0
	s_cbranch_execz .LBB19_129
; %bb.128:
	s_mov_b32 s0, 0x7fffff
	v_mov_b32_e32 v11, 0
	v_and_or_b32 v10, v9, s0, 0x800000
	s_mov_b64 s[0:1], 0xfe5163ab
	v_add_nc_u32_e32 v13, 0xffffff88, v12
	s_delay_alu instid0(VALU_DEP_2) | instskip(NEXT) | instid1(VALU_DEP_2)
	v_mul_u64_e32 v[14:15], s[0:1], v[10:11]
	v_cmp_lt_u32_e32 vcc_lo, 63, v13
	s_delay_alu instid0(VALU_DEP_2) | instskip(SKIP_2) | instid1(VALU_DEP_3)
	v_dual_mov_b32 v16, v15 :: v_dual_mov_b32 v17, v11
	v_dual_mov_b32 v19, v11 :: v_dual_mov_b32 v21, v11
	;; [unrolled: 1-line block ×3, first 2 shown]
	v_mad_nc_u64_u32 v[16:17], 0x3c439041, v10, v[16:17]
	v_cndmask_b32_e64 v15, 0, 0xffffffc0, vcc_lo
	s_delay_alu instid0(VALU_DEP_2) | instskip(NEXT) | instid1(VALU_DEP_1)
	v_mov_b32_e32 v18, v17
	v_mad_nc_u64_u32 v[18:19], 0xdb629599, v10, v[18:19]
	s_delay_alu instid0(VALU_DEP_1) | instskip(NEXT) | instid1(VALU_DEP_1)
	v_dual_mov_b32 v20, v19 :: v_dual_cndmask_b32 v14, v18, v14, vcc_lo
	v_mad_nc_u64_u32 v[20:21], 0xf534ddc0, v10, v[20:21]
	s_delay_alu instid0(VALU_DEP_1) | instskip(NEXT) | instid1(VALU_DEP_1)
	v_mov_b32_e32 v22, v21
	v_mad_nc_u64_u32 v[22:23], 0xfc2757d1, v10, v[22:23]
	s_delay_alu instid0(VALU_DEP_1) | instskip(NEXT) | instid1(VALU_DEP_1)
	v_dual_mov_b32 v24, v23 :: v_dual_cndmask_b32 v19, v22, v18
	v_mad_nc_u64_u32 v[24:25], 0x4e441529, v10, v[24:25]
	v_add_nc_u32_e32 v13, v15, v13
	s_delay_alu instid0(VALU_DEP_2) | instskip(NEXT) | instid1(VALU_DEP_3)
	v_dual_mov_b32 v27, v11 :: v_dual_cndmask_b32 v17, v24, v20, vcc_lo
	v_mov_b32_e32 v26, v25
	s_delay_alu instid0(VALU_DEP_3) | instskip(NEXT) | instid1(VALU_DEP_2)
	v_cmp_lt_u32_e64 s0, 31, v13
	v_mad_nc_u64_u32 v[10:11], 0xa2f9836e, v10, v[26:27]
	s_delay_alu instid0(VALU_DEP_2) | instskip(NEXT) | instid1(VALU_DEP_1)
	v_cndmask_b32_e64 v15, 0, 0xffffffe0, s0
	v_dual_cndmask_b32 v10, v10, v22 :: v_dual_add_nc_u32 v13, v15, v13
	s_delay_alu instid0(VALU_DEP_1) | instskip(NEXT) | instid1(VALU_DEP_4)
	v_cmp_lt_u32_e64 s1, 31, v13
	v_cndmask_b32_e32 v11, v11, v24, vcc_lo
	s_delay_alu instid0(VALU_DEP_2) | instskip(NEXT) | instid1(VALU_DEP_1)
	v_cndmask_b32_e64 v15, 0, 0xffffffe0, s1
	v_dual_add_nc_u32 v13, v15, v13 :: v_dual_cndmask_b32 v15, v20, v16, vcc_lo
	s_delay_alu instid0(VALU_DEP_3) | instskip(NEXT) | instid1(VALU_DEP_2)
	v_dual_cndmask_b32 v16, v10, v17, s0 :: v_dual_cndmask_b32 v10, v11, v10, s0
	v_dual_cndmask_b32 v11, v17, v19, s0 :: v_dual_sub_nc_u32 v17, 32, v13
	s_delay_alu instid0(VALU_DEP_3) | instskip(SKIP_1) | instid1(VALU_DEP_3)
	v_cndmask_b32_e64 v19, v19, v15, s0
	v_cmp_eq_u32_e32 vcc_lo, 0, v13
	v_dual_cndmask_b32 v10, v10, v16, s1 :: v_dual_cndmask_b32 v16, v16, v11, s1
	s_delay_alu instid0(VALU_DEP_1) | instskip(NEXT) | instid1(VALU_DEP_1)
	v_alignbit_b32 v20, v10, v16, v17
	v_dual_cndmask_b32 v11, v11, v19, s1 :: v_dual_cndmask_b32 v10, v20, v10, vcc_lo
	s_delay_alu instid0(VALU_DEP_1) | instskip(SKIP_1) | instid1(VALU_DEP_3)
	v_alignbit_b32 v18, v16, v11, v17
	v_cndmask_b32_e64 v13, v15, v14, s0
	v_bfe_u32 v15, v10, 29, 1
	s_delay_alu instid0(VALU_DEP_2) | instskip(NEXT) | instid1(VALU_DEP_2)
	v_dual_cndmask_b32 v14, v18, v16, vcc_lo :: v_dual_cndmask_b32 v13, v19, v13, s1
	v_sub_nc_u32_e32 v18, 0, v15
	s_delay_alu instid0(VALU_DEP_2) | instskip(NEXT) | instid1(VALU_DEP_3)
	v_alignbit_b32 v16, v10, v14, 30
	v_alignbit_b32 v17, v11, v13, v17
	s_delay_alu instid0(VALU_DEP_1) | instskip(NEXT) | instid1(VALU_DEP_1)
	v_dual_cndmask_b32 v11, v17, v11, vcc_lo :: v_dual_bitop2_b32 v16, v16, v18 bitop3:0x14
	v_clz_i32_u32_e32 v17, v16
	s_delay_alu instid0(VALU_DEP_2) | instskip(SKIP_1) | instid1(VALU_DEP_3)
	v_alignbit_b32 v14, v14, v11, 30
	v_alignbit_b32 v11, v11, v13, 30
	v_min_u32_e32 v17, 32, v17
	s_delay_alu instid0(VALU_DEP_3) | instskip(NEXT) | instid1(VALU_DEP_3)
	v_xor_b32_e32 v13, v14, v18
	v_xor_b32_e32 v11, v11, v18
	s_delay_alu instid0(VALU_DEP_3) | instskip(SKIP_1) | instid1(VALU_DEP_1)
	v_dual_lshrrev_b32 v18, 29, v10 :: v_dual_lshlrev_b32 v19, 23, v17
	v_sub_nc_u32_e32 v14, 31, v17
	v_alignbit_b32 v16, v16, v13, v14
	s_delay_alu instid0(VALU_DEP_4) | instskip(NEXT) | instid1(VALU_DEP_4)
	v_alignbit_b32 v11, v13, v11, v14
	v_lshlrev_b32_e32 v13, 31, v18
	s_delay_alu instid0(VALU_DEP_2) | instskip(NEXT) | instid1(VALU_DEP_2)
	v_alignbit_b32 v14, v16, v11, 9
	v_dual_lshrrev_b32 v16, 9, v16 :: v_dual_bitop2_b32 v18, 0.5, v13 bitop3:0x54
	v_or_b32_e32 v13, 0x33000000, v13
	s_delay_alu instid0(VALU_DEP_3) | instskip(NEXT) | instid1(VALU_DEP_3)
	v_clz_i32_u32_e32 v20, v14
	v_sub_nc_u32_e32 v18, v18, v19
	s_delay_alu instid0(VALU_DEP_2) | instskip(NEXT) | instid1(VALU_DEP_1)
	v_min_u32_e32 v19, 32, v20
	v_add_lshl_u32 v17, v19, v17, 23
	s_delay_alu instid0(VALU_DEP_1) | instskip(SKIP_1) | instid1(VALU_DEP_1)
	v_dual_sub_nc_u32 v13, v13, v17 :: v_dual_bitop2_b32 v16, v16, v18 bitop3:0x54
	v_not_b32_e32 v18, v19
	v_alignbit_b32 v11, v14, v11, v18
	s_delay_alu instid0(VALU_DEP_1) | instskip(NEXT) | instid1(VALU_DEP_1)
	v_dual_mul_f32 v20, 0x3fc90fda, v16 :: v_dual_lshrrev_b32 v11, 9, v11
	v_or_b32_e32 v11, v13, v11
	s_delay_alu instid0(VALU_DEP_2) | instskip(NEXT) | instid1(VALU_DEP_1)
	v_fma_f32 v14, 0x3fc90fda, v16, -v20
	v_fmamk_f32 v14, v16, 0x33a22168, v14
	s_delay_alu instid0(VALU_DEP_1) | instskip(NEXT) | instid1(VALU_DEP_1)
	v_dual_fmac_f32 v14, 0x3fc90fda, v11 :: v_dual_lshrrev_b32 v11, 30, v10
	v_dual_add_f32 v10, v20, v14 :: v_dual_add_nc_u32 v11, v15, v11
	s_or_saveexec_b32 s0, s6
	v_mul_f32_e64 v15, 0x3f22f983, |v8|
	s_xor_b32 exec_lo, exec_lo, s0
	s_branch .LBB19_130
.LBB19_129:
	s_or_saveexec_b32 s0, s6
	v_mul_f32_e64 v15, 0x3f22f983, |v8|
	s_xor_b32 exec_lo, exec_lo, s0
.LBB19_130:
	s_delay_alu instid0(VALU_DEP_1) | instskip(NEXT) | instid1(VALU_DEP_1)
	v_rndne_f32_e32 v11, v15
	v_fma_f32 v10, 0xbfc90fda, v11, |v8|
	s_delay_alu instid0(VALU_DEP_1) | instskip(NEXT) | instid1(VALU_DEP_1)
	v_fmamk_f32 v10, v11, 0xb3a22168, v10
	v_fmamk_f32 v10, v11, 0xa7c234c4, v10
	v_cvt_i32_f32_e32 v11, v11
; %bb.131:
	s_or_b32 exec_lo, exec_lo, s0
                                        ; implicit-def: $vgpr14
                                        ; implicit-def: $vgpr13
	s_and_saveexec_b32 s0, s2
	s_delay_alu instid0(SALU_CYCLE_1)
	s_xor_b32 s2, exec_lo, s0
	s_cbranch_execz .LBB19_133
; %bb.132:
	s_mov_b32 s0, 0x7fffff
	v_mov_b32_e32 v15, 0
	v_and_or_b32 v14, v9, s0, 0x800000
	s_mov_b64 s[0:1], 0xfe5163ab
	s_delay_alu instid0(VALU_DEP_1) | instid1(SALU_CYCLE_1)
	v_mul_u64_e32 v[16:17], s[0:1], v[14:15]
	s_delay_alu instid0(VALU_DEP_1) | instskip(SKIP_2) | instid1(VALU_DEP_3)
	v_dual_mov_b32 v18, v17 :: v_dual_mov_b32 v19, v15
	v_dual_mov_b32 v21, v15 :: v_dual_mov_b32 v23, v15
	;; [unrolled: 1-line block ×3, first 2 shown]
	v_mad_nc_u64_u32 v[18:19], 0x3c439041, v14, v[18:19]
	v_add_nc_u32_e32 v17, 0xffffff88, v12
	s_delay_alu instid0(VALU_DEP_1) | instskip(NEXT) | instid1(VALU_DEP_3)
	v_cmp_lt_u32_e32 vcc_lo, 63, v17
	v_mov_b32_e32 v20, v19
	v_cndmask_b32_e64 v19, 0, 0xffffffc0, vcc_lo
	s_delay_alu instid0(VALU_DEP_2) | instskip(NEXT) | instid1(VALU_DEP_1)
	v_mad_nc_u64_u32 v[20:21], 0xdb629599, v14, v[20:21]
	v_dual_mov_b32 v22, v21 :: v_dual_cndmask_b32 v16, v20, v16, vcc_lo
	s_delay_alu instid0(VALU_DEP_1) | instskip(NEXT) | instid1(VALU_DEP_1)
	v_mad_nc_u64_u32 v[22:23], 0xf534ddc0, v14, v[22:23]
	v_mov_b32_e32 v24, v23
	s_delay_alu instid0(VALU_DEP_1) | instskip(NEXT) | instid1(VALU_DEP_1)
	v_mad_nc_u64_u32 v[24:25], 0xfc2757d1, v14, v[24:25]
	v_mov_b32_e32 v26, v25
	s_delay_alu instid0(VALU_DEP_1) | instskip(NEXT) | instid1(VALU_DEP_1)
	v_mad_nc_u64_u32 v[12:13], 0x4e441529, v14, v[26:27]
	v_dual_mov_b32 v26, v13 :: v_dual_add_nc_u32 v17, v19, v17
	s_delay_alu instid0(VALU_DEP_1) | instskip(NEXT) | instid1(VALU_DEP_3)
	v_cmp_lt_u32_e64 s0, 31, v17
	v_cndmask_b32_e32 v19, v12, v22, vcc_lo
	s_delay_alu instid0(VALU_DEP_3) | instskip(NEXT) | instid1(VALU_DEP_3)
	v_mad_nc_u64_u32 v[14:15], 0xa2f9836e, v14, v[26:27]
	v_cndmask_b32_e64 v13, 0, 0xffffffe0, s0
	s_delay_alu instid0(VALU_DEP_1) | instskip(NEXT) | instid1(VALU_DEP_1)
	v_add_nc_u32_e32 v13, v13, v17
	v_cmp_lt_u32_e64 s1, 31, v13
	s_delay_alu instid0(VALU_DEP_4) | instskip(NEXT) | instid1(VALU_DEP_2)
	v_cndmask_b32_e32 v12, v15, v12, vcc_lo
	v_cndmask_b32_e64 v17, 0, 0xffffffe0, s1
	s_delay_alu instid0(VALU_DEP_1) | instskip(SKIP_1) | instid1(VALU_DEP_2)
	v_dual_cndmask_b32 v14, v14, v24 :: v_dual_add_nc_u32 v13, v17, v13
	v_dual_cndmask_b32 v15, v24, v20, vcc_lo :: v_dual_cndmask_b32 v17, v22, v18, vcc_lo
	v_dual_cndmask_b32 v18, v14, v19, s0 :: v_dual_cndmask_b32 v12, v12, v14, s0
	s_delay_alu instid0(VALU_DEP_3) | instskip(NEXT) | instid1(VALU_DEP_3)
	v_cmp_eq_u32_e32 vcc_lo, 0, v13
	v_dual_cndmask_b32 v14, v19, v15, s0 :: v_dual_sub_nc_u32 v19, 32, v13
	s_delay_alu instid0(VALU_DEP_3) | instskip(NEXT) | instid1(VALU_DEP_2)
	v_dual_cndmask_b32 v15, v15, v17, s0 :: v_dual_cndmask_b32 v12, v12, v18, s1
	v_dual_cndmask_b32 v13, v17, v16, s0 :: v_dual_cndmask_b32 v18, v18, v14, s1
	s_delay_alu instid0(VALU_DEP_2) | instskip(NEXT) | instid1(VALU_DEP_2)
	v_cndmask_b32_e64 v14, v14, v15, s1
	v_alignbit_b32 v21, v12, v18, v19
	s_delay_alu instid0(VALU_DEP_2) | instskip(NEXT) | instid1(VALU_DEP_1)
	v_alignbit_b32 v20, v18, v14, v19
	v_dual_cndmask_b32 v12, v21, v12, vcc_lo :: v_dual_cndmask_b32 v16, v20, v18, vcc_lo
	s_delay_alu instid0(VALU_DEP_1) | instskip(NEXT) | instid1(VALU_DEP_1)
	v_bfe_u32 v17, v12, 29, 1
	v_sub_nc_u32_e32 v18, 0, v17
	v_cndmask_b32_e64 v13, v15, v13, s1
	s_delay_alu instid0(VALU_DEP_4) | instskip(NEXT) | instid1(VALU_DEP_1)
	v_alignbit_b32 v15, v12, v16, 30
	v_xor_b32_e32 v15, v15, v18
	s_delay_alu instid0(VALU_DEP_3) | instskip(NEXT) | instid1(VALU_DEP_1)
	v_alignbit_b32 v19, v14, v13, v19
	v_cndmask_b32_e32 v14, v19, v14, vcc_lo
	s_delay_alu instid0(VALU_DEP_3) | instskip(NEXT) | instid1(VALU_DEP_2)
	v_clz_i32_u32_e32 v19, v15
	v_alignbit_b32 v16, v16, v14, 30
	s_delay_alu instid0(VALU_DEP_2) | instskip(SKIP_1) | instid1(VALU_DEP_2)
	v_min_u32_e32 v19, 32, v19
	v_alignbit_b32 v13, v14, v13, 30
	v_dual_sub_nc_u32 v16, 31, v19 :: v_dual_bitop2_b32 v14, v16, v18 bitop3:0x14
	s_delay_alu instid0(VALU_DEP_2) | instskip(SKIP_1) | instid1(VALU_DEP_3)
	v_dual_lshrrev_b32 v18, 29, v12 :: v_dual_bitop2_b32 v13, v13, v18 bitop3:0x14
	v_dual_lshlrev_b32 v20, 23, v19 :: v_dual_lshrrev_b32 v12, 30, v12
	v_alignbit_b32 v15, v15, v14, v16
	s_delay_alu instid0(VALU_DEP_3) | instskip(NEXT) | instid1(VALU_DEP_4)
	v_alignbit_b32 v13, v14, v13, v16
	v_lshlrev_b32_e32 v14, 31, v18
	s_delay_alu instid0(VALU_DEP_2) | instskip(NEXT) | instid1(VALU_DEP_2)
	v_alignbit_b32 v16, v15, v13, 9
	v_dual_lshrrev_b32 v15, 9, v15 :: v_dual_bitop2_b32 v18, 0.5, v14 bitop3:0x54
	v_or_b32_e32 v14, 0x33000000, v14
	s_delay_alu instid0(VALU_DEP_3) | instskip(NEXT) | instid1(VALU_DEP_3)
	v_clz_i32_u32_e32 v21, v16
	v_sub_nc_u32_e32 v18, v18, v20
	s_delay_alu instid0(VALU_DEP_2) | instskip(NEXT) | instid1(VALU_DEP_1)
	v_min_u32_e32 v20, 32, v21
	v_add_lshl_u32 v19, v20, v19, 23
	s_delay_alu instid0(VALU_DEP_3) | instskip(SKIP_1) | instid1(VALU_DEP_3)
	v_or_b32_e32 v15, v15, v18
	v_not_b32_e32 v18, v20
	v_sub_nc_u32_e32 v14, v14, v19
	s_delay_alu instid0(VALU_DEP_3) | instskip(NEXT) | instid1(VALU_DEP_3)
	v_mul_f32_e32 v21, 0x3fc90fda, v15
	v_alignbit_b32 v13, v16, v13, v18
	s_delay_alu instid0(VALU_DEP_2) | instskip(NEXT) | instid1(VALU_DEP_2)
	v_fma_f32 v16, 0x3fc90fda, v15, -v21
	v_lshrrev_b32_e32 v13, 9, v13
	s_delay_alu instid0(VALU_DEP_2) | instskip(NEXT) | instid1(VALU_DEP_2)
	v_fmamk_f32 v15, v15, 0x33a22168, v16
	v_dual_add_nc_u32 v14, v17, v12 :: v_dual_bitop2_b32 v13, v14, v13 bitop3:0x54
	s_delay_alu instid0(VALU_DEP_1) | instskip(NEXT) | instid1(VALU_DEP_1)
	v_fmac_f32_e32 v15, 0x3fc90fda, v13
	v_add_f32_e32 v13, v21, v15
                                        ; implicit-def: $vgpr15
	s_and_not1_saveexec_b32 s0, s2
	s_cbranch_execnz .LBB19_134
	s_branch .LBB19_135
.LBB19_133:
	s_and_not1_saveexec_b32 s0, s2
.LBB19_134:
	v_rndne_f32_e32 v12, v15
	s_delay_alu instid0(VALU_DEP_1) | instskip(SKIP_1) | instid1(VALU_DEP_2)
	v_fma_f32 v13, 0xbfc90fda, v12, |v8|
	v_cvt_i32_f32_e32 v14, v12
	v_fmamk_f32 v13, v12, 0xb3a22168, v13
	s_delay_alu instid0(VALU_DEP_1)
	v_fmamk_f32 v13, v12, 0xa7c234c4, v13
.LBB19_135:
	s_or_b32 exec_lo, exec_lo, s0
	v_div_scale_f32 v12, null, v7, v7, 0x40a00000
	v_div_scale_f32 v17, vcc_lo, 0x40a00000, v7, 0x40a00000
	s_mov_b32 s0, 0xb94c1982
	v_rcp_f32_e32 v15, v12
	v_mul_f32_e32 v24, 0x4f800000, v7
	s_mov_b32 s1, 0x37d75334
	v_xor_b32_e32 v9, v9, v8
	v_and_b32_e32 v19, 1, v14
	s_delay_alu instid0(TRANS32_DEP_1) | instskip(NEXT) | instid1(VALU_DEP_1)
	v_fma_f32 v16, -v12, v15, 1.0
	v_fmac_f32_e32 v15, v16, v15
	s_delay_alu instid0(VALU_DEP_1) | instskip(NEXT) | instid1(VALU_DEP_1)
	v_mul_f32_e32 v16, v17, v15
	v_fma_f32 v18, -v12, v16, v17
	s_delay_alu instid0(VALU_DEP_1) | instskip(NEXT) | instid1(VALU_DEP_1)
	v_dual_fmac_f32 v16, v18, v15 :: v_dual_mul_f32 v18, v13, v13
	v_fma_f32 v12, -v12, v16, v17
	s_delay_alu instid0(VALU_DEP_2) | instskip(NEXT) | instid1(VALU_DEP_2)
	v_fmaak_f32 v27, s0, v18, 0x3c0881c4
	v_div_fmas_f32 v12, v12, v15, v16
	v_mul_f32_e32 v15, v10, v10
	s_delay_alu instid0(VALU_DEP_3) | instskip(SKIP_1) | instid1(VALU_DEP_4)
	v_fmaak_f32 v27, v18, v27, 0xbe2aaa9d
	v_dual_lshlrev_b32 v11, 30, v11 :: v_dual_bitop2_b32 v16, 1, v11 bitop3:0x40
	v_div_fixup_f32 v12, v12, v7, 0x40a00000
	s_delay_alu instid0(VALU_DEP_4) | instskip(SKIP_1) | instid1(VALU_DEP_4)
	v_fmaak_f32 v25, s0, v15, 0x3c0881c4
	v_cmp_gt_f32_e64 s0, 0xf800000, v7
	v_cmp_eq_u32_e64 s2, 0, v16
	v_and_b32_e32 v11, 0x80000000, v11
	v_dual_mul_f32 v17, v12, v12 :: v_dual_lshlrev_b32 v14, 30, v14
	s_delay_alu instid0(VALU_DEP_4) | instskip(SKIP_1) | instid1(VALU_DEP_3)
	v_cndmask_b32_e64 v7, v7, v24, s0
	v_fmaak_f32 v25, v15, v25, 0xbe2aaa9d
	v_dual_mul_f32 v27, v18, v27 :: v_dual_fmaak_f32 v20, 0, v17, 0x3d513fd3
	v_fmaak_f32 v21, 0, v17, 0x3a15c4d9
	v_fmaak_f32 v23, 0, v17, 0x3a47c962
	v_sqrt_f32_e32 v31, v7
	v_fmaak_f32 v22, 0, v17, 0x42947983
	v_dual_fmaak_f32 v20, v17, v20, 0x409f6dae :: v_dual_mul_f32 v25, v15, v25
	v_fmaak_f32 v21, v17, v21, 0x3d8cfeeb
	v_fmaak_f32 v23, v17, v23, 0x3d95ca45
	v_dual_fmaak_f32 v28, s1, v18, 0xbab64f3b :: v_dual_fmac_f32 v13, v13, v27
	s_delay_alu instid0(TRANS32_DEP_1) | instid1(VALU_DEP_3)
	v_dual_fmaak_f32 v21, v17, v21, 0x3f8d754e :: v_dual_add_nc_u32 v36, 1, v31
	s_delay_alu instid0(VALU_DEP_3) | instskip(SKIP_1) | instid1(VALU_DEP_4)
	v_dual_fmac_f32 v10, v10, v25 :: v_dual_fmaak_f32 v23, v17, v23, 0x3f9047f6
	v_fmaak_f32 v20, v17, v20, 0x4297a5cd
	v_fmaak_f32 v28, v18, v28, 0x3d2aabf7
	s_delay_alu instid0(VALU_DEP_4) | instskip(NEXT) | instid1(VALU_DEP_4)
	v_fmaak_f32 v21, v17, v21, 0x40a25d18
	v_fmaak_f32 v23, v17, v23, 0x40a39628
	s_delay_alu instid0(VALU_DEP_4) | instskip(NEXT) | instid1(VALU_DEP_4)
	;; [unrolled: 3-line block ×4, first 2 shown]
	v_fmaak_f32 v20, v17, v20, 0x4431b6ce
	v_fma_f32 v18, v18, v28, 1.0
	s_delay_alu instid0(VALU_DEP_4) | instskip(NEXT) | instid1(VALU_DEP_4)
	v_fmaak_f32 v21, v17, v21, 0x40a6b6ea
	v_fmaak_f32 v23, v17, v23, 0x40a6dd51
	s_delay_alu instid0(VALU_DEP_4) | instskip(NEXT) | instid1(VALU_DEP_3)
	v_fmaak_f32 v20, v17, v20, 0x44155f56
	v_fma_f32 v21, v17, v21, 1.0
	s_delay_alu instid0(VALU_DEP_3) | instskip(NEXT) | instid1(VALU_DEP_3)
	v_fma_f32 v23, v17, v23, 1.0
	v_fmaak_f32 v20, v17, v20, 0x4353b052
	s_delay_alu instid0(VALU_DEP_2) | instskip(SKIP_1) | instid1(VALU_DEP_1)
	v_div_scale_f32 v34, vcc_lo, v23, v21, v23
	v_fmaak_f32 v22, v17, v22, 0x44840e5d
	v_fmaak_f32 v22, v17, v22, 0x459bd349
	s_delay_alu instid0(VALU_DEP_1) | instskip(NEXT) | instid1(VALU_DEP_1)
	v_fmaak_f32 v22, v17, v22, 0x46156947
	v_fmaak_f32 v22, v17, v22, 0x45f9e855
	s_delay_alu instid0(VALU_DEP_1) | instskip(NEXT) | instid1(VALU_DEP_1)
	v_fmaak_f32 v22, v17, v22, 0x4530a316
	v_fmaak_f32 v22, v17, v22, 0x43a80bfb
	;; [unrolled: 1-line block ×3, first 2 shown]
	v_div_scale_f32 v20, null, v21, v21, v23
	s_delay_alu instid0(VALU_DEP_2) | instskip(NEXT) | instid1(VALU_DEP_2)
	v_div_scale_f32 v24, null, v22, v22, v17
	v_rcp_f32_e32 v29, v20
	s_delay_alu instid0(VALU_DEP_1) | instskip(NEXT) | instid1(TRANS32_DEP_2)
	v_rcp_f32_e32 v30, v24
	v_fma_f32 v32, -v20, v29, 1.0
	s_delay_alu instid0(TRANS32_DEP_1) | instskip(NEXT) | instid1(VALU_DEP_1)
	v_fma_f32 v33, -v24, v30, 1.0
	v_dual_fmac_f32 v29, v32, v29 :: v_dual_fmac_f32 v30, v33, v30
	s_delay_alu instid0(VALU_DEP_1) | instskip(NEXT) | instid1(VALU_DEP_1)
	v_dual_add_nc_u32 v33, -1, v31 :: v_dual_mul_f32 v35, v34, v29
	v_fma_f32 v25, -v20, v35, v34
	v_fmaak_f32 v26, s1, v15, 0xbab64f3b
	v_div_scale_f32 v32, s1, v17, v22, v17
	s_delay_alu instid0(VALU_DEP_4) | instskip(NEXT) | instid1(VALU_DEP_3)
	v_fma_f32 v27, -v33, v31, v7
	v_dual_fmac_f32 v35, v25, v29 :: v_dual_fmaak_f32 v26, v15, v26, 0x3d2aabf7
	s_delay_alu instid0(VALU_DEP_3) | instskip(NEXT) | instid1(VALU_DEP_2)
	v_mul_f32_e32 v37, v32, v30
	v_fmaak_f32 v26, v15, v26, 0xbf000004
	s_delay_alu instid0(VALU_DEP_1) | instskip(NEXT) | instid1(VALU_DEP_3)
	v_fma_f32 v15, v15, v26, 1.0
	v_fma_f32 v26, -v24, v37, v32
	s_delay_alu instid0(VALU_DEP_2) | instskip(NEXT) | instid1(VALU_DEP_2)
	v_dual_fma_f32 v25, -v36, v31, v7 :: v_dual_cndmask_b32 v10, v15, v10, s2
	v_fmac_f32_e32 v37, v26, v30
	v_cmp_eq_u32_e64 s2, 0, v19
	v_fma_f32 v15, -v20, v35, v34
	s_delay_alu instid0(VALU_DEP_4) | instskip(NEXT) | instid1(VALU_DEP_3)
	v_xor3_b32 v9, v9, v11, v10
	v_cndmask_b32_e64 v13, -v13, v18, s2
	s_delay_alu instid0(VALU_DEP_3) | instskip(SKIP_3) | instid1(VALU_DEP_1)
	v_div_fmas_f32 v15, v15, v29, v35
	s_mov_b32 vcc_lo, s1
	v_cmp_lt_f32_e64 s1, 0, v25
	v_fma_f32 v16, -v24, v37, v32
	v_div_fmas_f32 v16, v16, v30, v37
	v_cmp_ge_f32_e32 vcc_lo, 0, v27
	s_delay_alu instid0(VALU_DEP_2) | instskip(SKIP_4) | instid1(VALU_DEP_4)
	v_div_fixup_f32 v10, v16, v22, v17
	v_cndmask_b32_e32 v18, v31, v33, vcc_lo
	v_cmp_class_f32_e64 vcc_lo, v8, 0x1f8
	v_bitop3_b32 v8, v14, v13, 0x80000000 bitop3:0x6c
	v_div_fixup_f32 v13, v15, v21, v23
	v_dual_mul_f32 v10, v12, v10 :: v_dual_cndmask_b32 v11, v18, v36, s1
	v_cndmask_b32_e32 v9, 0x7fc00000, v9, vcc_lo
	s_delay_alu instid0(VALU_DEP_4) | instskip(SKIP_1) | instid1(VALU_DEP_4)
	v_cndmask_b32_e32 v8, 0x7fc00000, v8, vcc_lo
	v_cmp_class_f32_e64 vcc_lo, v7, 0x260
	v_mul_f32_e32 v12, 0x37800000, v11
	s_delay_alu instid0(VALU_DEP_3) | instskip(NEXT) | instid1(VALU_DEP_1)
	v_mul_f32_e32 v8, v10, v8
	v_dual_cndmask_b32 v10, v11, v12, s0 :: v_dual_fmac_f32 v8, v13, v9
	s_delay_alu instid0(VALU_DEP_1) | instskip(NEXT) | instid1(VALU_DEP_1)
	v_dual_cndmask_b32 v7, v10, v7 :: v_dual_mul_f32 v8, 0x3f4c422a, v8
	v_div_scale_f32 v9, null, v7, v7, v8
	s_delay_alu instid0(VALU_DEP_1) | instskip(SKIP_1) | instid1(TRANS32_DEP_1)
	v_rcp_f32_e32 v10, v9
	v_nop
	v_fma_f32 v11, -v9, v10, 1.0
	s_delay_alu instid0(VALU_DEP_1) | instskip(SKIP_1) | instid1(VALU_DEP_1)
	v_fmac_f32_e32 v10, v11, v10
	v_div_scale_f32 v11, vcc_lo, v8, v7, v8
	v_mul_f32_e32 v12, v11, v10
	s_delay_alu instid0(VALU_DEP_1) | instskip(NEXT) | instid1(VALU_DEP_1)
	v_fma_f32 v13, -v9, v12, v11
	v_fmac_f32_e32 v12, v13, v10
	s_delay_alu instid0(VALU_DEP_1) | instskip(NEXT) | instid1(VALU_DEP_1)
	v_fma_f32 v9, -v9, v12, v11
	v_div_fmas_f32 v9, v9, v10, v12
	s_delay_alu instid0(VALU_DEP_1)
	v_div_fixup_f32 v8, v9, v7, v8
.LBB19_136:
	s_or_b32 exec_lo, exec_lo, s3
	s_clause 0x3
	global_store_b32 v0, v1, s[4:5]
	global_store_b32 v4, v5, s[4:5]
	;; [unrolled: 1-line block ×4, first 2 shown]
	s_endpgm
.LBB19_137:
	v_dual_mov_b32 v1, 0 :: v_dual_mov_b32 v0, 0
	s_branch .LBB19_143
.LBB19_138:
	v_dual_mov_b32 v1, 0 :: v_dual_mov_b32 v0, 0
	s_branch .LBB19_175
.LBB19_139:
	v_mov_b64_e32 v[0:1], 0
	v_mov_b32_e32 v3, v2
	s_mov_b32 s0, 0
.LBB19_140:
	s_and_b32 s2, s1, 3
	s_mov_b32 s1, 0
	s_cmp_eq_u32 s2, 0
	s_cbranch_scc1 .LBB19_143
; %bb.141:
	s_lshl_b32 s24, s0, 3
	s_mov_b32 s25, s1
	s_mul_u64 s[26:27], s[0:1], 12
	s_add_nc_u64 s[24:25], s[16:17], s[24:25]
	s_delay_alu instid0(SALU_CYCLE_1)
	s_add_nc_u64 s[0:1], s[24:25], 0xc4
	s_add_nc_u64 s[24:25], s[16:17], s[26:27]
.LBB19_142:                             ; =>This Inner Loop Header: Depth=1
	s_load_b96 s[40:42], s[24:25], 0x4
	s_load_b64 s[26:27], s[0:1], 0x0
	s_add_co_i32 s2, s2, -1
	s_wait_xcnt 0x0
	s_add_nc_u64 s[24:25], s[24:25], 12
	s_cmp_lg_u32 s2, 0
	s_add_nc_u64 s[0:1], s[0:1], 8
	s_wait_kmcnt 0x0
	v_mul_hi_u32 v4, s41, v3
	s_delay_alu instid0(VALU_DEP_1) | instskip(NEXT) | instid1(VALU_DEP_1)
	v_add_nc_u32_e32 v4, v3, v4
	v_lshrrev_b32_e32 v4, s42, v4
	s_delay_alu instid0(VALU_DEP_1) | instskip(NEXT) | instid1(VALU_DEP_1)
	v_mul_lo_u32 v5, v4, s40
	v_sub_nc_u32_e32 v3, v3, v5
	s_delay_alu instid0(VALU_DEP_1)
	v_mad_u32 v1, v3, s27, v1
	v_mad_u32 v0, v3, s26, v0
	v_mov_b32_e32 v3, v4
	s_cbranch_scc1 .LBB19_142
.LBB19_143:
	s_cbranch_execnz .LBB19_146
.LBB19_144:
	v_mov_b32_e32 v3, 0
	s_and_not1_b32 vcc_lo, exec_lo, s33
	s_delay_alu instid0(VALU_DEP_1) | instskip(NEXT) | instid1(VALU_DEP_1)
	v_mul_u64_e32 v[0:1], s[18:19], v[2:3]
	v_add_nc_u32_e32 v0, v2, v1
	s_delay_alu instid0(VALU_DEP_1) | instskip(NEXT) | instid1(VALU_DEP_1)
	v_lshrrev_b32_e32 v4, s10, v0
	v_mul_lo_u32 v0, v4, s8
	s_delay_alu instid0(VALU_DEP_1) | instskip(NEXT) | instid1(VALU_DEP_1)
	v_sub_nc_u32_e32 v0, v2, v0
	v_mul_lo_u32 v1, v0, s13
	v_mul_lo_u32 v0, v0, s12
	s_cbranch_vccnz .LBB19_146
; %bb.145:
	v_mov_b32_e32 v5, v3
	s_delay_alu instid0(VALU_DEP_1) | instskip(NEXT) | instid1(VALU_DEP_1)
	v_mul_u64_e32 v[6:7], s[20:21], v[4:5]
	v_add_nc_u32_e32 v3, v4, v7
	s_delay_alu instid0(VALU_DEP_1) | instskip(NEXT) | instid1(VALU_DEP_1)
	v_lshrrev_b32_e32 v3, s3, v3
	v_mul_lo_u32 v3, v3, s11
	s_delay_alu instid0(VALU_DEP_1) | instskip(NEXT) | instid1(VALU_DEP_1)
	v_sub_nc_u32_e32 v3, v4, v3
	v_mad_u32 v0, v3, s14, v0
	v_mad_u32 v1, v3, s15, v1
.LBB19_146:
	global_load_b32 v1, v1, s[6:7]
                                        ; implicit-def: $vgpr3
	s_mov_b32 s0, exec_lo
	s_wait_loadcnt 0x0
	v_cmpx_ge_f32_e32 0x40a00000, v1
	s_xor_b32 s24, exec_lo, s0
	s_cbranch_execz .LBB19_152
; %bb.147:
	v_mov_b32_e32 v3, 0xff800000
	s_mov_b32 s25, exec_lo
	v_cmpx_neq_f32_e32 0, v1
	s_cbranch_execz .LBB19_151
; %bb.148:
	v_mov_b32_e32 v3, 0x7fc00000
	s_mov_b32 s26, exec_lo
	v_cmpx_nge_f32_e32 0, v1
	s_cbranch_execz .LBB19_150
; %bb.149:
	v_mul_f32_e32 v4, v1, v1
	v_mov_b64_e32 v[6:7], 0x4c8c277d4e9695f3
	v_mov_b64_e32 v[10:11], 0x508bc61dd316b96b
	;; [unrolled: 1-line block ×3, first 2 shown]
	v_div_scale_f32 v22, s2, -1.0, v1, -1.0
	v_dual_fmaak_f32 v3, 0, v4, 0x4414934d :: v_dual_mul_f32 v8, 0, v4
	v_fmaak_f32 v5, 0, v4, 0x441b3589
	v_mov_b64_e32 v[14:15], 0x548a37dcce5691e2
	v_mov_b64_e32 v[16:17], 0x5832585252d295d0
	s_delay_alu instid0(VALU_DEP_4) | instskip(SKIP_2) | instid1(VALU_DEP_3)
	v_fmaak_f32 v3, v4, v3, 0x48660b06
	v_cmp_gt_f32_e64 s0, 0x800000, v1
	v_fmaak_f32 v5, v4, v5, 0x487af6d0
	v_mul_f32_e32 v9, v4, v3
	s_delay_alu instid0(VALU_DEP_2) | instskip(NEXT) | instid1(VALU_DEP_2)
	v_fmaak_f32 v3, v4, v5, 0x4c9f4aa7
	v_pk_add_f32 v[6:7], v[8:9], v[6:7]
	s_delay_alu instid0(VALU_DEP_2) | instskip(NEXT) | instid1(VALU_DEP_2)
	v_fmaak_f32 v3, v4, v3, 0x50a509fc
	v_pk_fma_f32 v[6:7], v[4:5], v[6:7], v[10:11] op_sel_hi:[0,1,1]
	v_mov_b64_e32 v[10:11], 0x580d1937d9e700d2
	s_delay_alu instid0(VALU_DEP_3) | instskip(NEXT) | instid1(VALU_DEP_3)
	v_mul_f32_e32 v9, v4, v3
	v_pk_fma_f32 v[6:7], v[4:5], v[6:7], v[12:13] op_sel_hi:[0,1,1]
	v_mov_b64_e32 v[12:13], 0x5b741f1e5c33cd68
	s_delay_alu instid0(VALU_DEP_3) | instskip(SKIP_1) | instid1(VALU_DEP_4)
	v_pk_add_f32 v[8:9], v[8:9], v[14:15]
	v_mov_b64_e32 v[14:15], 0x5b9f0600d6845497
	v_pk_fma_f32 v[6:7], v[4:5], v[6:7], v[10:11] op_sel_hi:[0,1,1]
	v_mov_b64_e32 v[10:11], 0x5e5c878ddd2cf20b
	s_delay_alu instid0(VALU_DEP_4) | instskip(SKIP_1) | instid1(VALU_DEP_4)
	v_pk_fma_f32 v[8:9], v[4:5], v[8:9], v[16:17] op_sel_hi:[0,1,1]
	v_mov_b64_e32 v[16:17], 0x5e93bcac59515a15
	v_pk_fma_f32 v[6:7], v[4:5], v[6:7], v[12:13] op_sel_hi:[0,1,1]
	v_div_scale_f32 v13, null, v1, v1, -1.0
	s_delay_alu instid0(VALU_DEP_4) | instskip(NEXT) | instid1(VALU_DEP_3)
	v_pk_fma_f32 v[8:9], v[4:5], v[8:9], v[14:15] op_sel_hi:[0,1,1]
	v_pk_fma_f32 v[6:7], v[4:5], v[6:7], v[10:11] op_sel_hi:[0,1,1]
	v_cndmask_b32_e64 v10, 0, 32, s0
	s_delay_alu instid0(VALU_DEP_2) | instskip(NEXT) | instid1(VALU_DEP_2)
	v_div_scale_f32 v3, null, v7, v7, v6
	v_ldexp_f32 v10, v1, v10
	s_delay_alu instid0(VALU_DEP_2) | instskip(NEXT) | instid1(VALU_DEP_1)
	v_rcp_f32_e32 v11, v3
	v_log_f32_e32 v19, v10
	s_delay_alu instid0(TRANS32_DEP_2) | instskip(NEXT) | instid1(VALU_DEP_1)
	v_fma_f32 v14, -v3, v11, 1.0
	v_fmac_f32_e32 v11, v14, v11
	v_pk_fma_f32 v[8:9], v[4:5], v[8:9], v[16:17] op_sel_hi:[0,1,1]
	v_div_scale_f32 v16, vcc_lo, v6, v7, v6
	v_rcp_f32_e32 v14, v13
	s_delay_alu instid0(VALU_DEP_2) | instskip(SKIP_1) | instid1(VALU_DEP_2)
	v_div_scale_f32 v5, null, v9, v9, v8
	v_div_scale_f32 v17, s1, v8, v9, v8
	v_rcp_f32_e32 v12, v5
	s_delay_alu instid0(TRANS32_DEP_2) | instskip(NEXT) | instid1(VALU_DEP_1)
	v_fma_f32 v10, -v13, v14, 1.0
	v_fmac_f32_e32 v14, v10, v14
	s_delay_alu instid0(TRANS32_DEP_1) | instskip(NEXT) | instid1(VALU_DEP_1)
	v_fma_f32 v15, -v5, v12, 1.0
	v_dual_fmac_f32 v12, v15, v12 :: v_dual_mul_f32 v15, v16, v11
	s_delay_alu instid0(VALU_DEP_1) | instskip(NEXT) | instid1(VALU_DEP_1)
	v_dual_mul_f32 v18, v17, v12 :: v_dual_fma_f32 v20, -v3, v15, v16
	v_dual_fma_f32 v21, -v5, v18, v17 :: v_dual_fmac_f32 v15, v20, v11
	s_delay_alu instid0(VALU_DEP_1) | instskip(SKIP_1) | instid1(VALU_DEP_2)
	v_dual_fmac_f32 v18, v21, v12 :: v_dual_fma_f32 v3, -v3, v15, v16
	v_mul_f32_e32 v16, v22, v14
	v_fma_f32 v5, -v5, v18, v17
	s_delay_alu instid0(VALU_DEP_3) | instskip(SKIP_2) | instid1(VALU_DEP_3)
	v_div_fmas_f32 v3, v3, v11, v15
	s_mov_b32 vcc_lo, s1
	v_mov_b64_e32 v[10:11], 0xc16ae95ac244dfb3
	v_div_fmas_f32 v5, v5, v12, v18
	v_fma_f32 v12, -v13, v16, v22
	v_mul_f32_e32 v23, 0x3f317217, v19
	v_cmp_gt_f32_e64 vcc_lo, 0x7f800000, |v19|
	s_delay_alu instid0(VALU_DEP_4) | instskip(NEXT) | instid1(VALU_DEP_4)
	v_div_fixup_f32 v8, v5, v9, v8
	v_fmac_f32_e32 v16, v12, v14
	s_delay_alu instid0(VALU_DEP_4) | instskip(SKIP_3) | instid1(VALU_DEP_1)
	v_fma_f32 v20, 0x3f317217, v19, -v23
	v_pk_add_f32 v[4:5], v[4:5], v[10:11] op_sel_hi:[0,1]
	v_cndmask_b32_e64 v9, 0, 0x41b17218, s0
	v_mul_f32_e32 v8, v1, v8
	v_mul_f32_e32 v5, v5, v8
	s_delay_alu instid0(VALU_DEP_1) | instskip(NEXT) | instid1(VALU_DEP_1)
	v_dual_fmamk_f32 v15, v19, 0x3377d1cf, v20 :: v_dual_mul_f32 v4, v4, v5
	v_fmac_f32_e32 v15, 0x3f317217, v19
	s_delay_alu instid0(VALU_DEP_1) | instskip(SKIP_1) | instid1(VALU_DEP_1)
	v_dual_fma_f32 v10, -v13, v16, v22 :: v_dual_cndmask_b32 v11, v19, v15, vcc_lo
	s_mov_b32 vcc_lo, s2
	v_div_fmas_f32 v8, v10, v14, v16
	s_delay_alu instid0(VALU_DEP_2) | instskip(NEXT) | instid1(VALU_DEP_2)
	v_sub_f32_e32 v9, v11, v9
	v_div_fixup_f32 v5, v8, v1, -1.0
	s_delay_alu instid0(VALU_DEP_1) | instskip(SKIP_1) | instid1(VALU_DEP_2)
	v_fmac_f32_e32 v5, v9, v4
	v_div_fixup_f32 v4, v3, v7, v6
	v_mul_f32_e32 v3, 0x3f22f983, v5
	s_delay_alu instid0(VALU_DEP_1)
	v_fmac_f32_e32 v3, v1, v4
.LBB19_150:
	s_or_b32 exec_lo, exec_lo, s26
.LBB19_151:
	s_delay_alu instid0(SALU_CYCLE_1)
	s_or_b32 exec_lo, exec_lo, s25
                                        ; implicit-def: $vgpr1
.LBB19_152:
	s_and_not1_saveexec_b32 s24, s24
	s_cbranch_execz .LBB19_162
; %bb.153:
	v_add_f32_e32 v3, 0xc016cbe4, v1
                                        ; implicit-def: $vgpr6
                                        ; implicit-def: $vgpr5
	s_delay_alu instid0(VALU_DEP_1) | instskip(SKIP_2) | instid1(SALU_CYCLE_1)
	v_and_b32_e32 v4, 0x7fffffff, v3
	v_cmp_ngt_f32_e64 s2, 0x48000000, |v3|
	s_and_saveexec_b32 s0, s2
	s_xor_b32 s25, exec_lo, s0
	s_cbranch_execz .LBB19_155
; %bb.154:
	s_mov_b32 s0, 0x7fffff
	v_mov_b32_e32 v7, 0
	v_and_or_b32 v6, v4, s0, 0x800000
	s_mov_b64 s[0:1], 0xfe5163ab
	v_lshrrev_b32_e32 v5, 23, v4
	s_delay_alu instid0(VALU_DEP_2) | instskip(NEXT) | instid1(VALU_DEP_1)
	v_mul_u64_e32 v[8:9], s[0:1], v[6:7]
	v_dual_mov_b32 v10, v9 :: v_dual_mov_b32 v11, v7
	v_dual_mov_b32 v13, v7 :: v_dual_mov_b32 v15, v7
	;; [unrolled: 1-line block ×3, first 2 shown]
	s_delay_alu instid0(VALU_DEP_3) | instskip(NEXT) | instid1(VALU_DEP_1)
	v_mad_nc_u64_u32 v[10:11], 0x3c439041, v6, v[10:11]
	v_mov_b32_e32 v12, v11
	s_delay_alu instid0(VALU_DEP_1) | instskip(NEXT) | instid1(VALU_DEP_1)
	v_mad_nc_u64_u32 v[12:13], 0xdb629599, v6, v[12:13]
	v_mov_b32_e32 v14, v13
	s_delay_alu instid0(VALU_DEP_1) | instskip(NEXT) | instid1(VALU_DEP_1)
	v_mad_nc_u64_u32 v[14:15], 0xf534ddc0, v6, v[14:15]
	v_mov_b32_e32 v16, v15
	s_delay_alu instid0(VALU_DEP_1) | instskip(NEXT) | instid1(VALU_DEP_1)
	v_mad_nc_u64_u32 v[16:17], 0xfc2757d1, v6, v[16:17]
	v_dual_mov_b32 v19, v7 :: v_dual_mov_b32 v18, v17
	s_delay_alu instid0(VALU_DEP_1) | instskip(NEXT) | instid1(VALU_DEP_1)
	v_mad_nc_u64_u32 v[18:19], 0x4e441529, v6, v[18:19]
	v_dual_mov_b32 v20, v19 :: v_dual_add_nc_u32 v5, 0xffffff88, v5
	s_delay_alu instid0(VALU_DEP_1) | instskip(NEXT) | instid1(VALU_DEP_2)
	v_cmp_lt_u32_e32 vcc_lo, 63, v5
	v_mad_nc_u64_u32 v[6:7], 0xa2f9836e, v6, v[20:21]
	v_cndmask_b32_e64 v9, 0, 0xffffffc0, vcc_lo
	v_dual_cndmask_b32 v11, v18, v14 :: v_dual_cndmask_b32 v8, v12, v8
	s_delay_alu instid0(VALU_DEP_2) | instskip(NEXT) | instid1(VALU_DEP_1)
	v_add_nc_u32_e32 v5, v9, v5
	v_cmp_lt_u32_e64 s0, 31, v5
	v_dual_cndmask_b32 v6, v6, v16 :: v_dual_cndmask_b32 v7, v7, v18
	s_delay_alu instid0(VALU_DEP_2) | instskip(NEXT) | instid1(VALU_DEP_1)
	v_cndmask_b32_e64 v9, 0, 0xffffffe0, s0
	v_add_nc_u32_e32 v5, v9, v5
	s_delay_alu instid0(VALU_DEP_1) | instskip(NEXT) | instid1(VALU_DEP_1)
	v_cmp_lt_u32_e64 s1, 31, v5
	v_cndmask_b32_e64 v9, 0, 0xffffffe0, s1
	s_delay_alu instid0(VALU_DEP_1) | instskip(SKIP_2) | instid1(VALU_DEP_3)
	v_dual_cndmask_b32 v13, v16, v12, vcc_lo :: v_dual_add_nc_u32 v5, v9, v5
	v_cndmask_b32_e32 v9, v14, v10, vcc_lo
	v_dual_cndmask_b32 v10, v6, v11, s0 :: v_dual_cndmask_b32 v6, v7, v6, s0
	v_cndmask_b32_e64 v7, v11, v13, s0
	s_delay_alu instid0(VALU_DEP_4) | instskip(NEXT) | instid1(VALU_DEP_4)
	v_sub_nc_u32_e32 v11, 32, v5
	v_cndmask_b32_e64 v13, v13, v9, s0
	v_cmp_eq_u32_e32 vcc_lo, 0, v5
	v_cndmask_b32_e64 v6, v6, v10, s1
	s_delay_alu instid0(VALU_DEP_3) | instskip(NEXT) | instid1(VALU_DEP_1)
	v_dual_cndmask_b32 v10, v10, v7, s1 :: v_dual_cndmask_b32 v7, v7, v13, s1
	v_alignbit_b32 v14, v6, v10, v11
	s_delay_alu instid0(VALU_DEP_2) | instskip(NEXT) | instid1(VALU_DEP_2)
	v_alignbit_b32 v12, v10, v7, v11
	v_dual_cndmask_b32 v5, v14, v6, vcc_lo :: v_dual_cndmask_b32 v6, v9, v8, s0
	s_delay_alu instid0(VALU_DEP_1) | instskip(NEXT) | instid1(VALU_DEP_1)
	v_bfe_u32 v9, v5, 29, 1
	v_dual_cndmask_b32 v8, v12, v10, vcc_lo :: v_dual_sub_nc_u32 v12, 0, v9
	s_delay_alu instid0(VALU_DEP_1) | instskip(NEXT) | instid1(VALU_DEP_1)
	v_alignbit_b32 v10, v5, v8, 30
	v_dual_cndmask_b32 v6, v13, v6, s1 :: v_dual_bitop2_b32 v10, v10, v12 bitop3:0x14
	s_delay_alu instid0(VALU_DEP_1) | instskip(NEXT) | instid1(VALU_DEP_1)
	v_alignbit_b32 v11, v7, v6, v11
	v_cndmask_b32_e32 v7, v11, v7, vcc_lo
	s_delay_alu instid0(VALU_DEP_3) | instskip(NEXT) | instid1(VALU_DEP_2)
	v_clz_i32_u32_e32 v11, v10
	v_alignbit_b32 v6, v7, v6, 30
	s_delay_alu instid0(VALU_DEP_2) | instskip(NEXT) | instid1(VALU_DEP_2)
	v_min_u32_e32 v11, 32, v11
	v_xor_b32_e32 v6, v6, v12
	v_alignbit_b32 v8, v8, v7, 30
	s_delay_alu instid0(VALU_DEP_1) | instskip(SKIP_1) | instid1(VALU_DEP_1)
	v_dual_lshlrev_b32 v13, 23, v11 :: v_dual_bitop2_b32 v7, v8, v12 bitop3:0x14
	v_dual_sub_nc_u32 v8, 31, v11 :: v_dual_lshrrev_b32 v12, 29, v5
	v_alignbit_b32 v10, v10, v7, v8
	v_alignbit_b32 v6, v7, v6, v8
	s_delay_alu instid0(VALU_DEP_3) | instskip(NEXT) | instid1(VALU_DEP_2)
	v_lshlrev_b32_e32 v7, 31, v12
	v_alignbit_b32 v8, v10, v6, 9
	s_delay_alu instid0(VALU_DEP_2) | instskip(NEXT) | instid1(VALU_DEP_2)
	v_dual_lshrrev_b32 v10, 9, v10 :: v_dual_bitop2_b32 v12, 0.5, v7 bitop3:0x54
	v_clz_i32_u32_e32 v14, v8
	s_delay_alu instid0(VALU_DEP_2) | instskip(SKIP_1) | instid1(VALU_DEP_3)
	v_sub_nc_u32_e32 v12, v12, v13
	v_or_b32_e32 v7, 0x33000000, v7
	v_min_u32_e32 v13, 32, v14
	s_delay_alu instid0(VALU_DEP_1) | instskip(NEXT) | instid1(VALU_DEP_4)
	v_add_lshl_u32 v11, v13, v11, 23
	v_or_b32_e32 v10, v10, v12
	v_not_b32_e32 v12, v13
	s_delay_alu instid0(VALU_DEP_2) | instskip(NEXT) | instid1(VALU_DEP_2)
	v_dual_mul_f32 v14, 0x3fc90fda, v10 :: v_dual_sub_nc_u32 v7, v7, v11
	v_alignbit_b32 v6, v8, v6, v12
	s_delay_alu instid0(VALU_DEP_2) | instskip(NEXT) | instid1(VALU_DEP_2)
	v_fma_f32 v8, 0x3fc90fda, v10, -v14
	v_lshrrev_b32_e32 v6, 9, v6
	s_delay_alu instid0(VALU_DEP_2) | instskip(NEXT) | instid1(VALU_DEP_2)
	v_fmamk_f32 v8, v10, 0x33a22168, v8
	v_or_b32_e32 v6, v7, v6
	s_delay_alu instid0(VALU_DEP_1) | instskip(NEXT) | instid1(VALU_DEP_1)
	v_fmac_f32_e32 v8, 0x3fc90fda, v6
	v_dual_add_f32 v5, v14, v8 :: v_dual_lshrrev_b32 v6, 30, v5
	s_delay_alu instid0(VALU_DEP_1)
	v_add_nc_u32_e32 v6, v9, v6
	s_and_not1_saveexec_b32 s0, s25
	s_branch .LBB19_156
.LBB19_155:
	s_and_not1_saveexec_b32 s0, s25
.LBB19_156:
	v_mul_f32_e64 v5, 0x3f22f983, |v3|
	s_delay_alu instid0(VALU_DEP_1) | instskip(NEXT) | instid1(VALU_DEP_1)
	v_rndne_f32_e32 v6, v5
	v_fma_f32 v5, 0xbfc90fda, v6, |v3|
	s_delay_alu instid0(VALU_DEP_1) | instskip(NEXT) | instid1(VALU_DEP_1)
	v_fmamk_f32 v5, v6, 0xb3a22168, v5
	v_fmamk_f32 v5, v6, 0xa7c234c4, v5
	v_cvt_i32_f32_e32 v6, v6
; %bb.157:
	s_or_b32 exec_lo, exec_lo, s0
                                        ; implicit-def: $vgpr8
                                        ; implicit-def: $vgpr7
	s_and_saveexec_b32 s0, s2
	s_delay_alu instid0(SALU_CYCLE_1)
	s_xor_b32 s2, exec_lo, s0
	s_cbranch_execz .LBB19_159
; %bb.158:
	s_mov_b32 s0, 0x7fffff
	v_mov_b32_e32 v9, 0
	v_and_or_b32 v8, v4, s0, 0x800000
	s_mov_b64 s[0:1], 0xfe5163ab
	v_lshrrev_b32_e32 v7, 23, v4
	s_delay_alu instid0(VALU_DEP_2) | instskip(NEXT) | instid1(VALU_DEP_1)
	v_mul_u64_e32 v[10:11], s[0:1], v[8:9]
	v_dual_mov_b32 v12, v11 :: v_dual_mov_b32 v13, v9
	v_dual_mov_b32 v15, v9 :: v_dual_mov_b32 v17, v9
	;; [unrolled: 1-line block ×3, first 2 shown]
	s_delay_alu instid0(VALU_DEP_3) | instskip(NEXT) | instid1(VALU_DEP_1)
	v_mad_nc_u64_u32 v[12:13], 0x3c439041, v8, v[12:13]
	v_mov_b32_e32 v14, v13
	s_delay_alu instid0(VALU_DEP_1) | instskip(NEXT) | instid1(VALU_DEP_1)
	v_mad_nc_u64_u32 v[14:15], 0xdb629599, v8, v[14:15]
	v_mov_b32_e32 v16, v15
	s_delay_alu instid0(VALU_DEP_1) | instskip(NEXT) | instid1(VALU_DEP_1)
	;; [unrolled: 3-line block ×3, first 2 shown]
	v_mad_nc_u64_u32 v[18:19], 0xfc2757d1, v8, v[18:19]
	v_dual_mov_b32 v21, v9 :: v_dual_mov_b32 v20, v19
	s_delay_alu instid0(VALU_DEP_1) | instskip(NEXT) | instid1(VALU_DEP_1)
	v_mad_nc_u64_u32 v[20:21], 0x4e441529, v8, v[20:21]
	v_dual_mov_b32 v22, v21 :: v_dual_add_nc_u32 v7, 0xffffff88, v7
	s_delay_alu instid0(VALU_DEP_1) | instskip(NEXT) | instid1(VALU_DEP_2)
	v_cmp_lt_u32_e32 vcc_lo, 63, v7
	v_mad_nc_u64_u32 v[8:9], 0xa2f9836e, v8, v[22:23]
	v_cndmask_b32_e64 v11, 0, 0xffffffc0, vcc_lo
	v_dual_cndmask_b32 v13, v20, v16 :: v_dual_cndmask_b32 v10, v14, v10
	s_delay_alu instid0(VALU_DEP_2) | instskip(NEXT) | instid1(VALU_DEP_1)
	v_add_nc_u32_e32 v7, v11, v7
	v_cmp_lt_u32_e64 s0, 31, v7
	v_dual_cndmask_b32 v8, v8, v18 :: v_dual_cndmask_b32 v9, v9, v20
	s_delay_alu instid0(VALU_DEP_2) | instskip(NEXT) | instid1(VALU_DEP_1)
	v_cndmask_b32_e64 v11, 0, 0xffffffe0, s0
	v_add_nc_u32_e32 v7, v11, v7
	s_delay_alu instid0(VALU_DEP_1) | instskip(NEXT) | instid1(VALU_DEP_1)
	v_cmp_lt_u32_e64 s1, 31, v7
	v_cndmask_b32_e64 v11, 0, 0xffffffe0, s1
	s_delay_alu instid0(VALU_DEP_1) | instskip(SKIP_2) | instid1(VALU_DEP_3)
	v_dual_cndmask_b32 v15, v18, v14, vcc_lo :: v_dual_add_nc_u32 v7, v11, v7
	v_cndmask_b32_e32 v11, v16, v12, vcc_lo
	v_dual_cndmask_b32 v12, v8, v13, s0 :: v_dual_cndmask_b32 v8, v9, v8, s0
	v_cndmask_b32_e64 v9, v13, v15, s0
	s_delay_alu instid0(VALU_DEP_4) | instskip(NEXT) | instid1(VALU_DEP_4)
	v_sub_nc_u32_e32 v13, 32, v7
	v_cndmask_b32_e64 v15, v15, v11, s0
	v_cmp_eq_u32_e32 vcc_lo, 0, v7
	v_cndmask_b32_e64 v8, v8, v12, s1
	s_delay_alu instid0(VALU_DEP_3) | instskip(NEXT) | instid1(VALU_DEP_1)
	v_dual_cndmask_b32 v12, v12, v9, s1 :: v_dual_cndmask_b32 v9, v9, v15, s1
	v_alignbit_b32 v16, v8, v12, v13
	s_delay_alu instid0(VALU_DEP_2) | instskip(NEXT) | instid1(VALU_DEP_2)
	v_alignbit_b32 v14, v12, v9, v13
	v_dual_cndmask_b32 v7, v16, v8, vcc_lo :: v_dual_cndmask_b32 v8, v11, v10, s0
	s_delay_alu instid0(VALU_DEP_1) | instskip(NEXT) | instid1(VALU_DEP_1)
	v_bfe_u32 v11, v7, 29, 1
	v_dual_cndmask_b32 v10, v14, v12, vcc_lo :: v_dual_sub_nc_u32 v14, 0, v11
	s_delay_alu instid0(VALU_DEP_1) | instskip(NEXT) | instid1(VALU_DEP_1)
	v_alignbit_b32 v12, v7, v10, 30
	v_dual_cndmask_b32 v8, v15, v8, s1 :: v_dual_bitop2_b32 v12, v12, v14 bitop3:0x14
	s_delay_alu instid0(VALU_DEP_1) | instskip(NEXT) | instid1(VALU_DEP_1)
	v_alignbit_b32 v13, v9, v8, v13
	v_cndmask_b32_e32 v9, v13, v9, vcc_lo
	s_delay_alu instid0(VALU_DEP_3) | instskip(NEXT) | instid1(VALU_DEP_2)
	v_clz_i32_u32_e32 v13, v12
	v_alignbit_b32 v8, v9, v8, 30
	s_delay_alu instid0(VALU_DEP_2) | instskip(NEXT) | instid1(VALU_DEP_2)
	v_min_u32_e32 v13, 32, v13
	v_xor_b32_e32 v8, v8, v14
	v_alignbit_b32 v10, v10, v9, 30
	s_delay_alu instid0(VALU_DEP_1) | instskip(SKIP_1) | instid1(VALU_DEP_1)
	v_dual_lshlrev_b32 v15, 23, v13 :: v_dual_bitop2_b32 v9, v10, v14 bitop3:0x14
	v_dual_sub_nc_u32 v10, 31, v13 :: v_dual_lshrrev_b32 v14, 29, v7
	v_alignbit_b32 v12, v12, v9, v10
	v_alignbit_b32 v8, v9, v8, v10
	s_delay_alu instid0(VALU_DEP_3) | instskip(NEXT) | instid1(VALU_DEP_2)
	v_lshlrev_b32_e32 v9, 31, v14
	v_alignbit_b32 v10, v12, v8, 9
	s_delay_alu instid0(VALU_DEP_2) | instskip(NEXT) | instid1(VALU_DEP_2)
	v_dual_lshrrev_b32 v12, 9, v12 :: v_dual_bitop2_b32 v14, 0.5, v9 bitop3:0x54
	v_clz_i32_u32_e32 v16, v10
	s_delay_alu instid0(VALU_DEP_2) | instskip(SKIP_1) | instid1(VALU_DEP_3)
	v_sub_nc_u32_e32 v14, v14, v15
	v_or_b32_e32 v9, 0x33000000, v9
	v_min_u32_e32 v15, 32, v16
	s_delay_alu instid0(VALU_DEP_1) | instskip(NEXT) | instid1(VALU_DEP_4)
	v_add_lshl_u32 v13, v15, v13, 23
	v_or_b32_e32 v12, v12, v14
	v_not_b32_e32 v14, v15
	s_delay_alu instid0(VALU_DEP_2) | instskip(NEXT) | instid1(VALU_DEP_2)
	v_dual_mul_f32 v16, 0x3fc90fda, v12 :: v_dual_sub_nc_u32 v9, v9, v13
	v_alignbit_b32 v8, v10, v8, v14
	s_delay_alu instid0(VALU_DEP_2) | instskip(NEXT) | instid1(VALU_DEP_2)
	v_fma_f32 v10, 0x3fc90fda, v12, -v16
	v_lshrrev_b32_e32 v8, 9, v8
	s_delay_alu instid0(VALU_DEP_2) | instskip(NEXT) | instid1(VALU_DEP_2)
	v_fmamk_f32 v10, v12, 0x33a22168, v10
	v_or_b32_e32 v8, v9, v8
	s_delay_alu instid0(VALU_DEP_1) | instskip(NEXT) | instid1(VALU_DEP_1)
	v_fmac_f32_e32 v10, 0x3fc90fda, v8
	v_dual_add_f32 v7, v16, v10 :: v_dual_lshrrev_b32 v8, 30, v7
	s_delay_alu instid0(VALU_DEP_1)
	v_add_nc_u32_e32 v8, v11, v8
	s_and_not1_saveexec_b32 s0, s2
	s_cbranch_execnz .LBB19_160
	s_branch .LBB19_161
.LBB19_159:
	s_and_not1_saveexec_b32 s0, s2
.LBB19_160:
	v_mul_f32_e64 v7, 0x3f22f983, |v3|
	s_delay_alu instid0(VALU_DEP_1) | instskip(NEXT) | instid1(VALU_DEP_1)
	v_rndne_f32_e32 v8, v7
	v_fma_f32 v7, 0xbfc90fda, v8, |v3|
	s_delay_alu instid0(VALU_DEP_1) | instskip(NEXT) | instid1(VALU_DEP_1)
	v_fmamk_f32 v7, v8, 0xb3a22168, v7
	v_fmamk_f32 v7, v8, 0xa7c234c4, v7
	v_cvt_i32_f32_e32 v8, v8
.LBB19_161:
	s_or_b32 exec_lo, exec_lo, s0
	v_div_scale_f32 v9, null, v1, v1, 0x40a00000
	v_div_scale_f32 v12, vcc_lo, 0x40a00000, v1, 0x40a00000
	s_mov_b32 s0, 0xb94c1982
	v_rcp_f32_e32 v10, v9
	s_mov_b32 s1, 0x37d75334
	v_xor_b32_e32 v4, v4, v3
	v_and_b32_e32 v14, 1, v8
	s_delay_alu instid0(TRANS32_DEP_1) | instskip(NEXT) | instid1(VALU_DEP_1)
	v_fma_f32 v11, -v9, v10, 1.0
	v_fmac_f32_e32 v10, v11, v10
	s_delay_alu instid0(VALU_DEP_1) | instskip(NEXT) | instid1(VALU_DEP_1)
	v_mul_f32_e32 v11, v12, v10
	v_fma_f32 v13, -v9, v11, v12
	s_delay_alu instid0(VALU_DEP_1) | instskip(NEXT) | instid1(VALU_DEP_1)
	v_dual_fmac_f32 v11, v13, v10 :: v_dual_mul_f32 v13, v7, v7
	v_fma_f32 v9, -v9, v11, v12
	s_delay_alu instid0(VALU_DEP_2) | instskip(SKIP_1) | instid1(VALU_DEP_3)
	v_fmaak_f32 v22, s0, v13, 0x3c0881c4
	v_fmaak_f32 v23, s1, v13, 0xbab64f3b
	v_div_fmas_f32 v9, v9, v10, v11
	v_dual_mul_f32 v10, v5, v5 :: v_dual_bitop2_b32 v11, 1, v6 bitop3:0x40
	s_delay_alu instid0(VALU_DEP_4) | instskip(NEXT) | instid1(VALU_DEP_4)
	v_fmaak_f32 v22, v13, v22, 0xbe2aaa9d
	v_fmaak_f32 v23, v13, v23, 0x3d2aabf7
	s_delay_alu instid0(VALU_DEP_4) | instskip(NEXT) | instid1(VALU_DEP_4)
	v_div_fixup_f32 v9, v9, v1, 0x40a00000
	v_fmaak_f32 v20, s0, v10, 0x3c0881c4
	v_cmp_gt_f32_e64 s0, 0xf800000, v1
	v_cmp_eq_u32_e64 s2, 0, v11
	v_fmaak_f32 v23, v13, v23, 0xbf000004
	v_dual_mul_f32 v12, v9, v9 :: v_dual_lshlrev_b32 v6, 30, v6
	v_fmaak_f32 v20, v10, v20, 0xbe2aaa9d
	v_dual_mul_f32 v19, 0x4f800000, v1 :: v_dual_mul_f32 v22, v13, v22
	s_delay_alu instid0(VALU_DEP_3) | instskip(SKIP_1) | instid1(VALU_DEP_3)
	v_fmaak_f32 v15, 0, v12, 0x3d513fd3
	v_fmaak_f32 v16, 0, v12, 0x3a15c4d9
	v_dual_mul_f32 v20, v10, v20 :: v_dual_cndmask_b32 v1, v1, v19, s0
	s_delay_alu instid0(VALU_DEP_3) | instskip(NEXT) | instid1(VALU_DEP_3)
	v_dual_fmaak_f32 v15, v12, v15, 0x409f6dae :: v_dual_lshlrev_b32 v8, 30, v8
	v_dual_fmaak_f32 v16, v12, v16, 0x3d8cfeeb :: v_dual_fmac_f32 v7, v7, v22
	s_delay_alu instid0(VALU_DEP_3) | instskip(SKIP_2) | instid1(VALU_DEP_3)
	v_sqrt_f32_e32 v26, v1
	v_fmaak_f32 v18, 0, v12, 0x3a47c962
	v_fmaak_f32 v17, 0, v12, 0x42947983
	;; [unrolled: 1-line block ×3, first 2 shown]
	v_fmac_f32_e32 v5, v5, v20
	v_fma_f32 v13, v13, v23, 1.0
	v_and_b32_e32 v6, 0x80000000, v6
	v_add_nc_u32_e32 v31, 1, v26
	v_fmaak_f32 v18, v12, v18, 0x3d95ca45
	v_fmaak_f32 v16, v12, v16, 0x40a25d18
	;; [unrolled: 1-line block ×3, first 2 shown]
	s_delay_alu instid0(VALU_DEP_3) | instskip(NEXT) | instid1(VALU_DEP_3)
	v_fmaak_f32 v18, v12, v18, 0x3f9047f6
	v_fmaak_f32 v16, v12, v16, 0x410665cf
	s_delay_alu instid0(VALU_DEP_3) | instskip(NEXT) | instid1(VALU_DEP_3)
	v_fmaak_f32 v17, v12, v17, 0x459bd349
	v_fmaak_f32 v18, v12, v18, 0x40a39628
	;; [unrolled: 3-line block ×3, first 2 shown]
	s_delay_alu instid0(VALU_DEP_3) | instskip(NEXT) | instid1(VALU_DEP_3)
	v_fmaak_f32 v18, v12, v18, 0x4106c8e4
	v_fma_f32 v16, v12, v16, 1.0
	s_delay_alu instid0(VALU_DEP_3) | instskip(NEXT) | instid1(VALU_DEP_3)
	v_fmaak_f32 v17, v12, v17, 0x45f9e855
	v_fmaak_f32 v18, v12, v18, 0x40a6dd51
	s_delay_alu instid0(VALU_DEP_2) | instskip(NEXT) | instid1(VALU_DEP_2)
	v_fmaak_f32 v17, v12, v17, 0x4530a316
	v_fma_f32 v18, v12, v18, 1.0
	s_delay_alu instid0(VALU_DEP_2) | instskip(NEXT) | instid1(VALU_DEP_2)
	v_fmaak_f32 v17, v12, v17, 0x43a80bfb
	v_div_scale_f32 v29, vcc_lo, v18, v16, v18
	v_fmaak_f32 v15, v12, v15, 0x4297a5cd
	s_delay_alu instid0(VALU_DEP_1) | instskip(NEXT) | instid1(VALU_DEP_1)
	v_fmaak_f32 v15, v12, v15, 0x43b763ca
	v_fmaak_f32 v15, v12, v15, 0x4431b6ce
	s_delay_alu instid0(VALU_DEP_1) | instskip(NEXT) | instid1(VALU_DEP_1)
	v_fmaak_f32 v15, v12, v15, 0x44155f56
	v_fmaak_f32 v15, v12, v15, 0x4353b052
	s_delay_alu instid0(VALU_DEP_1) | instskip(SKIP_1) | instid1(VALU_DEP_2)
	v_fmaak_f32 v12, v12, v15, 0x41c9a7fa
	v_div_scale_f32 v15, null, v16, v16, v18
	v_div_scale_f32 v19, null, v17, v17, v12
	s_delay_alu instid0(VALU_DEP_2) | instskip(NEXT) | instid1(VALU_DEP_1)
	v_rcp_f32_e32 v24, v15
	v_rcp_f32_e32 v25, v19
	s_delay_alu instid0(TRANS32_DEP_2) | instskip(NEXT) | instid1(TRANS32_DEP_1)
	v_fma_f32 v27, -v15, v24, 1.0
	v_fma_f32 v28, -v19, v25, 1.0
	s_delay_alu instid0(VALU_DEP_1) | instskip(NEXT) | instid1(VALU_DEP_1)
	v_dual_fmac_f32 v24, v27, v24 :: v_dual_fmac_f32 v25, v28, v25
	v_dual_add_nc_u32 v28, -1, v26 :: v_dual_mul_f32 v30, v29, v24
	s_delay_alu instid0(VALU_DEP_1) | instskip(SKIP_2) | instid1(VALU_DEP_4)
	v_fma_f32 v20, -v15, v30, v29
	v_fmaak_f32 v21, s1, v10, 0xbab64f3b
	v_div_scale_f32 v27, s1, v12, v17, v12
	v_fma_f32 v22, -v28, v26, v1
	s_delay_alu instid0(VALU_DEP_3) | instskip(NEXT) | instid1(VALU_DEP_3)
	v_dual_fmac_f32 v30, v20, v24 :: v_dual_fmaak_f32 v21, v10, v21, 0x3d2aabf7
	v_mul_f32_e32 v32, v27, v25
	s_delay_alu instid0(VALU_DEP_2) | instskip(NEXT) | instid1(VALU_DEP_1)
	v_fmaak_f32 v21, v10, v21, 0xbf000004
	v_fma_f32 v10, v10, v21, 1.0
	s_delay_alu instid0(VALU_DEP_3) | instskip(NEXT) | instid1(VALU_DEP_2)
	v_fma_f32 v21, -v19, v32, v27
	v_dual_fma_f32 v20, -v31, v26, v1 :: v_dual_cndmask_b32 v5, v10, v5, s2
	s_delay_alu instid0(VALU_DEP_2) | instskip(SKIP_1) | instid1(VALU_DEP_3)
	v_dual_fmac_f32 v32, v21, v25 :: v_dual_fma_f32 v10, -v15, v30, v29
	v_cmp_eq_u32_e64 s2, 0, v14
	v_xor3_b32 v4, v4, v6, v5
	s_delay_alu instid0(VALU_DEP_3) | instskip(NEXT) | instid1(VALU_DEP_4)
	v_fma_f32 v11, -v19, v32, v27
	v_div_fmas_f32 v10, v10, v24, v30
	s_mov_b32 vcc_lo, s1
	v_cndmask_b32_e64 v7, -v7, v13, s2
	v_cmp_lt_f32_e64 s1, 0, v20
	v_div_fmas_f32 v11, v11, v25, v32
	v_cmp_ge_f32_e32 vcc_lo, 0, v22
	s_delay_alu instid0(VALU_DEP_2)
	v_div_fixup_f32 v5, v11, v17, v12
	v_cndmask_b32_e32 v13, v26, v28, vcc_lo
	v_cmp_class_f32_e64 vcc_lo, v3, 0x1f8
	v_bitop3_b32 v3, v8, v7, 0x80000000 bitop3:0x6c
	v_div_fixup_f32 v8, v10, v16, v18
	v_mul_f32_e32 v5, v9, v5
	v_cndmask_b32_e64 v6, v13, v31, s1
	v_cndmask_b32_e32 v4, 0x7fc00000, v4, vcc_lo
	v_cndmask_b32_e32 v3, 0x7fc00000, v3, vcc_lo
	v_cmp_class_f32_e64 vcc_lo, v1, 0x260
	s_delay_alu instid0(VALU_DEP_4) | instskip(NEXT) | instid1(VALU_DEP_3)
	v_mul_f32_e32 v7, 0x37800000, v6
	v_mul_f32_e32 v3, v5, v3
	s_delay_alu instid0(VALU_DEP_1) | instskip(NEXT) | instid1(VALU_DEP_1)
	v_dual_cndmask_b32 v5, v6, v7, s0 :: v_dual_fmac_f32 v3, v8, v4
	v_cndmask_b32_e32 v1, v5, v1, vcc_lo
	s_delay_alu instid0(VALU_DEP_2) | instskip(NEXT) | instid1(VALU_DEP_1)
	v_mul_f32_e32 v3, 0x3f4c422a, v3
	v_div_scale_f32 v4, null, v1, v1, v3
	s_delay_alu instid0(VALU_DEP_1) | instskip(SKIP_1) | instid1(TRANS32_DEP_1)
	v_rcp_f32_e32 v5, v4
	v_nop
	v_fma_f32 v6, -v4, v5, 1.0
	s_delay_alu instid0(VALU_DEP_1) | instskip(SKIP_1) | instid1(VALU_DEP_1)
	v_fmac_f32_e32 v5, v6, v5
	v_div_scale_f32 v6, vcc_lo, v3, v1, v3
	v_mul_f32_e32 v7, v6, v5
	s_delay_alu instid0(VALU_DEP_1) | instskip(NEXT) | instid1(VALU_DEP_1)
	v_fma_f32 v8, -v4, v7, v6
	v_fmac_f32_e32 v7, v8, v5
	s_delay_alu instid0(VALU_DEP_1) | instskip(NEXT) | instid1(VALU_DEP_1)
	v_fma_f32 v4, -v4, v7, v6
	v_div_fmas_f32 v4, v4, v5, v7
	s_delay_alu instid0(VALU_DEP_1)
	v_div_fixup_f32 v3, v4, v1, v3
.LBB19_162:
	s_or_b32 exec_lo, exec_lo, s24
	v_add_nc_u32_e32 v2, 0x80, v2
	global_store_b32 v0, v3, s[4:5]
	s_wait_xcnt 0x0
	s_or_b32 exec_lo, exec_lo, s9
	s_delay_alu instid0(SALU_CYCLE_1)
	s_mov_b32 s9, exec_lo
	v_cmpx_gt_i32_e64 s34, v2
	s_cbranch_execnz .LBB19_15
.LBB19_163:
	s_or_b32 exec_lo, exec_lo, s9
	s_delay_alu instid0(SALU_CYCLE_1)
	s_mov_b32 s9, exec_lo
	v_cmpx_gt_i32_e64 s34, v2
	s_cbranch_execz .LBB19_195
.LBB19_164:
	s_and_not1_b32 vcc_lo, exec_lo, s30
	s_cbranch_vccnz .LBB19_169
; %bb.165:
	s_and_not1_b32 vcc_lo, exec_lo, s36
	s_cbranch_vccnz .LBB19_170
; %bb.166:
	s_add_co_i32 s1, s35, 1
	s_cmp_eq_u32 s29, 2
	s_cbranch_scc1 .LBB19_198
; %bb.167:
	v_dual_mov_b32 v0, 0 :: v_dual_mov_b32 v1, 0
	v_mov_b32_e32 v3, v2
	s_and_b32 s0, s1, 28
	s_mov_b32 s2, 0
	s_mov_b64 s[24:25], s[16:17]
	s_mov_b64 s[26:27], s[22:23]
.LBB19_168:                             ; =>This Inner Loop Header: Depth=1
	s_clause 0x1
	s_load_b256 s[40:47], s[24:25], 0x4
	s_load_b128 s[56:59], s[24:25], 0x24
	s_load_b256 s[48:55], s[26:27], 0x0
	s_add_co_i32 s2, s2, 4
	s_wait_xcnt 0x0
	s_add_nc_u64 s[24:25], s[24:25], 48
	s_cmp_eq_u32 s0, s2
	s_add_nc_u64 s[26:27], s[26:27], 32
	s_wait_kmcnt 0x0
	v_mul_hi_u32 v4, s41, v3
	s_delay_alu instid0(VALU_DEP_1) | instskip(NEXT) | instid1(VALU_DEP_1)
	v_add_nc_u32_e32 v4, v3, v4
	v_lshrrev_b32_e32 v4, s42, v4
	s_delay_alu instid0(VALU_DEP_1) | instskip(NEXT) | instid1(VALU_DEP_1)
	v_mul_hi_u32 v5, s44, v4
	v_add_nc_u32_e32 v5, v4, v5
	s_delay_alu instid0(VALU_DEP_1) | instskip(NEXT) | instid1(VALU_DEP_1)
	v_lshrrev_b32_e32 v5, s45, v5
	v_mul_hi_u32 v6, s47, v5
	s_delay_alu instid0(VALU_DEP_1) | instskip(SKIP_1) | instid1(VALU_DEP_1)
	v_add_nc_u32_e32 v6, v5, v6
	v_mul_lo_u32 v7, v4, s40
	v_sub_nc_u32_e32 v3, v3, v7
	v_mul_lo_u32 v7, v5, s43
	s_delay_alu instid0(VALU_DEP_4) | instskip(NEXT) | instid1(VALU_DEP_3)
	v_lshrrev_b32_e32 v6, s56, v6
	v_mad_u32 v1, v3, s49, v1
	v_mad_u32 v0, v3, s48, v0
	s_delay_alu instid0(VALU_DEP_4) | instskip(NEXT) | instid1(VALU_DEP_4)
	v_sub_nc_u32_e32 v3, v4, v7
	v_mul_hi_u32 v8, s58, v6
	v_mul_lo_u32 v4, v6, s46
	s_delay_alu instid0(VALU_DEP_3) | instskip(SKIP_1) | instid1(VALU_DEP_4)
	v_mad_u32 v1, v3, s51, v1
	v_mad_u32 v0, v3, s50, v0
	v_add_nc_u32_e32 v7, v6, v8
	s_delay_alu instid0(VALU_DEP_1) | instskip(NEXT) | instid1(VALU_DEP_1)
	v_dual_sub_nc_u32 v4, v5, v4 :: v_dual_lshrrev_b32 v3, s59, v7
	v_mad_u32 v1, v4, s53, v1
	s_delay_alu instid0(VALU_DEP_4) | instskip(NEXT) | instid1(VALU_DEP_3)
	v_mad_u32 v0, v4, s52, v0
	v_mul_lo_u32 v5, v3, s57
	s_delay_alu instid0(VALU_DEP_1) | instskip(NEXT) | instid1(VALU_DEP_1)
	v_sub_nc_u32_e32 v4, v6, v5
	v_mad_u32 v1, v4, s55, v1
	s_delay_alu instid0(VALU_DEP_4)
	v_mad_u32 v0, v4, s54, v0
	s_cbranch_scc0 .LBB19_168
	s_branch .LBB19_199
.LBB19_169:
                                        ; implicit-def: $vgpr1
	s_branch .LBB19_203
.LBB19_170:
	v_dual_mov_b32 v1, 0 :: v_dual_mov_b32 v0, 0
	s_branch .LBB19_202
.LBB19_171:
	v_mov_b64_e32 v[0:1], 0
	v_mov_b32_e32 v3, v2
	s_mov_b32 s0, 0
.LBB19_172:
	s_and_b32 s2, s1, 3
	s_mov_b32 s1, 0
	s_cmp_eq_u32 s2, 0
	s_cbranch_scc1 .LBB19_175
; %bb.173:
	s_lshl_b32 s24, s0, 3
	s_mov_b32 s25, s1
	s_mul_u64 s[26:27], s[0:1], 12
	s_add_nc_u64 s[24:25], s[16:17], s[24:25]
	s_delay_alu instid0(SALU_CYCLE_1)
	s_add_nc_u64 s[0:1], s[24:25], 0xc4
	s_add_nc_u64 s[24:25], s[16:17], s[26:27]
.LBB19_174:                             ; =>This Inner Loop Header: Depth=1
	s_load_b96 s[40:42], s[24:25], 0x4
	s_load_b64 s[26:27], s[0:1], 0x0
	s_add_co_i32 s2, s2, -1
	s_wait_xcnt 0x0
	s_add_nc_u64 s[24:25], s[24:25], 12
	s_cmp_lg_u32 s2, 0
	s_add_nc_u64 s[0:1], s[0:1], 8
	s_wait_kmcnt 0x0
	v_mul_hi_u32 v4, s41, v3
	s_delay_alu instid0(VALU_DEP_1) | instskip(NEXT) | instid1(VALU_DEP_1)
	v_add_nc_u32_e32 v4, v3, v4
	v_lshrrev_b32_e32 v4, s42, v4
	s_delay_alu instid0(VALU_DEP_1) | instskip(NEXT) | instid1(VALU_DEP_1)
	v_mul_lo_u32 v5, v4, s40
	v_sub_nc_u32_e32 v3, v3, v5
	s_delay_alu instid0(VALU_DEP_1)
	v_mad_u32 v1, v3, s27, v1
	v_mad_u32 v0, v3, s26, v0
	v_mov_b32_e32 v3, v4
	s_cbranch_scc1 .LBB19_174
.LBB19_175:
	s_cbranch_execnz .LBB19_178
.LBB19_176:
	v_mov_b32_e32 v3, 0
	s_and_not1_b32 vcc_lo, exec_lo, s33
	s_delay_alu instid0(VALU_DEP_1) | instskip(NEXT) | instid1(VALU_DEP_1)
	v_mul_u64_e32 v[0:1], s[18:19], v[2:3]
	v_add_nc_u32_e32 v0, v2, v1
	s_delay_alu instid0(VALU_DEP_1) | instskip(NEXT) | instid1(VALU_DEP_1)
	v_lshrrev_b32_e32 v4, s10, v0
	v_mul_lo_u32 v0, v4, s8
	s_delay_alu instid0(VALU_DEP_1) | instskip(NEXT) | instid1(VALU_DEP_1)
	v_sub_nc_u32_e32 v0, v2, v0
	v_mul_lo_u32 v1, v0, s13
	v_mul_lo_u32 v0, v0, s12
	s_cbranch_vccnz .LBB19_178
; %bb.177:
	v_mov_b32_e32 v5, v3
	s_delay_alu instid0(VALU_DEP_1) | instskip(NEXT) | instid1(VALU_DEP_1)
	v_mul_u64_e32 v[6:7], s[20:21], v[4:5]
	v_add_nc_u32_e32 v3, v4, v7
	s_delay_alu instid0(VALU_DEP_1) | instskip(NEXT) | instid1(VALU_DEP_1)
	v_lshrrev_b32_e32 v3, s3, v3
	v_mul_lo_u32 v3, v3, s11
	s_delay_alu instid0(VALU_DEP_1) | instskip(NEXT) | instid1(VALU_DEP_1)
	v_sub_nc_u32_e32 v3, v4, v3
	v_mad_u32 v0, v3, s14, v0
	v_mad_u32 v1, v3, s15, v1
.LBB19_178:
	global_load_b32 v1, v1, s[6:7]
                                        ; implicit-def: $vgpr3
	s_mov_b32 s0, exec_lo
	s_wait_loadcnt 0x0
	v_cmpx_ge_f32_e32 0x40a00000, v1
	s_xor_b32 s24, exec_lo, s0
	s_cbranch_execz .LBB19_184
; %bb.179:
	v_mov_b32_e32 v3, 0xff800000
	s_mov_b32 s25, exec_lo
	v_cmpx_neq_f32_e32 0, v1
	s_cbranch_execz .LBB19_183
; %bb.180:
	v_mov_b32_e32 v3, 0x7fc00000
	s_mov_b32 s26, exec_lo
	v_cmpx_nge_f32_e32 0, v1
	s_cbranch_execz .LBB19_182
; %bb.181:
	v_mul_f32_e32 v4, v1, v1
	v_mov_b64_e32 v[6:7], 0x4c8c277d4e9695f3
	v_mov_b64_e32 v[10:11], 0x508bc61dd316b96b
	;; [unrolled: 1-line block ×3, first 2 shown]
	v_div_scale_f32 v22, s2, -1.0, v1, -1.0
	v_dual_fmaak_f32 v3, 0, v4, 0x4414934d :: v_dual_mul_f32 v8, 0, v4
	v_fmaak_f32 v5, 0, v4, 0x441b3589
	v_mov_b64_e32 v[14:15], 0x548a37dcce5691e2
	v_mov_b64_e32 v[16:17], 0x5832585252d295d0
	s_delay_alu instid0(VALU_DEP_4) | instskip(SKIP_2) | instid1(VALU_DEP_3)
	v_fmaak_f32 v3, v4, v3, 0x48660b06
	v_cmp_gt_f32_e64 s0, 0x800000, v1
	v_fmaak_f32 v5, v4, v5, 0x487af6d0
	v_mul_f32_e32 v9, v4, v3
	s_delay_alu instid0(VALU_DEP_2) | instskip(NEXT) | instid1(VALU_DEP_2)
	v_fmaak_f32 v3, v4, v5, 0x4c9f4aa7
	v_pk_add_f32 v[6:7], v[8:9], v[6:7]
	s_delay_alu instid0(VALU_DEP_2) | instskip(NEXT) | instid1(VALU_DEP_2)
	v_fmaak_f32 v3, v4, v3, 0x50a509fc
	v_pk_fma_f32 v[6:7], v[4:5], v[6:7], v[10:11] op_sel_hi:[0,1,1]
	v_mov_b64_e32 v[10:11], 0x580d1937d9e700d2
	s_delay_alu instid0(VALU_DEP_3) | instskip(NEXT) | instid1(VALU_DEP_3)
	v_mul_f32_e32 v9, v4, v3
	v_pk_fma_f32 v[6:7], v[4:5], v[6:7], v[12:13] op_sel_hi:[0,1,1]
	v_mov_b64_e32 v[12:13], 0x5b741f1e5c33cd68
	s_delay_alu instid0(VALU_DEP_3) | instskip(SKIP_1) | instid1(VALU_DEP_4)
	v_pk_add_f32 v[8:9], v[8:9], v[14:15]
	v_mov_b64_e32 v[14:15], 0x5b9f0600d6845497
	v_pk_fma_f32 v[6:7], v[4:5], v[6:7], v[10:11] op_sel_hi:[0,1,1]
	v_mov_b64_e32 v[10:11], 0x5e5c878ddd2cf20b
	s_delay_alu instid0(VALU_DEP_4) | instskip(SKIP_1) | instid1(VALU_DEP_4)
	v_pk_fma_f32 v[8:9], v[4:5], v[8:9], v[16:17] op_sel_hi:[0,1,1]
	v_mov_b64_e32 v[16:17], 0x5e93bcac59515a15
	v_pk_fma_f32 v[6:7], v[4:5], v[6:7], v[12:13] op_sel_hi:[0,1,1]
	v_div_scale_f32 v13, null, v1, v1, -1.0
	s_delay_alu instid0(VALU_DEP_4) | instskip(NEXT) | instid1(VALU_DEP_3)
	v_pk_fma_f32 v[8:9], v[4:5], v[8:9], v[14:15] op_sel_hi:[0,1,1]
	v_pk_fma_f32 v[6:7], v[4:5], v[6:7], v[10:11] op_sel_hi:[0,1,1]
	v_cndmask_b32_e64 v10, 0, 32, s0
	s_delay_alu instid0(VALU_DEP_2) | instskip(NEXT) | instid1(VALU_DEP_2)
	v_div_scale_f32 v3, null, v7, v7, v6
	v_ldexp_f32 v10, v1, v10
	s_delay_alu instid0(VALU_DEP_2) | instskip(NEXT) | instid1(VALU_DEP_1)
	v_rcp_f32_e32 v11, v3
	v_log_f32_e32 v19, v10
	s_delay_alu instid0(TRANS32_DEP_2) | instskip(NEXT) | instid1(VALU_DEP_1)
	v_fma_f32 v14, -v3, v11, 1.0
	v_fmac_f32_e32 v11, v14, v11
	v_pk_fma_f32 v[8:9], v[4:5], v[8:9], v[16:17] op_sel_hi:[0,1,1]
	v_div_scale_f32 v16, vcc_lo, v6, v7, v6
	v_rcp_f32_e32 v14, v13
	s_delay_alu instid0(VALU_DEP_2) | instskip(SKIP_1) | instid1(VALU_DEP_2)
	v_div_scale_f32 v5, null, v9, v9, v8
	v_div_scale_f32 v17, s1, v8, v9, v8
	v_rcp_f32_e32 v12, v5
	s_delay_alu instid0(TRANS32_DEP_2) | instskip(NEXT) | instid1(VALU_DEP_1)
	v_fma_f32 v10, -v13, v14, 1.0
	v_fmac_f32_e32 v14, v10, v14
	s_delay_alu instid0(TRANS32_DEP_1) | instskip(NEXT) | instid1(VALU_DEP_1)
	v_fma_f32 v15, -v5, v12, 1.0
	v_dual_fmac_f32 v12, v15, v12 :: v_dual_mul_f32 v15, v16, v11
	s_delay_alu instid0(VALU_DEP_1) | instskip(NEXT) | instid1(VALU_DEP_1)
	v_dual_mul_f32 v18, v17, v12 :: v_dual_fma_f32 v20, -v3, v15, v16
	v_dual_fma_f32 v21, -v5, v18, v17 :: v_dual_fmac_f32 v15, v20, v11
	s_delay_alu instid0(VALU_DEP_1) | instskip(SKIP_1) | instid1(VALU_DEP_2)
	v_dual_fmac_f32 v18, v21, v12 :: v_dual_fma_f32 v3, -v3, v15, v16
	v_mul_f32_e32 v16, v22, v14
	v_fma_f32 v5, -v5, v18, v17
	s_delay_alu instid0(VALU_DEP_3) | instskip(SKIP_2) | instid1(VALU_DEP_3)
	v_div_fmas_f32 v3, v3, v11, v15
	s_mov_b32 vcc_lo, s1
	v_mov_b64_e32 v[10:11], 0xc16ae95ac244dfb3
	v_div_fmas_f32 v5, v5, v12, v18
	v_fma_f32 v12, -v13, v16, v22
	v_mul_f32_e32 v23, 0x3f317217, v19
	v_cmp_gt_f32_e64 vcc_lo, 0x7f800000, |v19|
	s_delay_alu instid0(VALU_DEP_4) | instskip(NEXT) | instid1(VALU_DEP_4)
	v_div_fixup_f32 v8, v5, v9, v8
	v_fmac_f32_e32 v16, v12, v14
	s_delay_alu instid0(VALU_DEP_4) | instskip(SKIP_3) | instid1(VALU_DEP_1)
	v_fma_f32 v20, 0x3f317217, v19, -v23
	v_pk_add_f32 v[4:5], v[4:5], v[10:11] op_sel_hi:[0,1]
	v_cndmask_b32_e64 v9, 0, 0x41b17218, s0
	v_mul_f32_e32 v8, v1, v8
	v_mul_f32_e32 v5, v5, v8
	s_delay_alu instid0(VALU_DEP_1) | instskip(NEXT) | instid1(VALU_DEP_1)
	v_dual_fmamk_f32 v15, v19, 0x3377d1cf, v20 :: v_dual_mul_f32 v4, v4, v5
	v_fmac_f32_e32 v15, 0x3f317217, v19
	s_delay_alu instid0(VALU_DEP_1) | instskip(SKIP_1) | instid1(VALU_DEP_1)
	v_dual_fma_f32 v10, -v13, v16, v22 :: v_dual_cndmask_b32 v11, v19, v15, vcc_lo
	s_mov_b32 vcc_lo, s2
	v_div_fmas_f32 v8, v10, v14, v16
	s_delay_alu instid0(VALU_DEP_2) | instskip(NEXT) | instid1(VALU_DEP_2)
	v_sub_f32_e32 v9, v11, v9
	v_div_fixup_f32 v5, v8, v1, -1.0
	s_delay_alu instid0(VALU_DEP_1) | instskip(SKIP_1) | instid1(VALU_DEP_2)
	v_fmac_f32_e32 v5, v9, v4
	v_div_fixup_f32 v4, v3, v7, v6
	v_mul_f32_e32 v3, 0x3f22f983, v5
	s_delay_alu instid0(VALU_DEP_1)
	v_fmac_f32_e32 v3, v1, v4
.LBB19_182:
	s_or_b32 exec_lo, exec_lo, s26
.LBB19_183:
	s_delay_alu instid0(SALU_CYCLE_1)
	s_or_b32 exec_lo, exec_lo, s25
                                        ; implicit-def: $vgpr1
.LBB19_184:
	s_and_not1_saveexec_b32 s24, s24
	s_cbranch_execz .LBB19_194
; %bb.185:
	v_add_f32_e32 v3, 0xc016cbe4, v1
                                        ; implicit-def: $vgpr6
                                        ; implicit-def: $vgpr5
	s_delay_alu instid0(VALU_DEP_1) | instskip(SKIP_2) | instid1(SALU_CYCLE_1)
	v_and_b32_e32 v4, 0x7fffffff, v3
	v_cmp_ngt_f32_e64 s2, 0x48000000, |v3|
	s_and_saveexec_b32 s0, s2
	s_xor_b32 s25, exec_lo, s0
	s_cbranch_execz .LBB19_187
; %bb.186:
	s_mov_b32 s0, 0x7fffff
	v_mov_b32_e32 v7, 0
	v_and_or_b32 v6, v4, s0, 0x800000
	s_mov_b64 s[0:1], 0xfe5163ab
	v_lshrrev_b32_e32 v5, 23, v4
	s_delay_alu instid0(VALU_DEP_2) | instskip(NEXT) | instid1(VALU_DEP_1)
	v_mul_u64_e32 v[8:9], s[0:1], v[6:7]
	v_dual_mov_b32 v10, v9 :: v_dual_mov_b32 v11, v7
	v_dual_mov_b32 v13, v7 :: v_dual_mov_b32 v15, v7
	;; [unrolled: 1-line block ×3, first 2 shown]
	s_delay_alu instid0(VALU_DEP_3) | instskip(NEXT) | instid1(VALU_DEP_1)
	v_mad_nc_u64_u32 v[10:11], 0x3c439041, v6, v[10:11]
	v_mov_b32_e32 v12, v11
	s_delay_alu instid0(VALU_DEP_1) | instskip(NEXT) | instid1(VALU_DEP_1)
	v_mad_nc_u64_u32 v[12:13], 0xdb629599, v6, v[12:13]
	v_mov_b32_e32 v14, v13
	s_delay_alu instid0(VALU_DEP_1) | instskip(NEXT) | instid1(VALU_DEP_1)
	;; [unrolled: 3-line block ×3, first 2 shown]
	v_mad_nc_u64_u32 v[16:17], 0xfc2757d1, v6, v[16:17]
	v_dual_mov_b32 v19, v7 :: v_dual_mov_b32 v18, v17
	s_delay_alu instid0(VALU_DEP_1) | instskip(NEXT) | instid1(VALU_DEP_1)
	v_mad_nc_u64_u32 v[18:19], 0x4e441529, v6, v[18:19]
	v_dual_mov_b32 v20, v19 :: v_dual_add_nc_u32 v5, 0xffffff88, v5
	s_delay_alu instid0(VALU_DEP_1) | instskip(NEXT) | instid1(VALU_DEP_2)
	v_cmp_lt_u32_e32 vcc_lo, 63, v5
	v_mad_nc_u64_u32 v[6:7], 0xa2f9836e, v6, v[20:21]
	v_cndmask_b32_e64 v9, 0, 0xffffffc0, vcc_lo
	v_dual_cndmask_b32 v11, v18, v14 :: v_dual_cndmask_b32 v8, v12, v8
	s_delay_alu instid0(VALU_DEP_2) | instskip(NEXT) | instid1(VALU_DEP_1)
	v_add_nc_u32_e32 v5, v9, v5
	v_cmp_lt_u32_e64 s0, 31, v5
	v_dual_cndmask_b32 v6, v6, v16 :: v_dual_cndmask_b32 v7, v7, v18
	s_delay_alu instid0(VALU_DEP_2) | instskip(NEXT) | instid1(VALU_DEP_1)
	v_cndmask_b32_e64 v9, 0, 0xffffffe0, s0
	v_add_nc_u32_e32 v5, v9, v5
	s_delay_alu instid0(VALU_DEP_1) | instskip(NEXT) | instid1(VALU_DEP_1)
	v_cmp_lt_u32_e64 s1, 31, v5
	v_cndmask_b32_e64 v9, 0, 0xffffffe0, s1
	s_delay_alu instid0(VALU_DEP_1) | instskip(SKIP_2) | instid1(VALU_DEP_3)
	v_dual_cndmask_b32 v13, v16, v12, vcc_lo :: v_dual_add_nc_u32 v5, v9, v5
	v_cndmask_b32_e32 v9, v14, v10, vcc_lo
	v_dual_cndmask_b32 v10, v6, v11, s0 :: v_dual_cndmask_b32 v6, v7, v6, s0
	v_cndmask_b32_e64 v7, v11, v13, s0
	s_delay_alu instid0(VALU_DEP_4) | instskip(NEXT) | instid1(VALU_DEP_4)
	v_sub_nc_u32_e32 v11, 32, v5
	v_cndmask_b32_e64 v13, v13, v9, s0
	v_cmp_eq_u32_e32 vcc_lo, 0, v5
	v_cndmask_b32_e64 v6, v6, v10, s1
	s_delay_alu instid0(VALU_DEP_3) | instskip(NEXT) | instid1(VALU_DEP_1)
	v_dual_cndmask_b32 v10, v10, v7, s1 :: v_dual_cndmask_b32 v7, v7, v13, s1
	v_alignbit_b32 v14, v6, v10, v11
	s_delay_alu instid0(VALU_DEP_2) | instskip(NEXT) | instid1(VALU_DEP_2)
	v_alignbit_b32 v12, v10, v7, v11
	v_dual_cndmask_b32 v5, v14, v6, vcc_lo :: v_dual_cndmask_b32 v6, v9, v8, s0
	s_delay_alu instid0(VALU_DEP_1) | instskip(NEXT) | instid1(VALU_DEP_1)
	v_bfe_u32 v9, v5, 29, 1
	v_dual_cndmask_b32 v8, v12, v10, vcc_lo :: v_dual_sub_nc_u32 v12, 0, v9
	s_delay_alu instid0(VALU_DEP_1) | instskip(NEXT) | instid1(VALU_DEP_1)
	v_alignbit_b32 v10, v5, v8, 30
	v_dual_cndmask_b32 v6, v13, v6, s1 :: v_dual_bitop2_b32 v10, v10, v12 bitop3:0x14
	s_delay_alu instid0(VALU_DEP_1) | instskip(NEXT) | instid1(VALU_DEP_1)
	v_alignbit_b32 v11, v7, v6, v11
	v_cndmask_b32_e32 v7, v11, v7, vcc_lo
	s_delay_alu instid0(VALU_DEP_3) | instskip(NEXT) | instid1(VALU_DEP_2)
	v_clz_i32_u32_e32 v11, v10
	v_alignbit_b32 v6, v7, v6, 30
	s_delay_alu instid0(VALU_DEP_2) | instskip(NEXT) | instid1(VALU_DEP_2)
	v_min_u32_e32 v11, 32, v11
	v_xor_b32_e32 v6, v6, v12
	v_alignbit_b32 v8, v8, v7, 30
	s_delay_alu instid0(VALU_DEP_1) | instskip(SKIP_1) | instid1(VALU_DEP_1)
	v_dual_lshlrev_b32 v13, 23, v11 :: v_dual_bitop2_b32 v7, v8, v12 bitop3:0x14
	v_dual_sub_nc_u32 v8, 31, v11 :: v_dual_lshrrev_b32 v12, 29, v5
	v_alignbit_b32 v10, v10, v7, v8
	v_alignbit_b32 v6, v7, v6, v8
	s_delay_alu instid0(VALU_DEP_3) | instskip(NEXT) | instid1(VALU_DEP_2)
	v_lshlrev_b32_e32 v7, 31, v12
	v_alignbit_b32 v8, v10, v6, 9
	s_delay_alu instid0(VALU_DEP_2) | instskip(NEXT) | instid1(VALU_DEP_2)
	v_dual_lshrrev_b32 v10, 9, v10 :: v_dual_bitop2_b32 v12, 0.5, v7 bitop3:0x54
	v_clz_i32_u32_e32 v14, v8
	s_delay_alu instid0(VALU_DEP_2) | instskip(SKIP_1) | instid1(VALU_DEP_3)
	v_sub_nc_u32_e32 v12, v12, v13
	v_or_b32_e32 v7, 0x33000000, v7
	v_min_u32_e32 v13, 32, v14
	s_delay_alu instid0(VALU_DEP_1) | instskip(NEXT) | instid1(VALU_DEP_4)
	v_add_lshl_u32 v11, v13, v11, 23
	v_or_b32_e32 v10, v10, v12
	v_not_b32_e32 v12, v13
	s_delay_alu instid0(VALU_DEP_2) | instskip(NEXT) | instid1(VALU_DEP_2)
	v_dual_mul_f32 v14, 0x3fc90fda, v10 :: v_dual_sub_nc_u32 v7, v7, v11
	v_alignbit_b32 v6, v8, v6, v12
	s_delay_alu instid0(VALU_DEP_2) | instskip(NEXT) | instid1(VALU_DEP_2)
	v_fma_f32 v8, 0x3fc90fda, v10, -v14
	v_lshrrev_b32_e32 v6, 9, v6
	s_delay_alu instid0(VALU_DEP_2) | instskip(NEXT) | instid1(VALU_DEP_2)
	v_fmamk_f32 v8, v10, 0x33a22168, v8
	v_or_b32_e32 v6, v7, v6
	s_delay_alu instid0(VALU_DEP_1) | instskip(NEXT) | instid1(VALU_DEP_1)
	v_fmac_f32_e32 v8, 0x3fc90fda, v6
	v_dual_add_f32 v5, v14, v8 :: v_dual_lshrrev_b32 v6, 30, v5
	s_delay_alu instid0(VALU_DEP_1)
	v_add_nc_u32_e32 v6, v9, v6
	s_and_not1_saveexec_b32 s0, s25
	s_branch .LBB19_188
.LBB19_187:
	s_and_not1_saveexec_b32 s0, s25
.LBB19_188:
	v_mul_f32_e64 v5, 0x3f22f983, |v3|
	s_delay_alu instid0(VALU_DEP_1) | instskip(NEXT) | instid1(VALU_DEP_1)
	v_rndne_f32_e32 v6, v5
	v_fma_f32 v5, 0xbfc90fda, v6, |v3|
	s_delay_alu instid0(VALU_DEP_1) | instskip(NEXT) | instid1(VALU_DEP_1)
	v_fmamk_f32 v5, v6, 0xb3a22168, v5
	v_fmamk_f32 v5, v6, 0xa7c234c4, v5
	v_cvt_i32_f32_e32 v6, v6
; %bb.189:
	s_or_b32 exec_lo, exec_lo, s0
                                        ; implicit-def: $vgpr8
                                        ; implicit-def: $vgpr7
	s_and_saveexec_b32 s0, s2
	s_delay_alu instid0(SALU_CYCLE_1)
	s_xor_b32 s2, exec_lo, s0
	s_cbranch_execz .LBB19_191
; %bb.190:
	s_mov_b32 s0, 0x7fffff
	v_mov_b32_e32 v9, 0
	v_and_or_b32 v8, v4, s0, 0x800000
	s_mov_b64 s[0:1], 0xfe5163ab
	v_lshrrev_b32_e32 v7, 23, v4
	s_delay_alu instid0(VALU_DEP_2) | instskip(NEXT) | instid1(VALU_DEP_1)
	v_mul_u64_e32 v[10:11], s[0:1], v[8:9]
	v_dual_mov_b32 v12, v11 :: v_dual_mov_b32 v13, v9
	v_dual_mov_b32 v15, v9 :: v_dual_mov_b32 v17, v9
	v_dual_mov_b32 v19, v9 :: v_dual_mov_b32 v23, v9
	s_delay_alu instid0(VALU_DEP_3) | instskip(NEXT) | instid1(VALU_DEP_1)
	v_mad_nc_u64_u32 v[12:13], 0x3c439041, v8, v[12:13]
	v_mov_b32_e32 v14, v13
	s_delay_alu instid0(VALU_DEP_1) | instskip(NEXT) | instid1(VALU_DEP_1)
	v_mad_nc_u64_u32 v[14:15], 0xdb629599, v8, v[14:15]
	v_mov_b32_e32 v16, v15
	s_delay_alu instid0(VALU_DEP_1) | instskip(NEXT) | instid1(VALU_DEP_1)
	;; [unrolled: 3-line block ×3, first 2 shown]
	v_mad_nc_u64_u32 v[18:19], 0xfc2757d1, v8, v[18:19]
	v_dual_mov_b32 v21, v9 :: v_dual_mov_b32 v20, v19
	s_delay_alu instid0(VALU_DEP_1) | instskip(NEXT) | instid1(VALU_DEP_1)
	v_mad_nc_u64_u32 v[20:21], 0x4e441529, v8, v[20:21]
	v_dual_mov_b32 v22, v21 :: v_dual_add_nc_u32 v7, 0xffffff88, v7
	s_delay_alu instid0(VALU_DEP_1) | instskip(NEXT) | instid1(VALU_DEP_2)
	v_cmp_lt_u32_e32 vcc_lo, 63, v7
	v_mad_nc_u64_u32 v[8:9], 0xa2f9836e, v8, v[22:23]
	v_cndmask_b32_e64 v11, 0, 0xffffffc0, vcc_lo
	v_dual_cndmask_b32 v13, v20, v16 :: v_dual_cndmask_b32 v10, v14, v10
	s_delay_alu instid0(VALU_DEP_2) | instskip(NEXT) | instid1(VALU_DEP_1)
	v_add_nc_u32_e32 v7, v11, v7
	v_cmp_lt_u32_e64 s0, 31, v7
	v_dual_cndmask_b32 v8, v8, v18 :: v_dual_cndmask_b32 v9, v9, v20
	s_delay_alu instid0(VALU_DEP_2) | instskip(NEXT) | instid1(VALU_DEP_1)
	v_cndmask_b32_e64 v11, 0, 0xffffffe0, s0
	v_add_nc_u32_e32 v7, v11, v7
	s_delay_alu instid0(VALU_DEP_1) | instskip(NEXT) | instid1(VALU_DEP_1)
	v_cmp_lt_u32_e64 s1, 31, v7
	v_cndmask_b32_e64 v11, 0, 0xffffffe0, s1
	s_delay_alu instid0(VALU_DEP_1) | instskip(SKIP_2) | instid1(VALU_DEP_3)
	v_dual_cndmask_b32 v15, v18, v14, vcc_lo :: v_dual_add_nc_u32 v7, v11, v7
	v_cndmask_b32_e32 v11, v16, v12, vcc_lo
	v_dual_cndmask_b32 v12, v8, v13, s0 :: v_dual_cndmask_b32 v8, v9, v8, s0
	v_cndmask_b32_e64 v9, v13, v15, s0
	s_delay_alu instid0(VALU_DEP_4) | instskip(NEXT) | instid1(VALU_DEP_4)
	v_sub_nc_u32_e32 v13, 32, v7
	v_cndmask_b32_e64 v15, v15, v11, s0
	v_cmp_eq_u32_e32 vcc_lo, 0, v7
	v_cndmask_b32_e64 v8, v8, v12, s1
	s_delay_alu instid0(VALU_DEP_3) | instskip(NEXT) | instid1(VALU_DEP_1)
	v_dual_cndmask_b32 v12, v12, v9, s1 :: v_dual_cndmask_b32 v9, v9, v15, s1
	v_alignbit_b32 v16, v8, v12, v13
	s_delay_alu instid0(VALU_DEP_2) | instskip(NEXT) | instid1(VALU_DEP_2)
	v_alignbit_b32 v14, v12, v9, v13
	v_dual_cndmask_b32 v7, v16, v8, vcc_lo :: v_dual_cndmask_b32 v8, v11, v10, s0
	s_delay_alu instid0(VALU_DEP_1) | instskip(NEXT) | instid1(VALU_DEP_1)
	v_bfe_u32 v11, v7, 29, 1
	v_dual_cndmask_b32 v10, v14, v12, vcc_lo :: v_dual_sub_nc_u32 v14, 0, v11
	s_delay_alu instid0(VALU_DEP_1) | instskip(NEXT) | instid1(VALU_DEP_1)
	v_alignbit_b32 v12, v7, v10, 30
	v_dual_cndmask_b32 v8, v15, v8, s1 :: v_dual_bitop2_b32 v12, v12, v14 bitop3:0x14
	s_delay_alu instid0(VALU_DEP_1) | instskip(NEXT) | instid1(VALU_DEP_1)
	v_alignbit_b32 v13, v9, v8, v13
	v_cndmask_b32_e32 v9, v13, v9, vcc_lo
	s_delay_alu instid0(VALU_DEP_3) | instskip(NEXT) | instid1(VALU_DEP_2)
	v_clz_i32_u32_e32 v13, v12
	v_alignbit_b32 v8, v9, v8, 30
	s_delay_alu instid0(VALU_DEP_2) | instskip(NEXT) | instid1(VALU_DEP_2)
	v_min_u32_e32 v13, 32, v13
	v_xor_b32_e32 v8, v8, v14
	v_alignbit_b32 v10, v10, v9, 30
	s_delay_alu instid0(VALU_DEP_1) | instskip(SKIP_1) | instid1(VALU_DEP_1)
	v_dual_lshlrev_b32 v15, 23, v13 :: v_dual_bitop2_b32 v9, v10, v14 bitop3:0x14
	v_dual_sub_nc_u32 v10, 31, v13 :: v_dual_lshrrev_b32 v14, 29, v7
	v_alignbit_b32 v12, v12, v9, v10
	v_alignbit_b32 v8, v9, v8, v10
	s_delay_alu instid0(VALU_DEP_3) | instskip(NEXT) | instid1(VALU_DEP_2)
	v_lshlrev_b32_e32 v9, 31, v14
	v_alignbit_b32 v10, v12, v8, 9
	s_delay_alu instid0(VALU_DEP_2) | instskip(NEXT) | instid1(VALU_DEP_2)
	v_dual_lshrrev_b32 v12, 9, v12 :: v_dual_bitop2_b32 v14, 0.5, v9 bitop3:0x54
	v_clz_i32_u32_e32 v16, v10
	s_delay_alu instid0(VALU_DEP_2) | instskip(SKIP_1) | instid1(VALU_DEP_3)
	v_sub_nc_u32_e32 v14, v14, v15
	v_or_b32_e32 v9, 0x33000000, v9
	v_min_u32_e32 v15, 32, v16
	s_delay_alu instid0(VALU_DEP_1) | instskip(NEXT) | instid1(VALU_DEP_4)
	v_add_lshl_u32 v13, v15, v13, 23
	v_or_b32_e32 v12, v12, v14
	v_not_b32_e32 v14, v15
	s_delay_alu instid0(VALU_DEP_2) | instskip(NEXT) | instid1(VALU_DEP_2)
	v_dual_mul_f32 v16, 0x3fc90fda, v12 :: v_dual_sub_nc_u32 v9, v9, v13
	v_alignbit_b32 v8, v10, v8, v14
	s_delay_alu instid0(VALU_DEP_2) | instskip(NEXT) | instid1(VALU_DEP_2)
	v_fma_f32 v10, 0x3fc90fda, v12, -v16
	v_lshrrev_b32_e32 v8, 9, v8
	s_delay_alu instid0(VALU_DEP_2) | instskip(NEXT) | instid1(VALU_DEP_2)
	v_fmamk_f32 v10, v12, 0x33a22168, v10
	v_or_b32_e32 v8, v9, v8
	s_delay_alu instid0(VALU_DEP_1) | instskip(NEXT) | instid1(VALU_DEP_1)
	v_fmac_f32_e32 v10, 0x3fc90fda, v8
	v_dual_add_f32 v7, v16, v10 :: v_dual_lshrrev_b32 v8, 30, v7
	s_delay_alu instid0(VALU_DEP_1)
	v_add_nc_u32_e32 v8, v11, v8
	s_and_not1_saveexec_b32 s0, s2
	s_cbranch_execnz .LBB19_192
	s_branch .LBB19_193
.LBB19_191:
	s_and_not1_saveexec_b32 s0, s2
.LBB19_192:
	v_mul_f32_e64 v7, 0x3f22f983, |v3|
	s_delay_alu instid0(VALU_DEP_1) | instskip(NEXT) | instid1(VALU_DEP_1)
	v_rndne_f32_e32 v8, v7
	v_fma_f32 v7, 0xbfc90fda, v8, |v3|
	s_delay_alu instid0(VALU_DEP_1) | instskip(NEXT) | instid1(VALU_DEP_1)
	v_fmamk_f32 v7, v8, 0xb3a22168, v7
	v_fmamk_f32 v7, v8, 0xa7c234c4, v7
	v_cvt_i32_f32_e32 v8, v8
.LBB19_193:
	s_or_b32 exec_lo, exec_lo, s0
	v_div_scale_f32 v9, null, v1, v1, 0x40a00000
	v_div_scale_f32 v12, vcc_lo, 0x40a00000, v1, 0x40a00000
	s_mov_b32 s0, 0xb94c1982
	v_rcp_f32_e32 v10, v9
	s_mov_b32 s1, 0x37d75334
	v_xor_b32_e32 v4, v4, v3
	v_and_b32_e32 v14, 1, v8
	s_delay_alu instid0(TRANS32_DEP_1) | instskip(NEXT) | instid1(VALU_DEP_1)
	v_fma_f32 v11, -v9, v10, 1.0
	v_fmac_f32_e32 v10, v11, v10
	s_delay_alu instid0(VALU_DEP_1) | instskip(NEXT) | instid1(VALU_DEP_1)
	v_mul_f32_e32 v11, v12, v10
	v_fma_f32 v13, -v9, v11, v12
	s_delay_alu instid0(VALU_DEP_1) | instskip(NEXT) | instid1(VALU_DEP_1)
	v_dual_fmac_f32 v11, v13, v10 :: v_dual_mul_f32 v13, v7, v7
	v_fma_f32 v9, -v9, v11, v12
	s_delay_alu instid0(VALU_DEP_2) | instskip(SKIP_1) | instid1(VALU_DEP_3)
	v_fmaak_f32 v22, s0, v13, 0x3c0881c4
	v_fmaak_f32 v23, s1, v13, 0xbab64f3b
	v_div_fmas_f32 v9, v9, v10, v11
	v_dual_mul_f32 v10, v5, v5 :: v_dual_bitop2_b32 v11, 1, v6 bitop3:0x40
	s_delay_alu instid0(VALU_DEP_4) | instskip(NEXT) | instid1(VALU_DEP_4)
	v_fmaak_f32 v22, v13, v22, 0xbe2aaa9d
	v_fmaak_f32 v23, v13, v23, 0x3d2aabf7
	s_delay_alu instid0(VALU_DEP_4) | instskip(NEXT) | instid1(VALU_DEP_4)
	v_div_fixup_f32 v9, v9, v1, 0x40a00000
	v_fmaak_f32 v20, s0, v10, 0x3c0881c4
	v_cmp_gt_f32_e64 s0, 0xf800000, v1
	v_cmp_eq_u32_e64 s2, 0, v11
	v_fmaak_f32 v23, v13, v23, 0xbf000004
	v_dual_mul_f32 v12, v9, v9 :: v_dual_lshlrev_b32 v6, 30, v6
	v_fmaak_f32 v20, v10, v20, 0xbe2aaa9d
	v_dual_mul_f32 v19, 0x4f800000, v1 :: v_dual_mul_f32 v22, v13, v22
	s_delay_alu instid0(VALU_DEP_3) | instskip(SKIP_1) | instid1(VALU_DEP_3)
	v_fmaak_f32 v15, 0, v12, 0x3d513fd3
	v_fmaak_f32 v16, 0, v12, 0x3a15c4d9
	v_dual_mul_f32 v20, v10, v20 :: v_dual_cndmask_b32 v1, v1, v19, s0
	s_delay_alu instid0(VALU_DEP_3) | instskip(NEXT) | instid1(VALU_DEP_3)
	v_dual_fmaak_f32 v15, v12, v15, 0x409f6dae :: v_dual_lshlrev_b32 v8, 30, v8
	v_dual_fmaak_f32 v16, v12, v16, 0x3d8cfeeb :: v_dual_fmac_f32 v7, v7, v22
	s_delay_alu instid0(VALU_DEP_3) | instskip(SKIP_2) | instid1(VALU_DEP_3)
	v_sqrt_f32_e32 v26, v1
	v_fmaak_f32 v18, 0, v12, 0x3a47c962
	v_fmaak_f32 v17, 0, v12, 0x42947983
	;; [unrolled: 1-line block ×3, first 2 shown]
	v_fmac_f32_e32 v5, v5, v20
	v_fma_f32 v13, v13, v23, 1.0
	v_and_b32_e32 v6, 0x80000000, v6
	v_add_nc_u32_e32 v31, 1, v26
	v_fmaak_f32 v18, v12, v18, 0x3d95ca45
	v_fmaak_f32 v16, v12, v16, 0x40a25d18
	;; [unrolled: 1-line block ×3, first 2 shown]
	s_delay_alu instid0(VALU_DEP_3) | instskip(NEXT) | instid1(VALU_DEP_3)
	v_fmaak_f32 v18, v12, v18, 0x3f9047f6
	v_fmaak_f32 v16, v12, v16, 0x410665cf
	s_delay_alu instid0(VALU_DEP_3) | instskip(NEXT) | instid1(VALU_DEP_3)
	v_fmaak_f32 v17, v12, v17, 0x459bd349
	v_fmaak_f32 v18, v12, v18, 0x40a39628
	s_delay_alu instid0(VALU_DEP_3) | instskip(NEXT) | instid1(VALU_DEP_3)
	v_fmaak_f32 v16, v12, v16, 0x40a6b6ea
	v_fmaak_f32 v17, v12, v17, 0x46156947
	s_delay_alu instid0(VALU_DEP_3) | instskip(NEXT) | instid1(VALU_DEP_3)
	v_fmaak_f32 v18, v12, v18, 0x4106c8e4
	v_fma_f32 v16, v12, v16, 1.0
	s_delay_alu instid0(VALU_DEP_3) | instskip(NEXT) | instid1(VALU_DEP_3)
	v_fmaak_f32 v17, v12, v17, 0x45f9e855
	v_fmaak_f32 v18, v12, v18, 0x40a6dd51
	s_delay_alu instid0(VALU_DEP_2) | instskip(NEXT) | instid1(VALU_DEP_2)
	v_fmaak_f32 v17, v12, v17, 0x4530a316
	v_fma_f32 v18, v12, v18, 1.0
	s_delay_alu instid0(VALU_DEP_2) | instskip(NEXT) | instid1(VALU_DEP_2)
	v_fmaak_f32 v17, v12, v17, 0x43a80bfb
	v_div_scale_f32 v29, vcc_lo, v18, v16, v18
	v_fmaak_f32 v15, v12, v15, 0x4297a5cd
	s_delay_alu instid0(VALU_DEP_1) | instskip(NEXT) | instid1(VALU_DEP_1)
	v_fmaak_f32 v15, v12, v15, 0x43b763ca
	v_fmaak_f32 v15, v12, v15, 0x4431b6ce
	s_delay_alu instid0(VALU_DEP_1) | instskip(NEXT) | instid1(VALU_DEP_1)
	v_fmaak_f32 v15, v12, v15, 0x44155f56
	v_fmaak_f32 v15, v12, v15, 0x4353b052
	s_delay_alu instid0(VALU_DEP_1) | instskip(SKIP_1) | instid1(VALU_DEP_2)
	v_fmaak_f32 v12, v12, v15, 0x41c9a7fa
	v_div_scale_f32 v15, null, v16, v16, v18
	v_div_scale_f32 v19, null, v17, v17, v12
	s_delay_alu instid0(VALU_DEP_2) | instskip(NEXT) | instid1(VALU_DEP_1)
	v_rcp_f32_e32 v24, v15
	v_rcp_f32_e32 v25, v19
	s_delay_alu instid0(TRANS32_DEP_2) | instskip(NEXT) | instid1(TRANS32_DEP_1)
	v_fma_f32 v27, -v15, v24, 1.0
	v_fma_f32 v28, -v19, v25, 1.0
	s_delay_alu instid0(VALU_DEP_1) | instskip(NEXT) | instid1(VALU_DEP_1)
	v_dual_fmac_f32 v24, v27, v24 :: v_dual_fmac_f32 v25, v28, v25
	v_dual_add_nc_u32 v28, -1, v26 :: v_dual_mul_f32 v30, v29, v24
	s_delay_alu instid0(VALU_DEP_1) | instskip(SKIP_2) | instid1(VALU_DEP_4)
	v_fma_f32 v20, -v15, v30, v29
	v_fmaak_f32 v21, s1, v10, 0xbab64f3b
	v_div_scale_f32 v27, s1, v12, v17, v12
	v_fma_f32 v22, -v28, v26, v1
	s_delay_alu instid0(VALU_DEP_3) | instskip(NEXT) | instid1(VALU_DEP_3)
	v_dual_fmac_f32 v30, v20, v24 :: v_dual_fmaak_f32 v21, v10, v21, 0x3d2aabf7
	v_mul_f32_e32 v32, v27, v25
	s_delay_alu instid0(VALU_DEP_2) | instskip(NEXT) | instid1(VALU_DEP_1)
	v_fmaak_f32 v21, v10, v21, 0xbf000004
	v_fma_f32 v10, v10, v21, 1.0
	s_delay_alu instid0(VALU_DEP_3) | instskip(NEXT) | instid1(VALU_DEP_2)
	v_fma_f32 v21, -v19, v32, v27
	v_dual_fma_f32 v20, -v31, v26, v1 :: v_dual_cndmask_b32 v5, v10, v5, s2
	s_delay_alu instid0(VALU_DEP_2) | instskip(SKIP_1) | instid1(VALU_DEP_3)
	v_dual_fmac_f32 v32, v21, v25 :: v_dual_fma_f32 v10, -v15, v30, v29
	v_cmp_eq_u32_e64 s2, 0, v14
	v_xor3_b32 v4, v4, v6, v5
	s_delay_alu instid0(VALU_DEP_3) | instskip(NEXT) | instid1(VALU_DEP_4)
	v_fma_f32 v11, -v19, v32, v27
	v_div_fmas_f32 v10, v10, v24, v30
	s_mov_b32 vcc_lo, s1
	v_cndmask_b32_e64 v7, -v7, v13, s2
	v_cmp_lt_f32_e64 s1, 0, v20
	v_div_fmas_f32 v11, v11, v25, v32
	v_cmp_ge_f32_e32 vcc_lo, 0, v22
	s_delay_alu instid0(VALU_DEP_2)
	v_div_fixup_f32 v5, v11, v17, v12
	v_cndmask_b32_e32 v13, v26, v28, vcc_lo
	v_cmp_class_f32_e64 vcc_lo, v3, 0x1f8
	v_bitop3_b32 v3, v8, v7, 0x80000000 bitop3:0x6c
	v_div_fixup_f32 v8, v10, v16, v18
	v_mul_f32_e32 v5, v9, v5
	v_cndmask_b32_e64 v6, v13, v31, s1
	v_cndmask_b32_e32 v4, 0x7fc00000, v4, vcc_lo
	v_cndmask_b32_e32 v3, 0x7fc00000, v3, vcc_lo
	v_cmp_class_f32_e64 vcc_lo, v1, 0x260
	s_delay_alu instid0(VALU_DEP_4) | instskip(NEXT) | instid1(VALU_DEP_3)
	v_mul_f32_e32 v7, 0x37800000, v6
	v_mul_f32_e32 v3, v5, v3
	s_delay_alu instid0(VALU_DEP_1) | instskip(NEXT) | instid1(VALU_DEP_1)
	v_dual_cndmask_b32 v5, v6, v7, s0 :: v_dual_fmac_f32 v3, v8, v4
	v_cndmask_b32_e32 v1, v5, v1, vcc_lo
	s_delay_alu instid0(VALU_DEP_2) | instskip(NEXT) | instid1(VALU_DEP_1)
	v_mul_f32_e32 v3, 0x3f4c422a, v3
	v_div_scale_f32 v4, null, v1, v1, v3
	s_delay_alu instid0(VALU_DEP_1) | instskip(SKIP_1) | instid1(TRANS32_DEP_1)
	v_rcp_f32_e32 v5, v4
	v_nop
	v_fma_f32 v6, -v4, v5, 1.0
	s_delay_alu instid0(VALU_DEP_1) | instskip(SKIP_1) | instid1(VALU_DEP_1)
	v_fmac_f32_e32 v5, v6, v5
	v_div_scale_f32 v6, vcc_lo, v3, v1, v3
	v_mul_f32_e32 v7, v6, v5
	s_delay_alu instid0(VALU_DEP_1) | instskip(NEXT) | instid1(VALU_DEP_1)
	v_fma_f32 v8, -v4, v7, v6
	v_fmac_f32_e32 v7, v8, v5
	s_delay_alu instid0(VALU_DEP_1) | instskip(NEXT) | instid1(VALU_DEP_1)
	v_fma_f32 v4, -v4, v7, v6
	v_div_fmas_f32 v4, v4, v5, v7
	s_delay_alu instid0(VALU_DEP_1)
	v_div_fixup_f32 v3, v4, v1, v3
.LBB19_194:
	s_or_b32 exec_lo, exec_lo, s24
	v_add_nc_u32_e32 v2, 0x80, v2
	global_store_b32 v0, v3, s[4:5]
	s_wait_xcnt 0x0
	s_or_b32 exec_lo, exec_lo, s9
	s_delay_alu instid0(SALU_CYCLE_1)
	s_mov_b32 s9, exec_lo
	v_cmpx_gt_i32_e64 s34, v2
	s_cbranch_execnz .LBB19_164
.LBB19_195:
	s_or_b32 exec_lo, exec_lo, s9
	s_delay_alu instid0(SALU_CYCLE_1)
	s_mov_b32 s9, exec_lo
	v_cmpx_gt_i32_e64 s34, v2
	s_cbranch_execnz .LBB19_222
.LBB19_196:
	s_or_b32 exec_lo, exec_lo, s9
                                        ; implicit-def: $vgpr8
                                        ; implicit-def: $vgpr2
	s_and_not1_saveexec_b32 s0, s31
	s_cbranch_execnz .LBB19_8
.LBB19_197:
	s_endpgm
.LBB19_198:
	v_mov_b64_e32 v[0:1], 0
	v_mov_b32_e32 v3, v2
	s_mov_b32 s0, 0
.LBB19_199:
	s_and_b32 s2, s1, 3
	s_mov_b32 s1, 0
	s_cmp_eq_u32 s2, 0
	s_cbranch_scc1 .LBB19_202
; %bb.200:
	s_lshl_b32 s24, s0, 3
	s_mov_b32 s25, s1
	s_mul_u64 s[26:27], s[0:1], 12
	s_add_nc_u64 s[24:25], s[16:17], s[24:25]
	s_delay_alu instid0(SALU_CYCLE_1)
	s_add_nc_u64 s[0:1], s[24:25], 0xc4
	s_add_nc_u64 s[24:25], s[16:17], s[26:27]
.LBB19_201:                             ; =>This Inner Loop Header: Depth=1
	s_load_b96 s[40:42], s[24:25], 0x4
	s_load_b64 s[26:27], s[0:1], 0x0
	s_add_co_i32 s2, s2, -1
	s_wait_xcnt 0x0
	s_add_nc_u64 s[24:25], s[24:25], 12
	s_cmp_lg_u32 s2, 0
	s_add_nc_u64 s[0:1], s[0:1], 8
	s_wait_kmcnt 0x0
	v_mul_hi_u32 v4, s41, v3
	s_delay_alu instid0(VALU_DEP_1) | instskip(NEXT) | instid1(VALU_DEP_1)
	v_add_nc_u32_e32 v4, v3, v4
	v_lshrrev_b32_e32 v4, s42, v4
	s_delay_alu instid0(VALU_DEP_1) | instskip(NEXT) | instid1(VALU_DEP_1)
	v_mul_lo_u32 v5, v4, s40
	v_sub_nc_u32_e32 v3, v3, v5
	s_delay_alu instid0(VALU_DEP_1)
	v_mad_u32 v1, v3, s27, v1
	v_mad_u32 v0, v3, s26, v0
	v_mov_b32_e32 v3, v4
	s_cbranch_scc1 .LBB19_201
.LBB19_202:
	s_cbranch_execnz .LBB19_205
.LBB19_203:
	v_mov_b32_e32 v3, 0
	s_and_not1_b32 vcc_lo, exec_lo, s33
	s_delay_alu instid0(VALU_DEP_1) | instskip(NEXT) | instid1(VALU_DEP_1)
	v_mul_u64_e32 v[0:1], s[18:19], v[2:3]
	v_add_nc_u32_e32 v0, v2, v1
	s_delay_alu instid0(VALU_DEP_1) | instskip(NEXT) | instid1(VALU_DEP_1)
	v_lshrrev_b32_e32 v4, s10, v0
	v_mul_lo_u32 v0, v4, s8
	s_delay_alu instid0(VALU_DEP_1) | instskip(NEXT) | instid1(VALU_DEP_1)
	v_sub_nc_u32_e32 v0, v2, v0
	v_mul_lo_u32 v1, v0, s13
	v_mul_lo_u32 v0, v0, s12
	s_cbranch_vccnz .LBB19_205
; %bb.204:
	v_mov_b32_e32 v5, v3
	s_delay_alu instid0(VALU_DEP_1) | instskip(NEXT) | instid1(VALU_DEP_1)
	v_mul_u64_e32 v[6:7], s[20:21], v[4:5]
	v_add_nc_u32_e32 v3, v4, v7
	s_delay_alu instid0(VALU_DEP_1) | instskip(NEXT) | instid1(VALU_DEP_1)
	v_lshrrev_b32_e32 v3, s3, v3
	v_mul_lo_u32 v3, v3, s11
	s_delay_alu instid0(VALU_DEP_1) | instskip(NEXT) | instid1(VALU_DEP_1)
	v_sub_nc_u32_e32 v3, v4, v3
	v_mad_u32 v0, v3, s14, v0
	v_mad_u32 v1, v3, s15, v1
.LBB19_205:
	global_load_b32 v1, v1, s[6:7]
                                        ; implicit-def: $vgpr3
	s_mov_b32 s0, exec_lo
	s_wait_loadcnt 0x0
	v_cmpx_ge_f32_e32 0x40a00000, v1
	s_xor_b32 s24, exec_lo, s0
	s_cbranch_execz .LBB19_211
; %bb.206:
	v_mov_b32_e32 v3, 0xff800000
	s_mov_b32 s25, exec_lo
	v_cmpx_neq_f32_e32 0, v1
	s_cbranch_execz .LBB19_210
; %bb.207:
	v_mov_b32_e32 v3, 0x7fc00000
	s_mov_b32 s26, exec_lo
	v_cmpx_nge_f32_e32 0, v1
	s_cbranch_execz .LBB19_209
; %bb.208:
	v_mul_f32_e32 v4, v1, v1
	v_mov_b64_e32 v[6:7], 0x4c8c277d4e9695f3
	v_mov_b64_e32 v[10:11], 0x508bc61dd316b96b
	v_mov_b64_e32 v[12:13], 0x5461faf856d04aa6
	v_div_scale_f32 v22, s2, -1.0, v1, -1.0
	v_dual_fmaak_f32 v3, 0, v4, 0x4414934d :: v_dual_mul_f32 v8, 0, v4
	v_fmaak_f32 v5, 0, v4, 0x441b3589
	v_mov_b64_e32 v[14:15], 0x548a37dcce5691e2
	v_mov_b64_e32 v[16:17], 0x5832585252d295d0
	s_delay_alu instid0(VALU_DEP_4) | instskip(SKIP_2) | instid1(VALU_DEP_3)
	v_fmaak_f32 v3, v4, v3, 0x48660b06
	v_cmp_gt_f32_e64 s0, 0x800000, v1
	v_fmaak_f32 v5, v4, v5, 0x487af6d0
	v_mul_f32_e32 v9, v4, v3
	s_delay_alu instid0(VALU_DEP_2) | instskip(NEXT) | instid1(VALU_DEP_2)
	v_fmaak_f32 v3, v4, v5, 0x4c9f4aa7
	v_pk_add_f32 v[6:7], v[8:9], v[6:7]
	s_delay_alu instid0(VALU_DEP_2) | instskip(NEXT) | instid1(VALU_DEP_2)
	v_fmaak_f32 v3, v4, v3, 0x50a509fc
	v_pk_fma_f32 v[6:7], v[4:5], v[6:7], v[10:11] op_sel_hi:[0,1,1]
	v_mov_b64_e32 v[10:11], 0x580d1937d9e700d2
	s_delay_alu instid0(VALU_DEP_3) | instskip(NEXT) | instid1(VALU_DEP_3)
	v_mul_f32_e32 v9, v4, v3
	v_pk_fma_f32 v[6:7], v[4:5], v[6:7], v[12:13] op_sel_hi:[0,1,1]
	v_mov_b64_e32 v[12:13], 0x5b741f1e5c33cd68
	s_delay_alu instid0(VALU_DEP_3) | instskip(SKIP_1) | instid1(VALU_DEP_4)
	v_pk_add_f32 v[8:9], v[8:9], v[14:15]
	v_mov_b64_e32 v[14:15], 0x5b9f0600d6845497
	v_pk_fma_f32 v[6:7], v[4:5], v[6:7], v[10:11] op_sel_hi:[0,1,1]
	v_mov_b64_e32 v[10:11], 0x5e5c878ddd2cf20b
	s_delay_alu instid0(VALU_DEP_4) | instskip(SKIP_1) | instid1(VALU_DEP_4)
	v_pk_fma_f32 v[8:9], v[4:5], v[8:9], v[16:17] op_sel_hi:[0,1,1]
	v_mov_b64_e32 v[16:17], 0x5e93bcac59515a15
	v_pk_fma_f32 v[6:7], v[4:5], v[6:7], v[12:13] op_sel_hi:[0,1,1]
	v_div_scale_f32 v13, null, v1, v1, -1.0
	s_delay_alu instid0(VALU_DEP_4) | instskip(NEXT) | instid1(VALU_DEP_3)
	v_pk_fma_f32 v[8:9], v[4:5], v[8:9], v[14:15] op_sel_hi:[0,1,1]
	v_pk_fma_f32 v[6:7], v[4:5], v[6:7], v[10:11] op_sel_hi:[0,1,1]
	v_cndmask_b32_e64 v10, 0, 32, s0
	s_delay_alu instid0(VALU_DEP_2) | instskip(NEXT) | instid1(VALU_DEP_2)
	v_div_scale_f32 v3, null, v7, v7, v6
	v_ldexp_f32 v10, v1, v10
	s_delay_alu instid0(VALU_DEP_2) | instskip(NEXT) | instid1(VALU_DEP_1)
	v_rcp_f32_e32 v11, v3
	v_log_f32_e32 v19, v10
	s_delay_alu instid0(TRANS32_DEP_2) | instskip(NEXT) | instid1(VALU_DEP_1)
	v_fma_f32 v14, -v3, v11, 1.0
	v_fmac_f32_e32 v11, v14, v11
	v_pk_fma_f32 v[8:9], v[4:5], v[8:9], v[16:17] op_sel_hi:[0,1,1]
	v_div_scale_f32 v16, vcc_lo, v6, v7, v6
	v_rcp_f32_e32 v14, v13
	s_delay_alu instid0(VALU_DEP_2) | instskip(SKIP_1) | instid1(VALU_DEP_2)
	v_div_scale_f32 v5, null, v9, v9, v8
	v_div_scale_f32 v17, s1, v8, v9, v8
	v_rcp_f32_e32 v12, v5
	s_delay_alu instid0(TRANS32_DEP_2) | instskip(NEXT) | instid1(VALU_DEP_1)
	v_fma_f32 v10, -v13, v14, 1.0
	v_fmac_f32_e32 v14, v10, v14
	s_delay_alu instid0(TRANS32_DEP_1) | instskip(NEXT) | instid1(VALU_DEP_1)
	v_fma_f32 v15, -v5, v12, 1.0
	v_dual_fmac_f32 v12, v15, v12 :: v_dual_mul_f32 v15, v16, v11
	s_delay_alu instid0(VALU_DEP_1) | instskip(NEXT) | instid1(VALU_DEP_1)
	v_dual_mul_f32 v18, v17, v12 :: v_dual_fma_f32 v20, -v3, v15, v16
	v_dual_fma_f32 v21, -v5, v18, v17 :: v_dual_fmac_f32 v15, v20, v11
	s_delay_alu instid0(VALU_DEP_1) | instskip(SKIP_1) | instid1(VALU_DEP_2)
	v_dual_fmac_f32 v18, v21, v12 :: v_dual_fma_f32 v3, -v3, v15, v16
	v_mul_f32_e32 v16, v22, v14
	v_fma_f32 v5, -v5, v18, v17
	s_delay_alu instid0(VALU_DEP_3) | instskip(SKIP_2) | instid1(VALU_DEP_3)
	v_div_fmas_f32 v3, v3, v11, v15
	s_mov_b32 vcc_lo, s1
	v_mov_b64_e32 v[10:11], 0xc16ae95ac244dfb3
	v_div_fmas_f32 v5, v5, v12, v18
	v_fma_f32 v12, -v13, v16, v22
	v_mul_f32_e32 v23, 0x3f317217, v19
	v_cmp_gt_f32_e64 vcc_lo, 0x7f800000, |v19|
	s_delay_alu instid0(VALU_DEP_4) | instskip(NEXT) | instid1(VALU_DEP_4)
	v_div_fixup_f32 v8, v5, v9, v8
	v_fmac_f32_e32 v16, v12, v14
	s_delay_alu instid0(VALU_DEP_4) | instskip(SKIP_3) | instid1(VALU_DEP_1)
	v_fma_f32 v20, 0x3f317217, v19, -v23
	v_pk_add_f32 v[4:5], v[4:5], v[10:11] op_sel_hi:[0,1]
	v_cndmask_b32_e64 v9, 0, 0x41b17218, s0
	v_mul_f32_e32 v8, v1, v8
	v_mul_f32_e32 v5, v5, v8
	s_delay_alu instid0(VALU_DEP_1) | instskip(NEXT) | instid1(VALU_DEP_1)
	v_dual_fmamk_f32 v15, v19, 0x3377d1cf, v20 :: v_dual_mul_f32 v4, v4, v5
	v_fmac_f32_e32 v15, 0x3f317217, v19
	s_delay_alu instid0(VALU_DEP_1) | instskip(SKIP_1) | instid1(VALU_DEP_1)
	v_dual_fma_f32 v10, -v13, v16, v22 :: v_dual_cndmask_b32 v11, v19, v15, vcc_lo
	s_mov_b32 vcc_lo, s2
	v_div_fmas_f32 v8, v10, v14, v16
	s_delay_alu instid0(VALU_DEP_2) | instskip(NEXT) | instid1(VALU_DEP_2)
	v_sub_f32_e32 v9, v11, v9
	v_div_fixup_f32 v5, v8, v1, -1.0
	s_delay_alu instid0(VALU_DEP_1) | instskip(SKIP_1) | instid1(VALU_DEP_2)
	v_fmac_f32_e32 v5, v9, v4
	v_div_fixup_f32 v4, v3, v7, v6
	v_mul_f32_e32 v3, 0x3f22f983, v5
	s_delay_alu instid0(VALU_DEP_1)
	v_fmac_f32_e32 v3, v1, v4
.LBB19_209:
	s_or_b32 exec_lo, exec_lo, s26
.LBB19_210:
	s_delay_alu instid0(SALU_CYCLE_1)
	s_or_b32 exec_lo, exec_lo, s25
                                        ; implicit-def: $vgpr1
.LBB19_211:
	s_and_not1_saveexec_b32 s24, s24
	s_cbranch_execz .LBB19_221
; %bb.212:
	v_add_f32_e32 v3, 0xc016cbe4, v1
                                        ; implicit-def: $vgpr6
                                        ; implicit-def: $vgpr5
	s_delay_alu instid0(VALU_DEP_1) | instskip(SKIP_2) | instid1(SALU_CYCLE_1)
	v_and_b32_e32 v4, 0x7fffffff, v3
	v_cmp_ngt_f32_e64 s2, 0x48000000, |v3|
	s_and_saveexec_b32 s0, s2
	s_xor_b32 s25, exec_lo, s0
	s_cbranch_execz .LBB19_214
; %bb.213:
	s_mov_b32 s0, 0x7fffff
	v_mov_b32_e32 v7, 0
	v_and_or_b32 v6, v4, s0, 0x800000
	s_mov_b64 s[0:1], 0xfe5163ab
	v_lshrrev_b32_e32 v5, 23, v4
	s_delay_alu instid0(VALU_DEP_2) | instskip(NEXT) | instid1(VALU_DEP_1)
	v_mul_u64_e32 v[8:9], s[0:1], v[6:7]
	v_dual_mov_b32 v10, v9 :: v_dual_mov_b32 v11, v7
	v_dual_mov_b32 v13, v7 :: v_dual_mov_b32 v15, v7
	;; [unrolled: 1-line block ×3, first 2 shown]
	s_delay_alu instid0(VALU_DEP_3) | instskip(NEXT) | instid1(VALU_DEP_1)
	v_mad_nc_u64_u32 v[10:11], 0x3c439041, v6, v[10:11]
	v_mov_b32_e32 v12, v11
	s_delay_alu instid0(VALU_DEP_1) | instskip(NEXT) | instid1(VALU_DEP_1)
	v_mad_nc_u64_u32 v[12:13], 0xdb629599, v6, v[12:13]
	v_mov_b32_e32 v14, v13
	s_delay_alu instid0(VALU_DEP_1) | instskip(NEXT) | instid1(VALU_DEP_1)
	;; [unrolled: 3-line block ×3, first 2 shown]
	v_mad_nc_u64_u32 v[16:17], 0xfc2757d1, v6, v[16:17]
	v_dual_mov_b32 v19, v7 :: v_dual_mov_b32 v18, v17
	s_delay_alu instid0(VALU_DEP_1) | instskip(NEXT) | instid1(VALU_DEP_1)
	v_mad_nc_u64_u32 v[18:19], 0x4e441529, v6, v[18:19]
	v_dual_mov_b32 v20, v19 :: v_dual_add_nc_u32 v5, 0xffffff88, v5
	s_delay_alu instid0(VALU_DEP_1) | instskip(NEXT) | instid1(VALU_DEP_2)
	v_cmp_lt_u32_e32 vcc_lo, 63, v5
	v_mad_nc_u64_u32 v[6:7], 0xa2f9836e, v6, v[20:21]
	v_cndmask_b32_e64 v9, 0, 0xffffffc0, vcc_lo
	v_dual_cndmask_b32 v11, v18, v14 :: v_dual_cndmask_b32 v8, v12, v8
	s_delay_alu instid0(VALU_DEP_2) | instskip(NEXT) | instid1(VALU_DEP_1)
	v_add_nc_u32_e32 v5, v9, v5
	v_cmp_lt_u32_e64 s0, 31, v5
	v_dual_cndmask_b32 v6, v6, v16 :: v_dual_cndmask_b32 v7, v7, v18
	s_delay_alu instid0(VALU_DEP_2) | instskip(NEXT) | instid1(VALU_DEP_1)
	v_cndmask_b32_e64 v9, 0, 0xffffffe0, s0
	v_add_nc_u32_e32 v5, v9, v5
	s_delay_alu instid0(VALU_DEP_1) | instskip(NEXT) | instid1(VALU_DEP_1)
	v_cmp_lt_u32_e64 s1, 31, v5
	v_cndmask_b32_e64 v9, 0, 0xffffffe0, s1
	s_delay_alu instid0(VALU_DEP_1) | instskip(SKIP_2) | instid1(VALU_DEP_3)
	v_dual_cndmask_b32 v13, v16, v12, vcc_lo :: v_dual_add_nc_u32 v5, v9, v5
	v_cndmask_b32_e32 v9, v14, v10, vcc_lo
	v_dual_cndmask_b32 v10, v6, v11, s0 :: v_dual_cndmask_b32 v6, v7, v6, s0
	v_cndmask_b32_e64 v7, v11, v13, s0
	s_delay_alu instid0(VALU_DEP_4) | instskip(NEXT) | instid1(VALU_DEP_4)
	v_sub_nc_u32_e32 v11, 32, v5
	v_cndmask_b32_e64 v13, v13, v9, s0
	v_cmp_eq_u32_e32 vcc_lo, 0, v5
	v_cndmask_b32_e64 v6, v6, v10, s1
	s_delay_alu instid0(VALU_DEP_3) | instskip(NEXT) | instid1(VALU_DEP_1)
	v_dual_cndmask_b32 v10, v10, v7, s1 :: v_dual_cndmask_b32 v7, v7, v13, s1
	v_alignbit_b32 v14, v6, v10, v11
	s_delay_alu instid0(VALU_DEP_2) | instskip(NEXT) | instid1(VALU_DEP_2)
	v_alignbit_b32 v12, v10, v7, v11
	v_dual_cndmask_b32 v5, v14, v6, vcc_lo :: v_dual_cndmask_b32 v6, v9, v8, s0
	s_delay_alu instid0(VALU_DEP_1) | instskip(NEXT) | instid1(VALU_DEP_1)
	v_bfe_u32 v9, v5, 29, 1
	v_dual_cndmask_b32 v8, v12, v10, vcc_lo :: v_dual_sub_nc_u32 v12, 0, v9
	s_delay_alu instid0(VALU_DEP_1) | instskip(NEXT) | instid1(VALU_DEP_1)
	v_alignbit_b32 v10, v5, v8, 30
	v_dual_cndmask_b32 v6, v13, v6, s1 :: v_dual_bitop2_b32 v10, v10, v12 bitop3:0x14
	s_delay_alu instid0(VALU_DEP_1) | instskip(NEXT) | instid1(VALU_DEP_1)
	v_alignbit_b32 v11, v7, v6, v11
	v_cndmask_b32_e32 v7, v11, v7, vcc_lo
	s_delay_alu instid0(VALU_DEP_3) | instskip(NEXT) | instid1(VALU_DEP_2)
	v_clz_i32_u32_e32 v11, v10
	v_alignbit_b32 v6, v7, v6, 30
	s_delay_alu instid0(VALU_DEP_2) | instskip(NEXT) | instid1(VALU_DEP_2)
	v_min_u32_e32 v11, 32, v11
	v_xor_b32_e32 v6, v6, v12
	v_alignbit_b32 v8, v8, v7, 30
	s_delay_alu instid0(VALU_DEP_1) | instskip(SKIP_1) | instid1(VALU_DEP_1)
	v_dual_lshlrev_b32 v13, 23, v11 :: v_dual_bitop2_b32 v7, v8, v12 bitop3:0x14
	v_dual_sub_nc_u32 v8, 31, v11 :: v_dual_lshrrev_b32 v12, 29, v5
	v_alignbit_b32 v10, v10, v7, v8
	v_alignbit_b32 v6, v7, v6, v8
	s_delay_alu instid0(VALU_DEP_3) | instskip(NEXT) | instid1(VALU_DEP_2)
	v_lshlrev_b32_e32 v7, 31, v12
	v_alignbit_b32 v8, v10, v6, 9
	s_delay_alu instid0(VALU_DEP_2) | instskip(NEXT) | instid1(VALU_DEP_2)
	v_dual_lshrrev_b32 v10, 9, v10 :: v_dual_bitop2_b32 v12, 0.5, v7 bitop3:0x54
	v_clz_i32_u32_e32 v14, v8
	s_delay_alu instid0(VALU_DEP_2) | instskip(SKIP_1) | instid1(VALU_DEP_3)
	v_sub_nc_u32_e32 v12, v12, v13
	v_or_b32_e32 v7, 0x33000000, v7
	v_min_u32_e32 v13, 32, v14
	s_delay_alu instid0(VALU_DEP_1) | instskip(NEXT) | instid1(VALU_DEP_4)
	v_add_lshl_u32 v11, v13, v11, 23
	v_or_b32_e32 v10, v10, v12
	v_not_b32_e32 v12, v13
	s_delay_alu instid0(VALU_DEP_2) | instskip(NEXT) | instid1(VALU_DEP_2)
	v_dual_mul_f32 v14, 0x3fc90fda, v10 :: v_dual_sub_nc_u32 v7, v7, v11
	v_alignbit_b32 v6, v8, v6, v12
	s_delay_alu instid0(VALU_DEP_2) | instskip(NEXT) | instid1(VALU_DEP_2)
	v_fma_f32 v8, 0x3fc90fda, v10, -v14
	v_lshrrev_b32_e32 v6, 9, v6
	s_delay_alu instid0(VALU_DEP_2) | instskip(NEXT) | instid1(VALU_DEP_2)
	v_fmamk_f32 v8, v10, 0x33a22168, v8
	v_or_b32_e32 v6, v7, v6
	s_delay_alu instid0(VALU_DEP_1) | instskip(NEXT) | instid1(VALU_DEP_1)
	v_fmac_f32_e32 v8, 0x3fc90fda, v6
	v_dual_add_f32 v5, v14, v8 :: v_dual_lshrrev_b32 v6, 30, v5
	s_delay_alu instid0(VALU_DEP_1)
	v_add_nc_u32_e32 v6, v9, v6
	s_and_not1_saveexec_b32 s0, s25
	s_branch .LBB19_215
.LBB19_214:
	s_and_not1_saveexec_b32 s0, s25
.LBB19_215:
	v_mul_f32_e64 v5, 0x3f22f983, |v3|
	s_delay_alu instid0(VALU_DEP_1) | instskip(NEXT) | instid1(VALU_DEP_1)
	v_rndne_f32_e32 v6, v5
	v_fma_f32 v5, 0xbfc90fda, v6, |v3|
	s_delay_alu instid0(VALU_DEP_1) | instskip(NEXT) | instid1(VALU_DEP_1)
	v_fmamk_f32 v5, v6, 0xb3a22168, v5
	v_fmamk_f32 v5, v6, 0xa7c234c4, v5
	v_cvt_i32_f32_e32 v6, v6
; %bb.216:
	s_or_b32 exec_lo, exec_lo, s0
                                        ; implicit-def: $vgpr8
                                        ; implicit-def: $vgpr7
	s_and_saveexec_b32 s0, s2
	s_delay_alu instid0(SALU_CYCLE_1)
	s_xor_b32 s2, exec_lo, s0
	s_cbranch_execz .LBB19_218
; %bb.217:
	s_mov_b32 s0, 0x7fffff
	v_mov_b32_e32 v9, 0
	v_and_or_b32 v8, v4, s0, 0x800000
	s_mov_b64 s[0:1], 0xfe5163ab
	v_lshrrev_b32_e32 v7, 23, v4
	s_delay_alu instid0(VALU_DEP_2) | instskip(NEXT) | instid1(VALU_DEP_1)
	v_mul_u64_e32 v[10:11], s[0:1], v[8:9]
	v_dual_mov_b32 v12, v11 :: v_dual_mov_b32 v13, v9
	v_dual_mov_b32 v15, v9 :: v_dual_mov_b32 v17, v9
	;; [unrolled: 1-line block ×3, first 2 shown]
	s_delay_alu instid0(VALU_DEP_3) | instskip(NEXT) | instid1(VALU_DEP_1)
	v_mad_nc_u64_u32 v[12:13], 0x3c439041, v8, v[12:13]
	v_mov_b32_e32 v14, v13
	s_delay_alu instid0(VALU_DEP_1) | instskip(NEXT) | instid1(VALU_DEP_1)
	v_mad_nc_u64_u32 v[14:15], 0xdb629599, v8, v[14:15]
	v_mov_b32_e32 v16, v15
	s_delay_alu instid0(VALU_DEP_1) | instskip(NEXT) | instid1(VALU_DEP_1)
	;; [unrolled: 3-line block ×3, first 2 shown]
	v_mad_nc_u64_u32 v[18:19], 0xfc2757d1, v8, v[18:19]
	v_dual_mov_b32 v21, v9 :: v_dual_mov_b32 v20, v19
	s_delay_alu instid0(VALU_DEP_1) | instskip(NEXT) | instid1(VALU_DEP_1)
	v_mad_nc_u64_u32 v[20:21], 0x4e441529, v8, v[20:21]
	v_dual_mov_b32 v22, v21 :: v_dual_add_nc_u32 v7, 0xffffff88, v7
	s_delay_alu instid0(VALU_DEP_1) | instskip(NEXT) | instid1(VALU_DEP_2)
	v_cmp_lt_u32_e32 vcc_lo, 63, v7
	v_mad_nc_u64_u32 v[8:9], 0xa2f9836e, v8, v[22:23]
	v_cndmask_b32_e64 v11, 0, 0xffffffc0, vcc_lo
	v_dual_cndmask_b32 v13, v20, v16 :: v_dual_cndmask_b32 v10, v14, v10
	s_delay_alu instid0(VALU_DEP_2) | instskip(NEXT) | instid1(VALU_DEP_1)
	v_add_nc_u32_e32 v7, v11, v7
	v_cmp_lt_u32_e64 s0, 31, v7
	v_dual_cndmask_b32 v8, v8, v18 :: v_dual_cndmask_b32 v9, v9, v20
	s_delay_alu instid0(VALU_DEP_2) | instskip(NEXT) | instid1(VALU_DEP_1)
	v_cndmask_b32_e64 v11, 0, 0xffffffe0, s0
	v_add_nc_u32_e32 v7, v11, v7
	s_delay_alu instid0(VALU_DEP_1) | instskip(NEXT) | instid1(VALU_DEP_1)
	v_cmp_lt_u32_e64 s1, 31, v7
	v_cndmask_b32_e64 v11, 0, 0xffffffe0, s1
	s_delay_alu instid0(VALU_DEP_1) | instskip(SKIP_2) | instid1(VALU_DEP_3)
	v_dual_cndmask_b32 v15, v18, v14, vcc_lo :: v_dual_add_nc_u32 v7, v11, v7
	v_cndmask_b32_e32 v11, v16, v12, vcc_lo
	v_dual_cndmask_b32 v12, v8, v13, s0 :: v_dual_cndmask_b32 v8, v9, v8, s0
	v_cndmask_b32_e64 v9, v13, v15, s0
	s_delay_alu instid0(VALU_DEP_4) | instskip(NEXT) | instid1(VALU_DEP_4)
	v_sub_nc_u32_e32 v13, 32, v7
	v_cndmask_b32_e64 v15, v15, v11, s0
	v_cmp_eq_u32_e32 vcc_lo, 0, v7
	v_cndmask_b32_e64 v8, v8, v12, s1
	s_delay_alu instid0(VALU_DEP_3) | instskip(NEXT) | instid1(VALU_DEP_1)
	v_dual_cndmask_b32 v12, v12, v9, s1 :: v_dual_cndmask_b32 v9, v9, v15, s1
	v_alignbit_b32 v16, v8, v12, v13
	s_delay_alu instid0(VALU_DEP_2) | instskip(NEXT) | instid1(VALU_DEP_2)
	v_alignbit_b32 v14, v12, v9, v13
	v_dual_cndmask_b32 v7, v16, v8, vcc_lo :: v_dual_cndmask_b32 v8, v11, v10, s0
	s_delay_alu instid0(VALU_DEP_1) | instskip(NEXT) | instid1(VALU_DEP_1)
	v_bfe_u32 v11, v7, 29, 1
	v_dual_cndmask_b32 v10, v14, v12, vcc_lo :: v_dual_sub_nc_u32 v14, 0, v11
	s_delay_alu instid0(VALU_DEP_1) | instskip(NEXT) | instid1(VALU_DEP_1)
	v_alignbit_b32 v12, v7, v10, 30
	v_dual_cndmask_b32 v8, v15, v8, s1 :: v_dual_bitop2_b32 v12, v12, v14 bitop3:0x14
	s_delay_alu instid0(VALU_DEP_1) | instskip(NEXT) | instid1(VALU_DEP_1)
	v_alignbit_b32 v13, v9, v8, v13
	v_cndmask_b32_e32 v9, v13, v9, vcc_lo
	s_delay_alu instid0(VALU_DEP_3) | instskip(NEXT) | instid1(VALU_DEP_2)
	v_clz_i32_u32_e32 v13, v12
	v_alignbit_b32 v8, v9, v8, 30
	s_delay_alu instid0(VALU_DEP_2) | instskip(NEXT) | instid1(VALU_DEP_2)
	v_min_u32_e32 v13, 32, v13
	v_xor_b32_e32 v8, v8, v14
	v_alignbit_b32 v10, v10, v9, 30
	s_delay_alu instid0(VALU_DEP_1) | instskip(SKIP_1) | instid1(VALU_DEP_1)
	v_dual_lshlrev_b32 v15, 23, v13 :: v_dual_bitop2_b32 v9, v10, v14 bitop3:0x14
	v_dual_sub_nc_u32 v10, 31, v13 :: v_dual_lshrrev_b32 v14, 29, v7
	v_alignbit_b32 v12, v12, v9, v10
	v_alignbit_b32 v8, v9, v8, v10
	s_delay_alu instid0(VALU_DEP_3) | instskip(NEXT) | instid1(VALU_DEP_2)
	v_lshlrev_b32_e32 v9, 31, v14
	v_alignbit_b32 v10, v12, v8, 9
	s_delay_alu instid0(VALU_DEP_2) | instskip(NEXT) | instid1(VALU_DEP_2)
	v_dual_lshrrev_b32 v12, 9, v12 :: v_dual_bitop2_b32 v14, 0.5, v9 bitop3:0x54
	v_clz_i32_u32_e32 v16, v10
	s_delay_alu instid0(VALU_DEP_2) | instskip(SKIP_1) | instid1(VALU_DEP_3)
	v_sub_nc_u32_e32 v14, v14, v15
	v_or_b32_e32 v9, 0x33000000, v9
	v_min_u32_e32 v15, 32, v16
	s_delay_alu instid0(VALU_DEP_1) | instskip(NEXT) | instid1(VALU_DEP_4)
	v_add_lshl_u32 v13, v15, v13, 23
	v_or_b32_e32 v12, v12, v14
	v_not_b32_e32 v14, v15
	s_delay_alu instid0(VALU_DEP_2) | instskip(NEXT) | instid1(VALU_DEP_2)
	v_dual_mul_f32 v16, 0x3fc90fda, v12 :: v_dual_sub_nc_u32 v9, v9, v13
	v_alignbit_b32 v8, v10, v8, v14
	s_delay_alu instid0(VALU_DEP_2) | instskip(NEXT) | instid1(VALU_DEP_2)
	v_fma_f32 v10, 0x3fc90fda, v12, -v16
	v_lshrrev_b32_e32 v8, 9, v8
	s_delay_alu instid0(VALU_DEP_2) | instskip(NEXT) | instid1(VALU_DEP_2)
	v_fmamk_f32 v10, v12, 0x33a22168, v10
	v_or_b32_e32 v8, v9, v8
	s_delay_alu instid0(VALU_DEP_1) | instskip(NEXT) | instid1(VALU_DEP_1)
	v_fmac_f32_e32 v10, 0x3fc90fda, v8
	v_dual_add_f32 v7, v16, v10 :: v_dual_lshrrev_b32 v8, 30, v7
	s_delay_alu instid0(VALU_DEP_1)
	v_add_nc_u32_e32 v8, v11, v8
	s_and_not1_saveexec_b32 s0, s2
	s_cbranch_execnz .LBB19_219
	s_branch .LBB19_220
.LBB19_218:
	s_and_not1_saveexec_b32 s0, s2
.LBB19_219:
	v_mul_f32_e64 v7, 0x3f22f983, |v3|
	s_delay_alu instid0(VALU_DEP_1) | instskip(NEXT) | instid1(VALU_DEP_1)
	v_rndne_f32_e32 v8, v7
	v_fma_f32 v7, 0xbfc90fda, v8, |v3|
	s_delay_alu instid0(VALU_DEP_1) | instskip(NEXT) | instid1(VALU_DEP_1)
	v_fmamk_f32 v7, v8, 0xb3a22168, v7
	v_fmamk_f32 v7, v8, 0xa7c234c4, v7
	v_cvt_i32_f32_e32 v8, v8
.LBB19_220:
	s_or_b32 exec_lo, exec_lo, s0
	v_div_scale_f32 v9, null, v1, v1, 0x40a00000
	v_div_scale_f32 v12, vcc_lo, 0x40a00000, v1, 0x40a00000
	s_mov_b32 s0, 0xb94c1982
	v_rcp_f32_e32 v10, v9
	s_mov_b32 s1, 0x37d75334
	v_xor_b32_e32 v4, v4, v3
	v_and_b32_e32 v14, 1, v8
	s_delay_alu instid0(TRANS32_DEP_1) | instskip(NEXT) | instid1(VALU_DEP_1)
	v_fma_f32 v11, -v9, v10, 1.0
	v_fmac_f32_e32 v10, v11, v10
	s_delay_alu instid0(VALU_DEP_1) | instskip(NEXT) | instid1(VALU_DEP_1)
	v_mul_f32_e32 v11, v12, v10
	v_fma_f32 v13, -v9, v11, v12
	s_delay_alu instid0(VALU_DEP_1) | instskip(NEXT) | instid1(VALU_DEP_1)
	v_dual_fmac_f32 v11, v13, v10 :: v_dual_mul_f32 v13, v7, v7
	v_fma_f32 v9, -v9, v11, v12
	s_delay_alu instid0(VALU_DEP_2) | instskip(SKIP_1) | instid1(VALU_DEP_3)
	v_fmaak_f32 v22, s0, v13, 0x3c0881c4
	v_fmaak_f32 v23, s1, v13, 0xbab64f3b
	v_div_fmas_f32 v9, v9, v10, v11
	v_dual_mul_f32 v10, v5, v5 :: v_dual_bitop2_b32 v11, 1, v6 bitop3:0x40
	s_delay_alu instid0(VALU_DEP_4) | instskip(NEXT) | instid1(VALU_DEP_4)
	v_fmaak_f32 v22, v13, v22, 0xbe2aaa9d
	v_fmaak_f32 v23, v13, v23, 0x3d2aabf7
	s_delay_alu instid0(VALU_DEP_4) | instskip(NEXT) | instid1(VALU_DEP_4)
	v_div_fixup_f32 v9, v9, v1, 0x40a00000
	v_fmaak_f32 v20, s0, v10, 0x3c0881c4
	v_cmp_gt_f32_e64 s0, 0xf800000, v1
	v_cmp_eq_u32_e64 s2, 0, v11
	v_fmaak_f32 v23, v13, v23, 0xbf000004
	v_dual_mul_f32 v12, v9, v9 :: v_dual_lshlrev_b32 v6, 30, v6
	v_fmaak_f32 v20, v10, v20, 0xbe2aaa9d
	v_dual_mul_f32 v19, 0x4f800000, v1 :: v_dual_mul_f32 v22, v13, v22
	s_delay_alu instid0(VALU_DEP_3) | instskip(SKIP_1) | instid1(VALU_DEP_3)
	v_fmaak_f32 v15, 0, v12, 0x3d513fd3
	v_fmaak_f32 v16, 0, v12, 0x3a15c4d9
	v_dual_mul_f32 v20, v10, v20 :: v_dual_cndmask_b32 v1, v1, v19, s0
	s_delay_alu instid0(VALU_DEP_3) | instskip(NEXT) | instid1(VALU_DEP_3)
	v_dual_fmaak_f32 v15, v12, v15, 0x409f6dae :: v_dual_lshlrev_b32 v8, 30, v8
	v_dual_fmaak_f32 v16, v12, v16, 0x3d8cfeeb :: v_dual_fmac_f32 v7, v7, v22
	s_delay_alu instid0(VALU_DEP_3) | instskip(SKIP_2) | instid1(VALU_DEP_3)
	v_sqrt_f32_e32 v26, v1
	v_fmaak_f32 v18, 0, v12, 0x3a47c962
	v_fmaak_f32 v17, 0, v12, 0x42947983
	v_fmaak_f32 v16, v12, v16, 0x3f8d754e
	v_fmac_f32_e32 v5, v5, v20
	v_fma_f32 v13, v13, v23, 1.0
	v_and_b32_e32 v6, 0x80000000, v6
	v_add_nc_u32_e32 v31, 1, v26
	v_fmaak_f32 v18, v12, v18, 0x3d95ca45
	v_fmaak_f32 v16, v12, v16, 0x40a25d18
	;; [unrolled: 1-line block ×3, first 2 shown]
	s_delay_alu instid0(VALU_DEP_3) | instskip(NEXT) | instid1(VALU_DEP_3)
	v_fmaak_f32 v18, v12, v18, 0x3f9047f6
	v_fmaak_f32 v16, v12, v16, 0x410665cf
	s_delay_alu instid0(VALU_DEP_3) | instskip(NEXT) | instid1(VALU_DEP_3)
	v_fmaak_f32 v17, v12, v17, 0x459bd349
	v_fmaak_f32 v18, v12, v18, 0x40a39628
	;; [unrolled: 3-line block ×3, first 2 shown]
	s_delay_alu instid0(VALU_DEP_3) | instskip(NEXT) | instid1(VALU_DEP_3)
	v_fmaak_f32 v18, v12, v18, 0x4106c8e4
	v_fma_f32 v16, v12, v16, 1.0
	s_delay_alu instid0(VALU_DEP_3) | instskip(NEXT) | instid1(VALU_DEP_3)
	v_fmaak_f32 v17, v12, v17, 0x45f9e855
	v_fmaak_f32 v18, v12, v18, 0x40a6dd51
	s_delay_alu instid0(VALU_DEP_2) | instskip(NEXT) | instid1(VALU_DEP_2)
	v_fmaak_f32 v17, v12, v17, 0x4530a316
	v_fma_f32 v18, v12, v18, 1.0
	s_delay_alu instid0(VALU_DEP_2) | instskip(NEXT) | instid1(VALU_DEP_2)
	v_fmaak_f32 v17, v12, v17, 0x43a80bfb
	v_div_scale_f32 v29, vcc_lo, v18, v16, v18
	v_fmaak_f32 v15, v12, v15, 0x4297a5cd
	s_delay_alu instid0(VALU_DEP_1) | instskip(NEXT) | instid1(VALU_DEP_1)
	v_fmaak_f32 v15, v12, v15, 0x43b763ca
	v_fmaak_f32 v15, v12, v15, 0x4431b6ce
	s_delay_alu instid0(VALU_DEP_1) | instskip(NEXT) | instid1(VALU_DEP_1)
	v_fmaak_f32 v15, v12, v15, 0x44155f56
	v_fmaak_f32 v15, v12, v15, 0x4353b052
	s_delay_alu instid0(VALU_DEP_1) | instskip(SKIP_1) | instid1(VALU_DEP_2)
	v_fmaak_f32 v12, v12, v15, 0x41c9a7fa
	v_div_scale_f32 v15, null, v16, v16, v18
	v_div_scale_f32 v19, null, v17, v17, v12
	s_delay_alu instid0(VALU_DEP_2) | instskip(NEXT) | instid1(VALU_DEP_1)
	v_rcp_f32_e32 v24, v15
	v_rcp_f32_e32 v25, v19
	s_delay_alu instid0(TRANS32_DEP_2) | instskip(NEXT) | instid1(TRANS32_DEP_1)
	v_fma_f32 v27, -v15, v24, 1.0
	v_fma_f32 v28, -v19, v25, 1.0
	s_delay_alu instid0(VALU_DEP_1) | instskip(NEXT) | instid1(VALU_DEP_1)
	v_dual_fmac_f32 v24, v27, v24 :: v_dual_fmac_f32 v25, v28, v25
	v_dual_add_nc_u32 v28, -1, v26 :: v_dual_mul_f32 v30, v29, v24
	s_delay_alu instid0(VALU_DEP_1) | instskip(SKIP_2) | instid1(VALU_DEP_4)
	v_fma_f32 v20, -v15, v30, v29
	v_fmaak_f32 v21, s1, v10, 0xbab64f3b
	v_div_scale_f32 v27, s1, v12, v17, v12
	v_fma_f32 v22, -v28, v26, v1
	s_delay_alu instid0(VALU_DEP_3) | instskip(NEXT) | instid1(VALU_DEP_3)
	v_dual_fmac_f32 v30, v20, v24 :: v_dual_fmaak_f32 v21, v10, v21, 0x3d2aabf7
	v_mul_f32_e32 v32, v27, v25
	s_delay_alu instid0(VALU_DEP_2) | instskip(NEXT) | instid1(VALU_DEP_1)
	v_fmaak_f32 v21, v10, v21, 0xbf000004
	v_fma_f32 v10, v10, v21, 1.0
	s_delay_alu instid0(VALU_DEP_3) | instskip(NEXT) | instid1(VALU_DEP_2)
	v_fma_f32 v21, -v19, v32, v27
	v_dual_fma_f32 v20, -v31, v26, v1 :: v_dual_cndmask_b32 v5, v10, v5, s2
	s_delay_alu instid0(VALU_DEP_2) | instskip(SKIP_1) | instid1(VALU_DEP_3)
	v_dual_fmac_f32 v32, v21, v25 :: v_dual_fma_f32 v10, -v15, v30, v29
	v_cmp_eq_u32_e64 s2, 0, v14
	v_xor3_b32 v4, v4, v6, v5
	s_delay_alu instid0(VALU_DEP_3) | instskip(NEXT) | instid1(VALU_DEP_4)
	v_fma_f32 v11, -v19, v32, v27
	v_div_fmas_f32 v10, v10, v24, v30
	s_mov_b32 vcc_lo, s1
	v_cndmask_b32_e64 v7, -v7, v13, s2
	v_cmp_lt_f32_e64 s1, 0, v20
	v_div_fmas_f32 v11, v11, v25, v32
	v_cmp_ge_f32_e32 vcc_lo, 0, v22
	s_delay_alu instid0(VALU_DEP_2)
	v_div_fixup_f32 v5, v11, v17, v12
	v_cndmask_b32_e32 v13, v26, v28, vcc_lo
	v_cmp_class_f32_e64 vcc_lo, v3, 0x1f8
	v_bitop3_b32 v3, v8, v7, 0x80000000 bitop3:0x6c
	v_div_fixup_f32 v8, v10, v16, v18
	v_mul_f32_e32 v5, v9, v5
	v_cndmask_b32_e64 v6, v13, v31, s1
	v_cndmask_b32_e32 v4, 0x7fc00000, v4, vcc_lo
	v_cndmask_b32_e32 v3, 0x7fc00000, v3, vcc_lo
	v_cmp_class_f32_e64 vcc_lo, v1, 0x260
	s_delay_alu instid0(VALU_DEP_4) | instskip(NEXT) | instid1(VALU_DEP_3)
	v_mul_f32_e32 v7, 0x37800000, v6
	v_mul_f32_e32 v3, v5, v3
	s_delay_alu instid0(VALU_DEP_1) | instskip(NEXT) | instid1(VALU_DEP_1)
	v_dual_cndmask_b32 v5, v6, v7, s0 :: v_dual_fmac_f32 v3, v8, v4
	v_cndmask_b32_e32 v1, v5, v1, vcc_lo
	s_delay_alu instid0(VALU_DEP_2) | instskip(NEXT) | instid1(VALU_DEP_1)
	v_mul_f32_e32 v3, 0x3f4c422a, v3
	v_div_scale_f32 v4, null, v1, v1, v3
	s_delay_alu instid0(VALU_DEP_1) | instskip(SKIP_1) | instid1(TRANS32_DEP_1)
	v_rcp_f32_e32 v5, v4
	v_nop
	v_fma_f32 v6, -v4, v5, 1.0
	s_delay_alu instid0(VALU_DEP_1) | instskip(SKIP_1) | instid1(VALU_DEP_1)
	v_fmac_f32_e32 v5, v6, v5
	v_div_scale_f32 v6, vcc_lo, v3, v1, v3
	v_mul_f32_e32 v7, v6, v5
	s_delay_alu instid0(VALU_DEP_1) | instskip(NEXT) | instid1(VALU_DEP_1)
	v_fma_f32 v8, -v4, v7, v6
	v_fmac_f32_e32 v7, v8, v5
	s_delay_alu instid0(VALU_DEP_1) | instskip(NEXT) | instid1(VALU_DEP_1)
	v_fma_f32 v4, -v4, v7, v6
	v_div_fmas_f32 v4, v4, v5, v7
	s_delay_alu instid0(VALU_DEP_1)
	v_div_fixup_f32 v3, v4, v1, v3
.LBB19_221:
	s_or_b32 exec_lo, exec_lo, s24
	v_add_nc_u32_e32 v2, 0x80, v2
	global_store_b32 v0, v3, s[4:5]
	s_wait_xcnt 0x0
	s_or_b32 exec_lo, exec_lo, s9
	s_delay_alu instid0(SALU_CYCLE_1)
	s_mov_b32 s9, exec_lo
	v_cmpx_gt_i32_e64 s34, v2
	s_cbranch_execz .LBB19_196
.LBB19_222:
	s_and_not1_b32 vcc_lo, exec_lo, s30
	s_cbranch_vccnz .LBB19_227
; %bb.223:
	s_and_not1_b32 vcc_lo, exec_lo, s36
	s_cbranch_vccnz .LBB19_228
; %bb.224:
	s_add_co_i32 s35, s35, 1
	s_cmp_eq_u32 s29, 2
	s_cbranch_scc1 .LBB19_229
; %bb.225:
	v_dual_mov_b32 v0, 0 :: v_dual_mov_b32 v1, 0
	v_mov_b32_e32 v3, v2
	s_and_b32 s0, s35, 28
	s_mov_b32 s1, 0
	s_mov_b64 s[24:25], s[16:17]
.LBB19_226:                             ; =>This Inner Loop Header: Depth=1
	s_clause 0x1
	s_load_b256 s[36:43], s[24:25], 0x4
	s_load_b128 s[52:55], s[24:25], 0x24
	s_load_b256 s[44:51], s[22:23], 0x0
	s_add_co_i32 s1, s1, 4
	s_wait_xcnt 0x0
	s_add_nc_u64 s[24:25], s[24:25], 48
	s_cmp_eq_u32 s0, s1
	s_add_nc_u64 s[22:23], s[22:23], 32
	s_wait_kmcnt 0x0
	v_mul_hi_u32 v4, s37, v3
	s_delay_alu instid0(VALU_DEP_1) | instskip(NEXT) | instid1(VALU_DEP_1)
	v_add_nc_u32_e32 v4, v3, v4
	v_lshrrev_b32_e32 v4, s38, v4
	s_delay_alu instid0(VALU_DEP_1) | instskip(NEXT) | instid1(VALU_DEP_1)
	v_mul_hi_u32 v5, s40, v4
	v_add_nc_u32_e32 v5, v4, v5
	s_delay_alu instid0(VALU_DEP_1) | instskip(NEXT) | instid1(VALU_DEP_1)
	v_lshrrev_b32_e32 v5, s41, v5
	v_mul_hi_u32 v6, s43, v5
	s_delay_alu instid0(VALU_DEP_1) | instskip(SKIP_1) | instid1(VALU_DEP_1)
	v_add_nc_u32_e32 v6, v5, v6
	v_mul_lo_u32 v7, v4, s36
	v_sub_nc_u32_e32 v3, v3, v7
	v_mul_lo_u32 v7, v5, s39
	s_delay_alu instid0(VALU_DEP_4) | instskip(NEXT) | instid1(VALU_DEP_3)
	v_lshrrev_b32_e32 v6, s52, v6
	v_mad_u32 v1, v3, s45, v1
	v_mad_u32 v0, v3, s44, v0
	s_delay_alu instid0(VALU_DEP_4) | instskip(NEXT) | instid1(VALU_DEP_4)
	v_sub_nc_u32_e32 v3, v4, v7
	v_mul_hi_u32 v8, s54, v6
	v_mul_lo_u32 v4, v6, s42
	s_delay_alu instid0(VALU_DEP_3) | instskip(SKIP_1) | instid1(VALU_DEP_4)
	v_mad_u32 v1, v3, s47, v1
	v_mad_u32 v0, v3, s46, v0
	v_add_nc_u32_e32 v7, v6, v8
	s_delay_alu instid0(VALU_DEP_1) | instskip(NEXT) | instid1(VALU_DEP_1)
	v_dual_sub_nc_u32 v4, v5, v4 :: v_dual_lshrrev_b32 v3, s55, v7
	v_mad_u32 v1, v4, s49, v1
	s_delay_alu instid0(VALU_DEP_4) | instskip(NEXT) | instid1(VALU_DEP_3)
	v_mad_u32 v0, v4, s48, v0
	v_mul_lo_u32 v5, v3, s53
	s_delay_alu instid0(VALU_DEP_1) | instskip(NEXT) | instid1(VALU_DEP_1)
	v_sub_nc_u32_e32 v4, v6, v5
	v_mad_u32 v1, v4, s51, v1
	s_delay_alu instid0(VALU_DEP_4)
	v_mad_u32 v0, v4, s50, v0
	s_cbranch_scc0 .LBB19_226
	s_branch .LBB19_230
.LBB19_227:
                                        ; implicit-def: $vgpr1
	s_branch .LBB19_234
.LBB19_228:
	v_dual_mov_b32 v1, 0 :: v_dual_mov_b32 v0, 0
	s_branch .LBB19_233
.LBB19_229:
	v_mov_b64_e32 v[0:1], 0
	v_mov_b32_e32 v3, v2
	s_mov_b32 s0, 0
.LBB19_230:
	s_and_b32 s2, s35, 3
	s_mov_b32 s1, 0
	s_cmp_eq_u32 s2, 0
	s_cbranch_scc1 .LBB19_233
; %bb.231:
	s_lshl_b32 s22, s0, 3
	s_mov_b32 s23, s1
	s_mul_u64 s[24:25], s[0:1], 12
	s_add_nc_u64 s[22:23], s[16:17], s[22:23]
	s_delay_alu instid0(SALU_CYCLE_1)
	s_add_nc_u64 s[0:1], s[22:23], 0xc4
	s_add_nc_u64 s[22:23], s[16:17], s[24:25]
.LBB19_232:                             ; =>This Inner Loop Header: Depth=1
	s_load_b96 s[24:26], s[22:23], 0x4
	s_add_co_i32 s2, s2, -1
	s_wait_xcnt 0x0
	s_add_nc_u64 s[22:23], s[22:23], 12
	s_cmp_lg_u32 s2, 0
	s_wait_kmcnt 0x0
	v_mul_hi_u32 v4, s25, v3
	s_delay_alu instid0(VALU_DEP_1) | instskip(NEXT) | instid1(VALU_DEP_1)
	v_add_nc_u32_e32 v4, v3, v4
	v_lshrrev_b32_e32 v4, s26, v4
	s_load_b64 s[26:27], s[0:1], 0x0
	s_wait_xcnt 0x0
	s_add_nc_u64 s[0:1], s[0:1], 8
	s_delay_alu instid0(VALU_DEP_1) | instskip(NEXT) | instid1(VALU_DEP_1)
	v_mul_lo_u32 v5, v4, s24
	v_sub_nc_u32_e32 v3, v3, v5
	s_wait_kmcnt 0x0
	s_delay_alu instid0(VALU_DEP_1)
	v_mad_u32 v1, v3, s27, v1
	v_mad_u32 v0, v3, s26, v0
	v_mov_b32_e32 v3, v4
	s_cbranch_scc1 .LBB19_232
.LBB19_233:
	s_cbranch_execnz .LBB19_236
.LBB19_234:
	v_mov_b32_e32 v3, 0
	s_and_not1_b32 vcc_lo, exec_lo, s33
	s_delay_alu instid0(VALU_DEP_1) | instskip(NEXT) | instid1(VALU_DEP_1)
	v_mul_u64_e32 v[0:1], s[18:19], v[2:3]
	v_add_nc_u32_e32 v0, v2, v1
	s_delay_alu instid0(VALU_DEP_1) | instskip(NEXT) | instid1(VALU_DEP_1)
	v_lshrrev_b32_e32 v4, s10, v0
	v_mul_lo_u32 v0, v4, s8
	s_delay_alu instid0(VALU_DEP_1) | instskip(NEXT) | instid1(VALU_DEP_1)
	v_sub_nc_u32_e32 v0, v2, v0
	v_mul_lo_u32 v1, v0, s13
	v_mul_lo_u32 v0, v0, s12
	s_cbranch_vccnz .LBB19_236
; %bb.235:
	v_mov_b32_e32 v5, v3
	s_delay_alu instid0(VALU_DEP_1) | instskip(NEXT) | instid1(VALU_DEP_1)
	v_mul_u64_e32 v[2:3], s[20:21], v[4:5]
	v_add_nc_u32_e32 v2, v4, v3
	s_delay_alu instid0(VALU_DEP_1) | instskip(NEXT) | instid1(VALU_DEP_1)
	v_lshrrev_b32_e32 v2, s3, v2
	v_mul_lo_u32 v2, v2, s11
	s_delay_alu instid0(VALU_DEP_1) | instskip(NEXT) | instid1(VALU_DEP_1)
	v_sub_nc_u32_e32 v2, v4, v2
	v_mad_u32 v0, v2, s14, v0
	v_mad_u32 v1, v2, s15, v1
.LBB19_236:
	global_load_b32 v1, v1, s[6:7]
                                        ; implicit-def: $vgpr2
	s_mov_b32 s0, exec_lo
	s_wait_loadcnt 0x0
	v_cmpx_ge_f32_e32 0x40a00000, v1
	s_xor_b32 s3, exec_lo, s0
	s_cbranch_execz .LBB19_242
; %bb.237:
	v_mov_b32_e32 v2, 0xff800000
	s_mov_b32 s6, exec_lo
	v_cmpx_neq_f32_e32 0, v1
	s_cbranch_execz .LBB19_241
; %bb.238:
	v_mov_b32_e32 v2, 0x7fc00000
	s_mov_b32 s7, exec_lo
	v_cmpx_nge_f32_e32 0, v1
	s_cbranch_execz .LBB19_240
; %bb.239:
	v_mul_f32_e32 v2, v1, v1
	v_mov_b64_e32 v[10:11], 0x5461faf856d04aa6
	v_mov_b64_e32 v[12:13], 0x548a37dcce5691e2
	;; [unrolled: 1-line block ×3, first 2 shown]
	v_cmp_gt_f32_e64 s0, 0x800000, v1
	v_dual_fmaak_f32 v3, 0, v2, 0x4414934d :: v_dual_mul_f32 v6, 0, v2
	v_div_scale_f32 v21, s2, -1.0, v1, -1.0
	s_delay_alu instid0(VALU_DEP_2) | instskip(NEXT) | instid1(VALU_DEP_1)
	v_fmaak_f32 v3, v2, v3, 0x48660b06
	v_dual_fmaak_f32 v4, 0, v2, 0x441b3589 :: v_dual_mul_f32 v7, v2, v3
	s_delay_alu instid0(VALU_DEP_1) | instskip(SKIP_1) | instid1(VALU_DEP_2)
	v_fmaak_f32 v8, v2, v4, 0x487af6d0
	v_mov_b64_e32 v[4:5], 0x4c8c277d4e9695f3
	v_fmaak_f32 v3, v2, v8, 0x4c9f4aa7
	v_mov_b64_e32 v[8:9], 0x508bc61dd316b96b
	s_delay_alu instid0(VALU_DEP_3) | instskip(NEXT) | instid1(VALU_DEP_3)
	v_pk_add_f32 v[4:5], v[6:7], v[4:5]
	v_fmaak_f32 v3, v2, v3, 0x50a509fc
	s_delay_alu instid0(VALU_DEP_1) | instskip(SKIP_2) | instid1(VALU_DEP_3)
	v_pk_fma_f32 v[4:5], v[2:3], v[4:5], v[8:9] op_sel_hi:[0,1,1]
	v_mov_b64_e32 v[8:9], 0x580d1937d9e700d2
	v_mul_f32_e32 v7, v2, v3
	v_pk_fma_f32 v[4:5], v[2:3], v[4:5], v[10:11] op_sel_hi:[0,1,1]
	v_mov_b64_e32 v[10:11], 0x5b741f1e5c33cd68
	s_delay_alu instid0(VALU_DEP_3) | instskip(SKIP_1) | instid1(VALU_DEP_4)
	v_pk_add_f32 v[6:7], v[6:7], v[12:13]
	v_mov_b64_e32 v[12:13], 0x5b9f0600d6845497
	v_pk_fma_f32 v[4:5], v[2:3], v[4:5], v[8:9] op_sel_hi:[0,1,1]
	v_mov_b64_e32 v[8:9], 0x5e5c878ddd2cf20b
	s_delay_alu instid0(VALU_DEP_4) | instskip(SKIP_1) | instid1(VALU_DEP_4)
	v_pk_fma_f32 v[6:7], v[2:3], v[6:7], v[14:15] op_sel_hi:[0,1,1]
	v_mov_b64_e32 v[14:15], 0x5e93bcac59515a15
	v_pk_fma_f32 v[4:5], v[2:3], v[4:5], v[10:11] op_sel_hi:[0,1,1]
	s_delay_alu instid0(VALU_DEP_3) | instskip(SKIP_1) | instid1(VALU_DEP_3)
	v_pk_fma_f32 v[6:7], v[2:3], v[6:7], v[12:13] op_sel_hi:[0,1,1]
	v_div_scale_f32 v12, null, v1, v1, -1.0
	v_pk_fma_f32 v[4:5], v[2:3], v[4:5], v[8:9] op_sel_hi:[0,1,1]
	v_cndmask_b32_e64 v9, 0, 32, s0
	s_delay_alu instid0(VALU_DEP_4) | instskip(NEXT) | instid1(VALU_DEP_3)
	v_pk_fma_f32 v[6:7], v[2:3], v[6:7], v[14:15] op_sel_hi:[0,1,1]
	v_div_scale_f32 v3, null, v5, v5, v4
	s_delay_alu instid0(VALU_DEP_2) | instskip(SKIP_1) | instid1(VALU_DEP_3)
	v_div_scale_f32 v8, null, v7, v7, v6
	v_div_scale_f32 v15, vcc_lo, v4, v5, v4
	v_rcp_f32_e32 v10, v3
	s_delay_alu instid0(VALU_DEP_2) | instskip(SKIP_2) | instid1(TRANS32_DEP_2)
	v_rcp_f32_e32 v11, v8
	v_div_scale_f32 v16, s1, v6, v7, v6
	v_ldexp_f32 v9, v1, v9
	v_fma_f32 v13, -v3, v10, 1.0
	s_delay_alu instid0(TRANS32_DEP_1) | instskip(NEXT) | instid1(VALU_DEP_3)
	v_fma_f32 v14, -v8, v11, 1.0
	v_log_f32_e32 v18, v9
	s_delay_alu instid0(VALU_DEP_1) | instskip(SKIP_1) | instid1(VALU_DEP_1)
	v_dual_fmac_f32 v10, v13, v10 :: v_dual_fmac_f32 v11, v14, v11
	v_rcp_f32_e32 v13, v12
	v_dual_mul_f32 v14, v15, v10 :: v_dual_mul_f32 v17, v16, v11
	s_delay_alu instid0(TRANS32_DEP_1) | instskip(NEXT) | instid1(VALU_DEP_2)
	v_fma_f32 v9, -v12, v13, 1.0
	v_fma_f32 v19, -v3, v14, v15
	s_delay_alu instid0(TRANS32_DEP_2) | instid1(VALU_DEP_2)
	v_dual_mul_f32 v22, 0x3f317217, v18 :: v_dual_fmac_f32 v13, v9, v13
	s_delay_alu instid0(VALU_DEP_2) | instskip(NEXT) | instid1(VALU_DEP_2)
	v_dual_fmac_f32 v14, v19, v10 :: v_dual_fma_f32 v20, -v8, v17, v16
	v_fma_f32 v19, 0x3f317217, v18, -v22
	s_delay_alu instid0(VALU_DEP_2) | instskip(NEXT) | instid1(VALU_DEP_4)
	v_dual_fma_f32 v3, -v3, v14, v15 :: v_dual_fmac_f32 v17, v20, v11
	v_mul_f32_e32 v15, v21, v13
	s_delay_alu instid0(VALU_DEP_2) | instskip(NEXT) | instid1(VALU_DEP_3)
	v_div_fmas_f32 v10, v3, v10, v14
	v_fma_f32 v8, -v8, v17, v16
	s_mov_b32 vcc_lo, s1
	s_delay_alu instid0(VALU_DEP_2) | instskip(NEXT) | instid1(VALU_DEP_2)
	v_div_fixup_f32 v4, v10, v5, v4
	v_div_fmas_f32 v3, v8, v11, v17
	v_mov_b64_e32 v[8:9], 0xc16ae95ac244dfb3
	v_fma_f32 v11, -v12, v15, v21
	v_cmp_gt_f32_e64 vcc_lo, 0x7f800000, |v18|
	s_delay_alu instid0(VALU_DEP_4) | instskip(SKIP_2) | instid1(VALU_DEP_3)
	v_div_fixup_f32 v6, v3, v7, v6
	v_cndmask_b32_e64 v7, 0, 0x41b17218, s0
	v_pk_add_f32 v[2:3], v[2:3], v[8:9] op_sel_hi:[0,1]
	v_mul_f32_e32 v6, v1, v6
	s_delay_alu instid0(VALU_DEP_1) | instskip(NEXT) | instid1(VALU_DEP_1)
	v_dual_fmamk_f32 v14, v18, 0x3377d1cf, v19 :: v_dual_mul_f32 v3, v3, v6
	v_dual_fmac_f32 v15, v11, v13 :: v_dual_fmac_f32 v14, 0x3f317217, v18
	s_delay_alu instid0(VALU_DEP_2) | instskip(NEXT) | instid1(VALU_DEP_2)
	v_mul_f32_e32 v2, v2, v3
	v_dual_fma_f32 v8, -v12, v15, v21 :: v_dual_cndmask_b32 v9, v18, v14, vcc_lo
	s_mov_b32 vcc_lo, s2
	s_delay_alu instid0(VALU_DEP_1) | instskip(NEXT) | instid1(VALU_DEP_2)
	v_div_fmas_f32 v6, v8, v13, v15
	v_sub_f32_e32 v7, v9, v7
	s_delay_alu instid0(VALU_DEP_2) | instskip(NEXT) | instid1(VALU_DEP_1)
	v_div_fixup_f32 v3, v6, v1, -1.0
	v_fmac_f32_e32 v3, v7, v2
	s_delay_alu instid0(VALU_DEP_1) | instskip(NEXT) | instid1(VALU_DEP_1)
	v_mul_f32_e32 v2, 0x3f22f983, v3
	v_fmac_f32_e32 v2, v1, v4
.LBB19_240:
	s_or_b32 exec_lo, exec_lo, s7
.LBB19_241:
	s_delay_alu instid0(SALU_CYCLE_1)
	s_or_b32 exec_lo, exec_lo, s6
                                        ; implicit-def: $vgpr1
.LBB19_242:
	s_and_not1_saveexec_b32 s3, s3
	s_cbranch_execz .LBB19_252
; %bb.243:
	v_add_f32_e32 v2, 0xc016cbe4, v1
                                        ; implicit-def: $vgpr5
                                        ; implicit-def: $vgpr4
	s_delay_alu instid0(VALU_DEP_1) | instskip(SKIP_2) | instid1(SALU_CYCLE_1)
	v_and_b32_e32 v3, 0x7fffffff, v2
	v_cmp_ngt_f32_e64 s2, 0x48000000, |v2|
	s_and_saveexec_b32 s0, s2
	s_xor_b32 s6, exec_lo, s0
	s_cbranch_execz .LBB19_245
; %bb.244:
	s_mov_b32 s0, 0x7fffff
	v_mov_b32_e32 v5, 0
	v_and_or_b32 v4, v3, s0, 0x800000
	s_mov_b64 s[0:1], 0xfe5163ab
	s_delay_alu instid0(VALU_DEP_1) | instid1(SALU_CYCLE_1)
	v_mul_u64_e32 v[6:7], s[0:1], v[4:5]
	s_delay_alu instid0(VALU_DEP_1) | instskip(SKIP_2) | instid1(VALU_DEP_3)
	v_dual_mov_b32 v8, v7 :: v_dual_mov_b32 v9, v5
	v_dual_mov_b32 v11, v5 :: v_dual_mov_b32 v13, v5
	v_dual_mov_b32 v15, v5 :: v_dual_lshrrev_b32 v7, 23, v3
	v_mad_nc_u64_u32 v[8:9], 0x3c439041, v4, v[8:9]
	s_delay_alu instid0(VALU_DEP_1) | instskip(NEXT) | instid1(VALU_DEP_1)
	v_mov_b32_e32 v10, v9
	v_mad_nc_u64_u32 v[10:11], 0xdb629599, v4, v[10:11]
	s_delay_alu instid0(VALU_DEP_1) | instskip(NEXT) | instid1(VALU_DEP_1)
	v_mov_b32_e32 v12, v11
	;; [unrolled: 3-line block ×3, first 2 shown]
	v_mad_nc_u64_u32 v[14:15], 0xfc2757d1, v4, v[14:15]
	s_delay_alu instid0(VALU_DEP_1) | instskip(NEXT) | instid1(VALU_DEP_1)
	v_dual_mov_b32 v17, v5 :: v_dual_mov_b32 v16, v15
	v_mad_nc_u64_u32 v[16:17], 0x4e441529, v4, v[16:17]
	s_delay_alu instid0(VALU_DEP_1) | instskip(NEXT) | instid1(VALU_DEP_1)
	v_dual_mov_b32 v18, v17 :: v_dual_add_nc_u32 v7, 0xffffff88, v7
	v_cmp_lt_u32_e32 vcc_lo, 63, v7
	v_mov_b32_e32 v19, v5
	v_cndmask_b32_e64 v9, 0, 0xffffffc0, vcc_lo
	s_delay_alu instid0(VALU_DEP_2) | instskip(SKIP_1) | instid1(VALU_DEP_3)
	v_mad_nc_u64_u32 v[4:5], 0xa2f9836e, v4, v[18:19]
	v_dual_cndmask_b32 v11, v16, v12, vcc_lo :: v_dual_cndmask_b32 v13, v14, v10, vcc_lo
	v_dual_cndmask_b32 v8, v12, v8 :: v_dual_add_nc_u32 v7, v9, v7
	v_cndmask_b32_e32 v6, v10, v6, vcc_lo
	s_delay_alu instid0(VALU_DEP_2) | instskip(SKIP_1) | instid1(VALU_DEP_2)
	v_cmp_lt_u32_e64 s0, 31, v7
	v_dual_cndmask_b32 v4, v4, v14 :: v_dual_cndmask_b32 v5, v5, v16
	v_cndmask_b32_e64 v9, 0, 0xffffffe0, s0
	s_delay_alu instid0(VALU_DEP_4) | instskip(NEXT) | instid1(VALU_DEP_2)
	v_dual_cndmask_b32 v12, v13, v8, s0 :: v_dual_cndmask_b32 v6, v8, v6, s0
	v_add_nc_u32_e32 v7, v9, v7
	s_delay_alu instid0(VALU_DEP_1) | instskip(NEXT) | instid1(VALU_DEP_1)
	v_cmp_lt_u32_e64 s1, 31, v7
	v_cndmask_b32_e64 v9, 0, 0xffffffe0, s1
	s_delay_alu instid0(VALU_DEP_1) | instskip(SKIP_1) | instid1(VALU_DEP_2)
	v_dual_cndmask_b32 v6, v12, v6, s1 :: v_dual_add_nc_u32 v7, v9, v7
	v_dual_cndmask_b32 v9, v4, v11, s0 :: v_dual_cndmask_b32 v4, v5, v4, s0
	v_dual_cndmask_b32 v5, v11, v13, s0 :: v_dual_sub_nc_u32 v11, 32, v7
	v_cmp_eq_u32_e32 vcc_lo, 0, v7
	s_delay_alu instid0(VALU_DEP_3) | instskip(NEXT) | instid1(VALU_DEP_3)
	v_cndmask_b32_e64 v4, v4, v9, s1
	v_cndmask_b32_e64 v9, v9, v5, s1
	v_cndmask_b32_e64 v5, v5, v12, s1
	s_delay_alu instid0(VALU_DEP_2) | instskip(NEXT) | instid1(VALU_DEP_2)
	v_alignbit_b32 v13, v4, v9, v11
	v_alignbit_b32 v10, v9, v5, v11
	;; [unrolled: 1-line block ×3, first 2 shown]
	s_delay_alu instid0(VALU_DEP_2) | instskip(NEXT) | instid1(VALU_DEP_2)
	v_dual_cndmask_b32 v4, v13, v4 :: v_dual_cndmask_b32 v7, v10, v9
	v_cndmask_b32_e32 v5, v11, v5, vcc_lo
	s_delay_alu instid0(VALU_DEP_2) | instskip(NEXT) | instid1(VALU_DEP_3)
	v_bfe_u32 v8, v4, 29, 1
	v_alignbit_b32 v9, v4, v7, 30
	s_delay_alu instid0(VALU_DEP_3) | instskip(SKIP_1) | instid1(VALU_DEP_4)
	v_alignbit_b32 v7, v7, v5, 30
	v_alignbit_b32 v5, v5, v6, 30
	v_sub_nc_u32_e32 v10, 0, v8
	s_delay_alu instid0(VALU_DEP_1) | instskip(NEXT) | instid1(VALU_DEP_4)
	v_xor_b32_e32 v9, v9, v10
	v_xor_b32_e32 v6, v7, v10
	s_delay_alu instid0(VALU_DEP_4) | instskip(NEXT) | instid1(VALU_DEP_3)
	v_dual_lshrrev_b32 v10, 29, v4 :: v_dual_bitop2_b32 v5, v5, v10 bitop3:0x14
	v_clz_i32_u32_e32 v11, v9
	s_delay_alu instid0(VALU_DEP_1) | instskip(NEXT) | instid1(VALU_DEP_1)
	v_min_u32_e32 v11, 32, v11
	v_dual_sub_nc_u32 v7, 31, v11 :: v_dual_lshlrev_b32 v12, 23, v11
	s_delay_alu instid0(VALU_DEP_1) | instskip(SKIP_2) | instid1(VALU_DEP_2)
	v_alignbit_b32 v9, v9, v6, v7
	v_alignbit_b32 v5, v6, v5, v7
	v_lshlrev_b32_e32 v6, 31, v10
	v_alignbit_b32 v7, v9, v5, 9
	s_delay_alu instid0(VALU_DEP_2) | instskip(SKIP_1) | instid1(VALU_DEP_3)
	v_dual_lshrrev_b32 v9, 9, v9 :: v_dual_bitop2_b32 v10, 0.5, v6 bitop3:0x54
	v_or_b32_e32 v6, 0x33000000, v6
	v_clz_i32_u32_e32 v13, v7
	s_delay_alu instid0(VALU_DEP_3) | instskip(NEXT) | instid1(VALU_DEP_2)
	v_sub_nc_u32_e32 v10, v10, v12
	v_min_u32_e32 v12, 32, v13
	s_delay_alu instid0(VALU_DEP_1) | instskip(NEXT) | instid1(VALU_DEP_3)
	v_add_lshl_u32 v11, v12, v11, 23
	v_or_b32_e32 v9, v9, v10
	v_not_b32_e32 v10, v12
	s_delay_alu instid0(VALU_DEP_2) | instskip(NEXT) | instid1(VALU_DEP_2)
	v_dual_mul_f32 v13, 0x3fc90fda, v9 :: v_dual_sub_nc_u32 v6, v6, v11
	v_alignbit_b32 v5, v7, v5, v10
	s_delay_alu instid0(VALU_DEP_2) | instskip(NEXT) | instid1(VALU_DEP_2)
	v_fma_f32 v7, 0x3fc90fda, v9, -v13
	v_lshrrev_b32_e32 v5, 9, v5
	s_delay_alu instid0(VALU_DEP_2) | instskip(NEXT) | instid1(VALU_DEP_2)
	v_fmamk_f32 v7, v9, 0x33a22168, v7
	v_or_b32_e32 v5, v6, v5
	s_delay_alu instid0(VALU_DEP_1) | instskip(NEXT) | instid1(VALU_DEP_1)
	v_fmac_f32_e32 v7, 0x3fc90fda, v5
	v_dual_add_f32 v4, v13, v7 :: v_dual_lshrrev_b32 v5, 30, v4
	s_delay_alu instid0(VALU_DEP_1)
	v_add_nc_u32_e32 v5, v8, v5
	s_and_not1_saveexec_b32 s0, s6
	s_branch .LBB19_246
.LBB19_245:
	s_and_not1_saveexec_b32 s0, s6
.LBB19_246:
	v_mul_f32_e64 v4, 0x3f22f983, |v2|
	s_delay_alu instid0(VALU_DEP_1) | instskip(NEXT) | instid1(VALU_DEP_1)
	v_rndne_f32_e32 v5, v4
	v_fma_f32 v4, 0xbfc90fda, v5, |v2|
	s_delay_alu instid0(VALU_DEP_1) | instskip(NEXT) | instid1(VALU_DEP_1)
	v_fmamk_f32 v4, v5, 0xb3a22168, v4
	v_fmamk_f32 v4, v5, 0xa7c234c4, v4
	v_cvt_i32_f32_e32 v5, v5
; %bb.247:
	s_or_b32 exec_lo, exec_lo, s0
                                        ; implicit-def: $vgpr7
                                        ; implicit-def: $vgpr6
	s_and_saveexec_b32 s0, s2
	s_delay_alu instid0(SALU_CYCLE_1)
	s_xor_b32 s2, exec_lo, s0
	s_cbranch_execz .LBB19_249
; %bb.248:
	s_mov_b32 s0, 0x7fffff
	v_mov_b32_e32 v7, 0
	v_and_or_b32 v6, v3, s0, 0x800000
	s_mov_b64 s[0:1], 0xfe5163ab
	s_delay_alu instid0(VALU_DEP_1) | instid1(SALU_CYCLE_1)
	v_mul_u64_e32 v[8:9], s[0:1], v[6:7]
	s_delay_alu instid0(VALU_DEP_1) | instskip(SKIP_2) | instid1(VALU_DEP_3)
	v_dual_mov_b32 v10, v9 :: v_dual_mov_b32 v11, v7
	v_dual_mov_b32 v13, v7 :: v_dual_mov_b32 v15, v7
	v_dual_mov_b32 v17, v7 :: v_dual_lshrrev_b32 v9, 23, v3
	v_mad_nc_u64_u32 v[10:11], 0x3c439041, v6, v[10:11]
	s_delay_alu instid0(VALU_DEP_1) | instskip(NEXT) | instid1(VALU_DEP_1)
	v_mov_b32_e32 v12, v11
	v_mad_nc_u64_u32 v[12:13], 0xdb629599, v6, v[12:13]
	s_delay_alu instid0(VALU_DEP_1) | instskip(NEXT) | instid1(VALU_DEP_1)
	v_mov_b32_e32 v14, v13
	;; [unrolled: 3-line block ×3, first 2 shown]
	v_mad_nc_u64_u32 v[16:17], 0xfc2757d1, v6, v[16:17]
	s_delay_alu instid0(VALU_DEP_1) | instskip(NEXT) | instid1(VALU_DEP_1)
	v_dual_mov_b32 v19, v7 :: v_dual_mov_b32 v18, v17
	v_mad_nc_u64_u32 v[18:19], 0x4e441529, v6, v[18:19]
	s_delay_alu instid0(VALU_DEP_1) | instskip(NEXT) | instid1(VALU_DEP_1)
	v_dual_mov_b32 v20, v19 :: v_dual_add_nc_u32 v9, 0xffffff88, v9
	v_cmp_lt_u32_e32 vcc_lo, 63, v9
	v_mov_b32_e32 v21, v7
	v_cndmask_b32_e64 v11, 0, 0xffffffc0, vcc_lo
	s_delay_alu instid0(VALU_DEP_2) | instskip(SKIP_1) | instid1(VALU_DEP_3)
	v_mad_nc_u64_u32 v[6:7], 0xa2f9836e, v6, v[20:21]
	v_dual_cndmask_b32 v13, v18, v14, vcc_lo :: v_dual_cndmask_b32 v15, v16, v12, vcc_lo
	v_dual_cndmask_b32 v10, v14, v10 :: v_dual_add_nc_u32 v9, v11, v9
	v_cndmask_b32_e32 v8, v12, v8, vcc_lo
	s_delay_alu instid0(VALU_DEP_2) | instskip(SKIP_1) | instid1(VALU_DEP_2)
	v_cmp_lt_u32_e64 s0, 31, v9
	v_dual_cndmask_b32 v6, v6, v16 :: v_dual_cndmask_b32 v7, v7, v18
	v_cndmask_b32_e64 v11, 0, 0xffffffe0, s0
	s_delay_alu instid0(VALU_DEP_4) | instskip(NEXT) | instid1(VALU_DEP_2)
	v_dual_cndmask_b32 v14, v15, v10, s0 :: v_dual_cndmask_b32 v8, v10, v8, s0
	v_add_nc_u32_e32 v9, v11, v9
	s_delay_alu instid0(VALU_DEP_1) | instskip(NEXT) | instid1(VALU_DEP_1)
	v_cmp_lt_u32_e64 s1, 31, v9
	v_cndmask_b32_e64 v11, 0, 0xffffffe0, s1
	s_delay_alu instid0(VALU_DEP_1) | instskip(SKIP_1) | instid1(VALU_DEP_2)
	v_dual_cndmask_b32 v8, v14, v8, s1 :: v_dual_add_nc_u32 v9, v11, v9
	v_dual_cndmask_b32 v11, v6, v13, s0 :: v_dual_cndmask_b32 v6, v7, v6, s0
	v_dual_cndmask_b32 v7, v13, v15, s0 :: v_dual_sub_nc_u32 v13, 32, v9
	v_cmp_eq_u32_e32 vcc_lo, 0, v9
	s_delay_alu instid0(VALU_DEP_3) | instskip(NEXT) | instid1(VALU_DEP_3)
	v_cndmask_b32_e64 v6, v6, v11, s1
	v_cndmask_b32_e64 v11, v11, v7, s1
	;; [unrolled: 1-line block ×3, first 2 shown]
	s_delay_alu instid0(VALU_DEP_2) | instskip(NEXT) | instid1(VALU_DEP_2)
	v_alignbit_b32 v15, v6, v11, v13
	v_alignbit_b32 v12, v11, v7, v13
	;; [unrolled: 1-line block ×3, first 2 shown]
	s_delay_alu instid0(VALU_DEP_2) | instskip(NEXT) | instid1(VALU_DEP_2)
	v_dual_cndmask_b32 v6, v15, v6 :: v_dual_cndmask_b32 v9, v12, v11
	v_cndmask_b32_e32 v7, v13, v7, vcc_lo
	s_delay_alu instid0(VALU_DEP_2) | instskip(NEXT) | instid1(VALU_DEP_3)
	v_bfe_u32 v10, v6, 29, 1
	v_alignbit_b32 v11, v6, v9, 30
	s_delay_alu instid0(VALU_DEP_3) | instskip(SKIP_1) | instid1(VALU_DEP_4)
	v_alignbit_b32 v9, v9, v7, 30
	v_alignbit_b32 v7, v7, v8, 30
	v_sub_nc_u32_e32 v12, 0, v10
	s_delay_alu instid0(VALU_DEP_1) | instskip(NEXT) | instid1(VALU_DEP_4)
	v_xor_b32_e32 v11, v11, v12
	v_xor_b32_e32 v8, v9, v12
	s_delay_alu instid0(VALU_DEP_4) | instskip(NEXT) | instid1(VALU_DEP_3)
	v_dual_lshrrev_b32 v12, 29, v6 :: v_dual_bitop2_b32 v7, v7, v12 bitop3:0x14
	v_clz_i32_u32_e32 v13, v11
	s_delay_alu instid0(VALU_DEP_1) | instskip(NEXT) | instid1(VALU_DEP_1)
	v_min_u32_e32 v13, 32, v13
	v_dual_sub_nc_u32 v9, 31, v13 :: v_dual_lshlrev_b32 v14, 23, v13
	s_delay_alu instid0(VALU_DEP_1) | instskip(SKIP_2) | instid1(VALU_DEP_2)
	v_alignbit_b32 v11, v11, v8, v9
	v_alignbit_b32 v7, v8, v7, v9
	v_lshlrev_b32_e32 v8, 31, v12
	v_alignbit_b32 v9, v11, v7, 9
	s_delay_alu instid0(VALU_DEP_2) | instskip(SKIP_1) | instid1(VALU_DEP_3)
	v_dual_lshrrev_b32 v11, 9, v11 :: v_dual_bitop2_b32 v12, 0.5, v8 bitop3:0x54
	v_or_b32_e32 v8, 0x33000000, v8
	v_clz_i32_u32_e32 v15, v9
	s_delay_alu instid0(VALU_DEP_3) | instskip(NEXT) | instid1(VALU_DEP_2)
	v_sub_nc_u32_e32 v12, v12, v14
	v_min_u32_e32 v14, 32, v15
	s_delay_alu instid0(VALU_DEP_1) | instskip(NEXT) | instid1(VALU_DEP_3)
	v_add_lshl_u32 v13, v14, v13, 23
	v_or_b32_e32 v11, v11, v12
	v_not_b32_e32 v12, v14
	s_delay_alu instid0(VALU_DEP_2) | instskip(NEXT) | instid1(VALU_DEP_2)
	v_dual_mul_f32 v15, 0x3fc90fda, v11 :: v_dual_sub_nc_u32 v8, v8, v13
	v_alignbit_b32 v7, v9, v7, v12
	s_delay_alu instid0(VALU_DEP_2) | instskip(NEXT) | instid1(VALU_DEP_2)
	v_fma_f32 v9, 0x3fc90fda, v11, -v15
	v_lshrrev_b32_e32 v7, 9, v7
	s_delay_alu instid0(VALU_DEP_2) | instskip(NEXT) | instid1(VALU_DEP_2)
	v_fmamk_f32 v9, v11, 0x33a22168, v9
	v_or_b32_e32 v7, v8, v7
	s_delay_alu instid0(VALU_DEP_1) | instskip(NEXT) | instid1(VALU_DEP_1)
	v_fmac_f32_e32 v9, 0x3fc90fda, v7
	v_dual_add_f32 v6, v15, v9 :: v_dual_lshrrev_b32 v7, 30, v6
	s_delay_alu instid0(VALU_DEP_1)
	v_add_nc_u32_e32 v7, v10, v7
	s_and_not1_saveexec_b32 s0, s2
	s_cbranch_execnz .LBB19_250
	s_branch .LBB19_251
.LBB19_249:
	s_and_not1_saveexec_b32 s0, s2
.LBB19_250:
	v_mul_f32_e64 v6, 0x3f22f983, |v2|
	s_delay_alu instid0(VALU_DEP_1) | instskip(NEXT) | instid1(VALU_DEP_1)
	v_rndne_f32_e32 v7, v6
	v_fma_f32 v6, 0xbfc90fda, v7, |v2|
	s_delay_alu instid0(VALU_DEP_1) | instskip(NEXT) | instid1(VALU_DEP_1)
	v_fmamk_f32 v6, v7, 0xb3a22168, v6
	v_fmamk_f32 v6, v7, 0xa7c234c4, v6
	v_cvt_i32_f32_e32 v7, v7
.LBB19_251:
	s_or_b32 exec_lo, exec_lo, s0
	v_div_scale_f32 v8, null, v1, v1, 0x40a00000
	v_div_scale_f32 v11, vcc_lo, 0x40a00000, v1, 0x40a00000
	s_mov_b32 s0, 0xb94c1982
	v_rcp_f32_e32 v9, v8
	s_mov_b32 s1, 0x37d75334
	v_xor_b32_e32 v3, v3, v2
	v_and_b32_e32 v13, 1, v7
	s_delay_alu instid0(TRANS32_DEP_1) | instskip(NEXT) | instid1(VALU_DEP_1)
	v_fma_f32 v10, -v8, v9, 1.0
	v_fmac_f32_e32 v9, v10, v9
	s_delay_alu instid0(VALU_DEP_1) | instskip(NEXT) | instid1(VALU_DEP_1)
	v_mul_f32_e32 v10, v11, v9
	v_fma_f32 v12, -v8, v10, v11
	s_delay_alu instid0(VALU_DEP_1) | instskip(NEXT) | instid1(VALU_DEP_1)
	v_dual_fmac_f32 v10, v12, v9 :: v_dual_mul_f32 v12, v6, v6
	v_fma_f32 v8, -v8, v10, v11
	s_delay_alu instid0(VALU_DEP_2) | instskip(SKIP_1) | instid1(VALU_DEP_3)
	v_fmaak_f32 v21, s0, v12, 0x3c0881c4
	v_fmaak_f32 v22, s1, v12, 0xbab64f3b
	v_div_fmas_f32 v8, v8, v9, v10
	v_dual_mul_f32 v9, v4, v4 :: v_dual_bitop2_b32 v10, 1, v5 bitop3:0x40
	s_delay_alu instid0(VALU_DEP_4) | instskip(NEXT) | instid1(VALU_DEP_4)
	v_fmaak_f32 v21, v12, v21, 0xbe2aaa9d
	v_fmaak_f32 v22, v12, v22, 0x3d2aabf7
	s_delay_alu instid0(VALU_DEP_4) | instskip(NEXT) | instid1(VALU_DEP_4)
	v_div_fixup_f32 v8, v8, v1, 0x40a00000
	v_fmaak_f32 v19, s0, v9, 0x3c0881c4
	v_cmp_gt_f32_e64 s0, 0xf800000, v1
	v_cmp_eq_u32_e64 s2, 0, v10
	v_fmaak_f32 v22, v12, v22, 0xbf000004
	v_dual_mul_f32 v11, v8, v8 :: v_dual_lshlrev_b32 v5, 30, v5
	v_fmaak_f32 v19, v9, v19, 0xbe2aaa9d
	v_mul_f32_e32 v18, 0x4f800000, v1
	s_delay_alu instid0(VALU_DEP_3) | instskip(SKIP_1) | instid1(VALU_DEP_4)
	v_dual_mul_f32 v21, v12, v21 :: v_dual_fmaak_f32 v14, 0, v11, 0x3d513fd3
	v_fmaak_f32 v15, 0, v11, 0x3a15c4d9
	v_mul_f32_e32 v19, v9, v19
	s_delay_alu instid0(VALU_DEP_4) | instskip(NEXT) | instid1(VALU_DEP_4)
	v_dual_cndmask_b32 v1, v1, v18, s0 :: v_dual_lshlrev_b32 v7, 30, v7
	v_fmaak_f32 v14, v11, v14, 0x409f6dae
	s_delay_alu instid0(VALU_DEP_4) | instskip(NEXT) | instid1(VALU_DEP_3)
	v_dual_fmaak_f32 v15, v11, v15, 0x3d8cfeeb :: v_dual_fmac_f32 v6, v6, v21
	v_sqrt_f32_e32 v25, v1
	v_fmaak_f32 v17, 0, v11, 0x3a47c962
	v_fmaak_f32 v16, 0, v11, 0x42947983
	s_delay_alu instid0(VALU_DEP_3)
	v_fmaak_f32 v15, v11, v15, 0x3f8d754e
	v_fmac_f32_e32 v4, v4, v19
	v_fma_f32 v12, v12, v22, 1.0
	v_and_b32_e32 v5, 0x80000000, v5
	v_add_nc_u32_e32 v30, 1, v25
	v_fmaak_f32 v17, v11, v17, 0x3d95ca45
	v_fmaak_f32 v15, v11, v15, 0x40a25d18
	;; [unrolled: 1-line block ×3, first 2 shown]
	s_delay_alu instid0(VALU_DEP_3) | instskip(NEXT) | instid1(VALU_DEP_3)
	v_fmaak_f32 v17, v11, v17, 0x3f9047f6
	v_fmaak_f32 v15, v11, v15, 0x410665cf
	s_delay_alu instid0(VALU_DEP_3) | instskip(NEXT) | instid1(VALU_DEP_3)
	v_fmaak_f32 v16, v11, v16, 0x459bd349
	v_fmaak_f32 v17, v11, v17, 0x40a39628
	;; [unrolled: 3-line block ×3, first 2 shown]
	s_delay_alu instid0(VALU_DEP_3) | instskip(NEXT) | instid1(VALU_DEP_3)
	v_fmaak_f32 v17, v11, v17, 0x4106c8e4
	v_fma_f32 v15, v11, v15, 1.0
	s_delay_alu instid0(VALU_DEP_3) | instskip(NEXT) | instid1(VALU_DEP_3)
	v_fmaak_f32 v16, v11, v16, 0x45f9e855
	v_fmaak_f32 v17, v11, v17, 0x40a6dd51
	s_delay_alu instid0(VALU_DEP_2) | instskip(NEXT) | instid1(VALU_DEP_2)
	v_fmaak_f32 v16, v11, v16, 0x4530a316
	v_fma_f32 v17, v11, v17, 1.0
	s_delay_alu instid0(VALU_DEP_2) | instskip(NEXT) | instid1(VALU_DEP_2)
	v_fmaak_f32 v16, v11, v16, 0x43a80bfb
	v_div_scale_f32 v28, vcc_lo, v17, v15, v17
	v_fmaak_f32 v14, v11, v14, 0x4297a5cd
	s_delay_alu instid0(VALU_DEP_1) | instskip(NEXT) | instid1(VALU_DEP_1)
	v_fmaak_f32 v14, v11, v14, 0x43b763ca
	v_fmaak_f32 v14, v11, v14, 0x4431b6ce
	s_delay_alu instid0(VALU_DEP_1) | instskip(NEXT) | instid1(VALU_DEP_1)
	v_fmaak_f32 v14, v11, v14, 0x44155f56
	v_fmaak_f32 v14, v11, v14, 0x4353b052
	s_delay_alu instid0(VALU_DEP_1) | instskip(SKIP_1) | instid1(VALU_DEP_2)
	v_fmaak_f32 v11, v11, v14, 0x41c9a7fa
	v_div_scale_f32 v14, null, v15, v15, v17
	v_div_scale_f32 v18, null, v16, v16, v11
	s_delay_alu instid0(VALU_DEP_2) | instskip(NEXT) | instid1(VALU_DEP_1)
	v_rcp_f32_e32 v23, v14
	v_rcp_f32_e32 v24, v18
	s_delay_alu instid0(TRANS32_DEP_2) | instskip(NEXT) | instid1(TRANS32_DEP_1)
	v_fma_f32 v26, -v14, v23, 1.0
	v_fma_f32 v27, -v18, v24, 1.0
	s_delay_alu instid0(VALU_DEP_1) | instskip(NEXT) | instid1(VALU_DEP_1)
	v_dual_fmac_f32 v23, v26, v23 :: v_dual_fmac_f32 v24, v27, v24
	v_dual_add_nc_u32 v27, -1, v25 :: v_dual_mul_f32 v29, v28, v23
	s_delay_alu instid0(VALU_DEP_1) | instskip(SKIP_2) | instid1(VALU_DEP_4)
	v_fma_f32 v19, -v14, v29, v28
	v_fmaak_f32 v20, s1, v9, 0xbab64f3b
	v_div_scale_f32 v26, s1, v11, v16, v11
	v_fma_f32 v21, -v27, v25, v1
	s_delay_alu instid0(VALU_DEP_3) | instskip(NEXT) | instid1(VALU_DEP_3)
	v_dual_fmac_f32 v29, v19, v23 :: v_dual_fmaak_f32 v20, v9, v20, 0x3d2aabf7
	v_mul_f32_e32 v31, v26, v24
	s_delay_alu instid0(VALU_DEP_2) | instskip(NEXT) | instid1(VALU_DEP_1)
	v_fmaak_f32 v20, v9, v20, 0xbf000004
	v_fma_f32 v9, v9, v20, 1.0
	s_delay_alu instid0(VALU_DEP_3) | instskip(NEXT) | instid1(VALU_DEP_2)
	v_fma_f32 v20, -v18, v31, v26
	v_dual_fma_f32 v19, -v30, v25, v1 :: v_dual_cndmask_b32 v4, v9, v4, s2
	s_delay_alu instid0(VALU_DEP_2) | instskip(SKIP_1) | instid1(VALU_DEP_3)
	v_dual_fmac_f32 v31, v20, v24 :: v_dual_fma_f32 v9, -v14, v29, v28
	v_cmp_eq_u32_e64 s2, 0, v13
	v_xor3_b32 v3, v3, v5, v4
	s_delay_alu instid0(VALU_DEP_3) | instskip(NEXT) | instid1(VALU_DEP_4)
	v_fma_f32 v10, -v18, v31, v26
	v_div_fmas_f32 v9, v9, v23, v29
	s_mov_b32 vcc_lo, s1
	v_cndmask_b32_e64 v6, -v6, v12, s2
	v_cmp_lt_f32_e64 s1, 0, v19
	v_div_fmas_f32 v10, v10, v24, v31
	v_cmp_ge_f32_e32 vcc_lo, 0, v21
	s_delay_alu instid0(VALU_DEP_2)
	v_div_fixup_f32 v4, v10, v16, v11
	v_cndmask_b32_e32 v12, v25, v27, vcc_lo
	v_cmp_class_f32_e64 vcc_lo, v2, 0x1f8
	v_bitop3_b32 v2, v7, v6, 0x80000000 bitop3:0x6c
	v_div_fixup_f32 v7, v9, v15, v17
	v_mul_f32_e32 v4, v8, v4
	v_cndmask_b32_e64 v5, v12, v30, s1
	v_cndmask_b32_e32 v3, 0x7fc00000, v3, vcc_lo
	v_cndmask_b32_e32 v2, 0x7fc00000, v2, vcc_lo
	v_cmp_class_f32_e64 vcc_lo, v1, 0x260
	s_delay_alu instid0(VALU_DEP_4) | instskip(NEXT) | instid1(VALU_DEP_3)
	v_mul_f32_e32 v6, 0x37800000, v5
	v_mul_f32_e32 v2, v4, v2
	s_delay_alu instid0(VALU_DEP_1) | instskip(NEXT) | instid1(VALU_DEP_1)
	v_dual_cndmask_b32 v4, v5, v6, s0 :: v_dual_fmac_f32 v2, v7, v3
	v_dual_cndmask_b32 v1, v4, v1 :: v_dual_mul_f32 v2, 0x3f4c422a, v2
	s_delay_alu instid0(VALU_DEP_1) | instskip(NEXT) | instid1(VALU_DEP_1)
	v_div_scale_f32 v3, null, v1, v1, v2
	v_rcp_f32_e32 v4, v3
	v_nop
	s_delay_alu instid0(TRANS32_DEP_1) | instskip(NEXT) | instid1(VALU_DEP_1)
	v_fma_f32 v5, -v3, v4, 1.0
	v_fmac_f32_e32 v4, v5, v4
	v_div_scale_f32 v5, vcc_lo, v2, v1, v2
	s_delay_alu instid0(VALU_DEP_1) | instskip(NEXT) | instid1(VALU_DEP_1)
	v_mul_f32_e32 v6, v5, v4
	v_fma_f32 v7, -v3, v6, v5
	s_delay_alu instid0(VALU_DEP_1) | instskip(NEXT) | instid1(VALU_DEP_1)
	v_fmac_f32_e32 v6, v7, v4
	v_fma_f32 v3, -v3, v6, v5
	s_delay_alu instid0(VALU_DEP_1) | instskip(NEXT) | instid1(VALU_DEP_1)
	v_div_fmas_f32 v3, v3, v4, v6
	v_div_fixup_f32 v2, v3, v1, v2
.LBB19_252:
	s_or_b32 exec_lo, exec_lo, s3
	global_store_b32 v0, v2, s[4:5]
	s_wait_xcnt 0x0
	s_or_b32 exec_lo, exec_lo, s9
                                        ; implicit-def: $vgpr8
                                        ; implicit-def: $vgpr2
	s_and_not1_saveexec_b32 s0, s31
	s_cbranch_execz .LBB19_197
	s_branch .LBB19_8
	.section	.rodata,"a",@progbits
	.p2align	6, 0x0
	.amdhsa_kernel _ZN2at6native32elementwise_kernel_manual_unrollILi128ELi4EZNS0_22gpu_kernel_impl_nocastIZZZNS0_12_GLOBAL__N_121bessel_y1_kernel_cudaERNS_18TensorIteratorBaseEENKUlvE_clEvENKUlvE0_clEvEUlfE_EEvS5_RKT_EUlibE_EEviT1_
		.amdhsa_group_segment_fixed_size 0
		.amdhsa_private_segment_fixed_size 0
		.amdhsa_kernarg_size 360
		.amdhsa_user_sgpr_count 2
		.amdhsa_user_sgpr_dispatch_ptr 0
		.amdhsa_user_sgpr_queue_ptr 0
		.amdhsa_user_sgpr_kernarg_segment_ptr 1
		.amdhsa_user_sgpr_dispatch_id 0
		.amdhsa_user_sgpr_kernarg_preload_length 0
		.amdhsa_user_sgpr_kernarg_preload_offset 0
		.amdhsa_user_sgpr_private_segment_size 0
		.amdhsa_wavefront_size32 1
		.amdhsa_uses_dynamic_stack 0
		.amdhsa_enable_private_segment 0
		.amdhsa_system_sgpr_workgroup_id_x 1
		.amdhsa_system_sgpr_workgroup_id_y 0
		.amdhsa_system_sgpr_workgroup_id_z 0
		.amdhsa_system_sgpr_workgroup_info 0
		.amdhsa_system_vgpr_workitem_id 0
		.amdhsa_next_free_vgpr 38
		.amdhsa_next_free_sgpr 60
		.amdhsa_named_barrier_count 0
		.amdhsa_reserve_vcc 1
		.amdhsa_float_round_mode_32 0
		.amdhsa_float_round_mode_16_64 0
		.amdhsa_float_denorm_mode_32 3
		.amdhsa_float_denorm_mode_16_64 3
		.amdhsa_fp16_overflow 0
		.amdhsa_memory_ordered 1
		.amdhsa_forward_progress 1
		.amdhsa_inst_pref_size 255
		.amdhsa_round_robin_scheduling 0
		.amdhsa_exception_fp_ieee_invalid_op 0
		.amdhsa_exception_fp_denorm_src 0
		.amdhsa_exception_fp_ieee_div_zero 0
		.amdhsa_exception_fp_ieee_overflow 0
		.amdhsa_exception_fp_ieee_underflow 0
		.amdhsa_exception_fp_ieee_inexact 0
		.amdhsa_exception_int_div_zero 0
	.end_amdhsa_kernel
	.section	.text._ZN2at6native32elementwise_kernel_manual_unrollILi128ELi4EZNS0_22gpu_kernel_impl_nocastIZZZNS0_12_GLOBAL__N_121bessel_y1_kernel_cudaERNS_18TensorIteratorBaseEENKUlvE_clEvENKUlvE0_clEvEUlfE_EEvS5_RKT_EUlibE_EEviT1_,"axG",@progbits,_ZN2at6native32elementwise_kernel_manual_unrollILi128ELi4EZNS0_22gpu_kernel_impl_nocastIZZZNS0_12_GLOBAL__N_121bessel_y1_kernel_cudaERNS_18TensorIteratorBaseEENKUlvE_clEvENKUlvE0_clEvEUlfE_EEvS5_RKT_EUlibE_EEviT1_,comdat
.Lfunc_end19:
	.size	_ZN2at6native32elementwise_kernel_manual_unrollILi128ELi4EZNS0_22gpu_kernel_impl_nocastIZZZNS0_12_GLOBAL__N_121bessel_y1_kernel_cudaERNS_18TensorIteratorBaseEENKUlvE_clEvENKUlvE0_clEvEUlfE_EEvS5_RKT_EUlibE_EEviT1_, .Lfunc_end19-_ZN2at6native32elementwise_kernel_manual_unrollILi128ELi4EZNS0_22gpu_kernel_impl_nocastIZZZNS0_12_GLOBAL__N_121bessel_y1_kernel_cudaERNS_18TensorIteratorBaseEENKUlvE_clEvENKUlvE0_clEvEUlfE_EEvS5_RKT_EUlibE_EEviT1_
                                        ; -- End function
	.set _ZN2at6native32elementwise_kernel_manual_unrollILi128ELi4EZNS0_22gpu_kernel_impl_nocastIZZZNS0_12_GLOBAL__N_121bessel_y1_kernel_cudaERNS_18TensorIteratorBaseEENKUlvE_clEvENKUlvE0_clEvEUlfE_EEvS5_RKT_EUlibE_EEviT1_.num_vgpr, 38
	.set _ZN2at6native32elementwise_kernel_manual_unrollILi128ELi4EZNS0_22gpu_kernel_impl_nocastIZZZNS0_12_GLOBAL__N_121bessel_y1_kernel_cudaERNS_18TensorIteratorBaseEENKUlvE_clEvENKUlvE0_clEvEUlfE_EEvS5_RKT_EUlibE_EEviT1_.num_agpr, 0
	.set _ZN2at6native32elementwise_kernel_manual_unrollILi128ELi4EZNS0_22gpu_kernel_impl_nocastIZZZNS0_12_GLOBAL__N_121bessel_y1_kernel_cudaERNS_18TensorIteratorBaseEENKUlvE_clEvENKUlvE0_clEvEUlfE_EEvS5_RKT_EUlibE_EEviT1_.numbered_sgpr, 60
	.set _ZN2at6native32elementwise_kernel_manual_unrollILi128ELi4EZNS0_22gpu_kernel_impl_nocastIZZZNS0_12_GLOBAL__N_121bessel_y1_kernel_cudaERNS_18TensorIteratorBaseEENKUlvE_clEvENKUlvE0_clEvEUlfE_EEvS5_RKT_EUlibE_EEviT1_.num_named_barrier, 0
	.set _ZN2at6native32elementwise_kernel_manual_unrollILi128ELi4EZNS0_22gpu_kernel_impl_nocastIZZZNS0_12_GLOBAL__N_121bessel_y1_kernel_cudaERNS_18TensorIteratorBaseEENKUlvE_clEvENKUlvE0_clEvEUlfE_EEvS5_RKT_EUlibE_EEviT1_.private_seg_size, 0
	.set _ZN2at6native32elementwise_kernel_manual_unrollILi128ELi4EZNS0_22gpu_kernel_impl_nocastIZZZNS0_12_GLOBAL__N_121bessel_y1_kernel_cudaERNS_18TensorIteratorBaseEENKUlvE_clEvENKUlvE0_clEvEUlfE_EEvS5_RKT_EUlibE_EEviT1_.uses_vcc, 1
	.set _ZN2at6native32elementwise_kernel_manual_unrollILi128ELi4EZNS0_22gpu_kernel_impl_nocastIZZZNS0_12_GLOBAL__N_121bessel_y1_kernel_cudaERNS_18TensorIteratorBaseEENKUlvE_clEvENKUlvE0_clEvEUlfE_EEvS5_RKT_EUlibE_EEviT1_.uses_flat_scratch, 0
	.set _ZN2at6native32elementwise_kernel_manual_unrollILi128ELi4EZNS0_22gpu_kernel_impl_nocastIZZZNS0_12_GLOBAL__N_121bessel_y1_kernel_cudaERNS_18TensorIteratorBaseEENKUlvE_clEvENKUlvE0_clEvEUlfE_EEvS5_RKT_EUlibE_EEviT1_.has_dyn_sized_stack, 0
	.set _ZN2at6native32elementwise_kernel_manual_unrollILi128ELi4EZNS0_22gpu_kernel_impl_nocastIZZZNS0_12_GLOBAL__N_121bessel_y1_kernel_cudaERNS_18TensorIteratorBaseEENKUlvE_clEvENKUlvE0_clEvEUlfE_EEvS5_RKT_EUlibE_EEviT1_.has_recursion, 0
	.set _ZN2at6native32elementwise_kernel_manual_unrollILi128ELi4EZNS0_22gpu_kernel_impl_nocastIZZZNS0_12_GLOBAL__N_121bessel_y1_kernel_cudaERNS_18TensorIteratorBaseEENKUlvE_clEvENKUlvE0_clEvEUlfE_EEvS5_RKT_EUlibE_EEviT1_.has_indirect_call, 0
	.section	.AMDGPU.csdata,"",@progbits
; Kernel info:
; codeLenInByte = 34692
; TotalNumSgprs: 62
; NumVgprs: 38
; ScratchSize: 0
; MemoryBound: 0
; FloatMode: 240
; IeeeMode: 1
; LDSByteSize: 0 bytes/workgroup (compile time only)
; SGPRBlocks: 0
; VGPRBlocks: 2
; NumSGPRsForWavesPerEU: 62
; NumVGPRsForWavesPerEU: 38
; NamedBarCnt: 0
; Occupancy: 16
; WaveLimiterHint : 1
; COMPUTE_PGM_RSRC2:SCRATCH_EN: 0
; COMPUTE_PGM_RSRC2:USER_SGPR: 2
; COMPUTE_PGM_RSRC2:TRAP_HANDLER: 0
; COMPUTE_PGM_RSRC2:TGID_X_EN: 1
; COMPUTE_PGM_RSRC2:TGID_Y_EN: 0
; COMPUTE_PGM_RSRC2:TGID_Z_EN: 0
; COMPUTE_PGM_RSRC2:TIDIG_COMP_CNT: 0
	.text
	.p2align	2                               ; -- Begin function _ZN2at6native6invokeIZZZNS0_12_GLOBAL__N_121bessel_y1_kernel_cudaERNS_18TensorIteratorBaseEENKUlvE_clEvENKUlvE0_clEvEUlfE_i15function_traitsIS7_EEENT1_11result_typeERKT_PrKPcPKT0_PKN3c1010ScalarTypeEi
	.type	_ZN2at6native6invokeIZZZNS0_12_GLOBAL__N_121bessel_y1_kernel_cudaERNS_18TensorIteratorBaseEENKUlvE_clEvENKUlvE0_clEvEUlfE_i15function_traitsIS7_EEENT1_11result_typeERKT_PrKPcPKT0_PKN3c1010ScalarTypeEi,@function
_ZN2at6native6invokeIZZZNS0_12_GLOBAL__N_121bessel_y1_kernel_cudaERNS_18TensorIteratorBaseEENKUlvE_clEvENKUlvE0_clEvEUlfE_i15function_traitsIS7_EEENT1_11result_typeERKT_PrKPcPKT0_PKN3c1010ScalarTypeEi: ; @_ZN2at6native6invokeIZZZNS0_12_GLOBAL__N_121bessel_y1_kernel_cudaERNS_18TensorIteratorBaseEENKUlvE_clEvENKUlvE0_clEvEUlfE_i15function_traitsIS7_EEENT1_11result_typeERKT_PrKPcPKT0_PKN3c1010ScalarTypeEi
; %bb.0:
	s_wait_loadcnt_dscnt 0x0
	s_wait_kmcnt 0x0
	v_mul_lo_u32 v4, v4, v2
	v_and_b32_e32 v3, 0xff, v3
	s_mov_b32 s1, 0
	s_mov_b32 s0, exec_lo
                                        ; implicit-def: $vgpr2
	s_delay_alu instid0(VALU_DEP_2) | instskip(NEXT) | instid1(VALU_DEP_1)
	v_ashrrev_i32_e32 v5, 31, v4
	v_add_nc_u64_e32 v[0:1], v[0:1], v[4:5]
	v_cmpx_lt_i16_e32 10, v3
	s_xor_b32 s0, exec_lo, s0
	s_cbranch_execz .LBB20_49
; %bb.1:
	s_mov_b32 s4, 0
	s_mov_b32 s3, 0
	s_mov_b32 s2, exec_lo
                                        ; implicit-def: $vgpr2
	v_cmpx_lt_i16_e32 25, v3
	s_xor_b32 s2, exec_lo, s2
	s_cbranch_execz .LBB20_92
; %bb.2:
	s_mov_b32 s5, 0
	s_mov_b32 s3, exec_lo
                                        ; implicit-def: $vgpr2
	v_cmpx_lt_i16_e32 28, v3
	s_xor_b32 s3, exec_lo, s3
	s_cbranch_execz .LBB20_18
; %bb.3:
	s_mov_b32 s6, 0
	s_mov_b32 s7, 0
	s_mov_b32 s4, exec_lo
                                        ; implicit-def: $vgpr2
	v_cmpx_lt_i16_e32 43, v3
	s_xor_b32 s4, exec_lo, s4
	s_cbranch_execz .LBB20_13
; %bb.4:
	s_mov_b32 s7, exec_lo
                                        ; implicit-def: $vgpr2
	v_cmpx_lt_i16_e32 45, v3
	s_xor_b32 s7, exec_lo, s7
	s_cbranch_execz .LBB20_8
; %bb.5:
	s_mov_b32 s8, -1
	s_mov_b32 s6, exec_lo
                                        ; implicit-def: $vgpr2
	v_cmpx_eq_u16_e32 46, v3
	s_cbranch_execz .LBB20_7
; %bb.6:
	flat_load_b32 v2, v[0:1]
	s_mov_b32 s5, exec_lo
	s_xor_b32 s8, exec_lo, -1
	s_wait_loadcnt_dscnt 0x0
	v_lshlrev_b32_e32 v2, 16, v2
.LBB20_7:
	s_wait_xcnt 0x0
	s_or_b32 exec_lo, exec_lo, s6
	s_delay_alu instid0(SALU_CYCLE_1)
	s_and_b32 s6, s5, exec_lo
	s_and_b32 s5, s8, exec_lo
                                        ; implicit-def: $vgpr3
.LBB20_8:
	s_and_not1_saveexec_b32 s7, s7
	s_cbranch_execz .LBB20_12
; %bb.9:
	s_mov_b32 s8, -1
	s_mov_b32 s10, s6
	s_mov_b32 s9, exec_lo
                                        ; implicit-def: $vgpr2
	v_cmpx_eq_u16_e32 44, v3
	s_cbranch_execz .LBB20_11
; %bb.10:
	flat_load_u8 v2, v[0:1]
	s_or_b32 s10, s6, exec_lo
	s_xor_b32 s8, exec_lo, -1
	s_wait_loadcnt_dscnt 0x0
	v_lshlrev_b32_e32 v3, 23, v2
	v_cmp_ne_u32_e32 vcc_lo, 0xff, v2
	s_delay_alu instid0(VALU_DEP_2) | instskip(SKIP_1) | instid1(VALU_DEP_2)
	v_cndmask_b32_e32 v3, 0x7f800001, v3, vcc_lo
	v_cmp_ne_u32_e32 vcc_lo, 0, v2
	v_cndmask_b32_e32 v2, 0x400000, v3, vcc_lo
.LBB20_11:
	s_wait_xcnt 0x0
	s_or_b32 exec_lo, exec_lo, s9
	s_delay_alu instid0(SALU_CYCLE_1)
	s_and_not1_b32 s6, s6, exec_lo
	s_and_b32 s9, s10, exec_lo
	s_and_not1_b32 s5, s5, exec_lo
	s_and_b32 s8, s8, exec_lo
	s_or_b32 s6, s6, s9
	s_or_b32 s5, s5, s8
.LBB20_12:
	s_or_b32 exec_lo, exec_lo, s7
	s_delay_alu instid0(SALU_CYCLE_1)
	s_and_b32 s7, s6, exec_lo
	s_and_b32 s6, s5, exec_lo
                                        ; implicit-def: $vgpr3
.LBB20_13:
	s_and_not1_saveexec_b32 s4, s4
	s_cbranch_execz .LBB20_17
; %bb.14:
	s_mov_b32 s5, -1
	s_mov_b32 s9, s7
	s_mov_b32 s8, exec_lo
                                        ; implicit-def: $vgpr2
	v_cmpx_eq_u16_e32 29, v3
	s_cbranch_execz .LBB20_16
; %bb.15:
	flat_load_b64 v[2:3], v[0:1]
	s_or_b32 s9, s7, exec_lo
	s_xor_b32 s5, exec_lo, -1
	s_wait_loadcnt_dscnt 0x0
	v_clz_i32_u32_e32 v4, v3
	s_delay_alu instid0(VALU_DEP_1) | instskip(NEXT) | instid1(VALU_DEP_1)
	v_min_u32_e32 v4, 32, v4
	v_lshlrev_b64_e32 v[2:3], v4, v[2:3]
	s_delay_alu instid0(VALU_DEP_1) | instskip(NEXT) | instid1(VALU_DEP_1)
	v_min_u32_e32 v2, 1, v2
	v_dual_sub_nc_u32 v3, 32, v4 :: v_dual_bitop2_b32 v2, v3, v2 bitop3:0x54
	s_delay_alu instid0(VALU_DEP_1) | instskip(NEXT) | instid1(VALU_DEP_1)
	v_cvt_f32_u32_e32 v2, v2
	v_ldexp_f32 v2, v2, v3
.LBB20_16:
	s_wait_xcnt 0x0
	s_or_b32 exec_lo, exec_lo, s8
	s_delay_alu instid0(SALU_CYCLE_1)
	s_and_not1_b32 s7, s7, exec_lo
	s_and_b32 s8, s9, exec_lo
	s_and_not1_b32 s6, s6, exec_lo
	s_and_b32 s5, s5, exec_lo
	s_or_b32 s7, s7, s8
	s_or_b32 s6, s6, s5
.LBB20_17:
	s_or_b32 exec_lo, exec_lo, s4
	s_delay_alu instid0(SALU_CYCLE_1)
	s_and_b32 s5, s7, exec_lo
	s_and_b32 s4, s6, exec_lo
                                        ; implicit-def: $vgpr3
.LBB20_18:
	s_and_not1_saveexec_b32 s3, s3
	s_cbranch_execz .LBB20_34
; %bb.19:
	s_mov_b32 s6, exec_lo
                                        ; implicit-def: $vgpr2
	v_cmpx_lt_i16_e32 26, v3
	s_xor_b32 s6, exec_lo, s6
	s_cbranch_execz .LBB20_25
; %bb.20:
	s_mov_b32 s7, exec_lo
                                        ; implicit-def: $vgpr2
	v_cmpx_lt_i16_e32 27, v3
	s_xor_b32 s7, exec_lo, s7
	s_cbranch_execz .LBB20_22
; %bb.21:
	flat_load_b32 v2, v[0:1]
	s_wait_loadcnt_dscnt 0x0
	v_cvt_f32_u32_e32 v2, v2
.LBB20_22:
	s_wait_xcnt 0x0
	s_and_not1_saveexec_b32 s7, s7
	s_cbranch_execz .LBB20_24
; %bb.23:
	flat_load_u16 v2, v[0:1]
	s_wait_loadcnt_dscnt 0x0
	v_cvt_f32_u32_e32 v2, v2
.LBB20_24:
	s_wait_xcnt 0x0
	s_or_b32 exec_lo, exec_lo, s7
.LBB20_25:
	s_and_not1_saveexec_b32 s6, s6
	s_cbranch_execz .LBB20_33
; %bb.26:
	flat_load_u8 v3, v[0:1]
	s_mov_b32 s7, 0
	s_mov_b32 s8, exec_lo
	s_wait_loadcnt_dscnt 0x0
	v_cmpx_lt_i16_e32 0x7f, v3
	s_xor_b32 s8, exec_lo, s8
	s_cbranch_execz .LBB20_127
; %bb.27:
	s_mov_b32 s7, -1
	s_mov_b32 s9, exec_lo
	v_cmpx_eq_u16_e32 0x80, v3
; %bb.28:
	s_xor_b32 s7, exec_lo, -1
; %bb.29:
	s_or_b32 exec_lo, exec_lo, s9
	s_delay_alu instid0(SALU_CYCLE_1)
	s_and_b32 s7, s7, exec_lo
	s_or_saveexec_b32 s8, s8
	v_mov_b32_e32 v2, 0x7f800001
	s_xor_b32 exec_lo, exec_lo, s8
	s_cbranch_execnz .LBB20_128
.LBB20_30:
	s_or_b32 exec_lo, exec_lo, s8
	s_and_saveexec_b32 s8, s7
	s_cbranch_execz .LBB20_32
.LBB20_31:
	v_and_b32_e32 v2, 0xffff, v3
	s_delay_alu instid0(VALU_DEP_1) | instskip(SKIP_1) | instid1(VALU_DEP_2)
	v_and_b32_e32 v4, 7, v2
	v_bfe_u32 v7, v2, 3, 4
	v_clz_i32_u32_e32 v5, v4
	s_delay_alu instid0(VALU_DEP_2) | instskip(NEXT) | instid1(VALU_DEP_2)
	v_cmp_eq_u32_e32 vcc_lo, 0, v7
	v_min_u32_e32 v5, 32, v5
	s_delay_alu instid0(VALU_DEP_1) | instskip(NEXT) | instid1(VALU_DEP_1)
	v_subrev_nc_u32_e32 v6, 28, v5
	v_dual_lshlrev_b32 v2, v6, v2 :: v_dual_sub_nc_u32 v5, 29, v5
	s_delay_alu instid0(VALU_DEP_1) | instskip(NEXT) | instid1(VALU_DEP_1)
	v_dual_lshlrev_b32 v3, 24, v3 :: v_dual_bitop2_b32 v2, 7, v2 bitop3:0x40
	v_dual_cndmask_b32 v5, v7, v5 :: v_dual_cndmask_b32 v2, v4, v2
	s_delay_alu instid0(VALU_DEP_2) | instskip(NEXT) | instid1(VALU_DEP_2)
	v_and_b32_e32 v3, 0x80000000, v3
	v_lshl_add_u32 v4, v5, 23, 0x3b800000
	s_delay_alu instid0(VALU_DEP_3) | instskip(NEXT) | instid1(VALU_DEP_1)
	v_lshlrev_b32_e32 v2, 20, v2
	v_or3_b32 v2, v3, v4, v2
.LBB20_32:
	s_or_b32 exec_lo, exec_lo, s8
.LBB20_33:
	s_delay_alu instid0(SALU_CYCLE_1) | instskip(NEXT) | instid1(SALU_CYCLE_1)
	s_or_b32 exec_lo, exec_lo, s6
	s_or_b32 s5, s5, exec_lo
.LBB20_34:
	s_or_b32 exec_lo, exec_lo, s3
	s_delay_alu instid0(SALU_CYCLE_1)
	s_and_b32 s3, s5, exec_lo
	s_and_b32 s4, s4, exec_lo
                                        ; implicit-def: $vgpr3
	s_and_not1_saveexec_b32 s2, s2
	s_cbranch_execnz .LBB20_93
.LBB20_35:
	s_or_b32 exec_lo, exec_lo, s2
	s_and_saveexec_b32 s2, s4
	s_cbranch_execnz .LBB20_118
.LBB20_36:
	s_or_b32 exec_lo, exec_lo, s2
	s_and_saveexec_b32 s2, s1
	s_delay_alu instid0(SALU_CYCLE_1)
	s_xor_b32 s1, exec_lo, s2
	s_cbranch_execz .LBB20_38
.LBB20_37:
	flat_load_u8 v0, v[0:1]
	s_or_b32 s3, s3, exec_lo
	s_wait_loadcnt_dscnt 0x0
	v_cmp_ne_u16_e32 vcc_lo, 0, v0
	v_cndmask_b32_e64 v2, 0, 1.0, vcc_lo
.LBB20_38:
	s_wait_xcnt 0x0
	s_or_b32 exec_lo, exec_lo, s1
	s_delay_alu instid0(SALU_CYCLE_1)
	s_and_b32 s1, s3, exec_lo
                                        ; implicit-def: $vgpr3
                                        ; implicit-def: $vgpr0_vgpr1
	s_and_not1_saveexec_b32 s0, s0
	s_cbranch_execnz .LBB20_50
.LBB20_39:
	s_or_b32 exec_lo, exec_lo, s0
                                        ; implicit-def: $vgpr0
	s_and_saveexec_b32 s3, s1
	s_cbranch_execz .LBB20_91
.LBB20_40:
                                        ; implicit-def: $vgpr0
	s_mov_b32 s0, exec_lo
	s_wait_loadcnt_dscnt 0x0
	s_delay_alu instid0(VALU_DEP_1)
	v_cmpx_ge_f32_e32 0x40a00000, v2
	s_xor_b32 s4, exec_lo, s0
	s_cbranch_execz .LBB20_46
; %bb.41:
	v_mov_b32_e32 v0, 0xff800000
	s_mov_b32 s5, exec_lo
	v_cmpx_neq_f32_e32 0, v2
	s_cbranch_execz .LBB20_45
; %bb.42:
	v_mov_b32_e32 v0, 0x7fc00000
	s_mov_b32 s6, exec_lo
	v_cmpx_nge_f32_e32 0, v2
	s_cbranch_execz .LBB20_44
; %bb.43:
	v_mul_f32_e32 v0, v2, v2
	v_mov_b64_e32 v[4:5], 0x4c8c277d4e9695f3
	v_mov_b64_e32 v[8:9], 0x508bc61dd316b96b
	v_mov_b64_e32 v[10:11], 0x5461faf856d04aa6
	v_mov_b64_e32 v[12:13], 0x548a37dcce5691e2
	v_dual_fmaak_f32 v1, 0, v0, 0x4414934d :: v_dual_mul_f32 v6, 0, v0
	v_fmaak_f32 v3, 0, v0, 0x441b3589
	v_mov_b64_e32 v[14:15], 0x5832585252d295d0
	v_cmp_gt_f32_e64 s0, 0x800000, v2
	s_delay_alu instid0(VALU_DEP_4) | instskip(SKIP_2) | instid1(VALU_DEP_3)
	v_fmaak_f32 v1, v0, v1, 0x48660b06
	v_div_scale_f32 v20, s2, -1.0, v2, -1.0
	v_fmaak_f32 v3, v0, v3, 0x487af6d0
	v_mul_f32_e32 v7, v0, v1
	s_delay_alu instid0(VALU_DEP_2) | instskip(NEXT) | instid1(VALU_DEP_2)
	v_fmaak_f32 v1, v0, v3, 0x4c9f4aa7
	v_pk_add_f32 v[4:5], v[6:7], v[4:5]
	s_delay_alu instid0(VALU_DEP_2) | instskip(NEXT) | instid1(VALU_DEP_1)
	v_fmaak_f32 v1, v0, v1, 0x50a509fc
	v_pk_fma_f32 v[4:5], v[0:1], v[4:5], v[8:9] op_sel_hi:[0,1,1]
	v_mov_b64_e32 v[8:9], 0x580d1937d9e700d2
	v_mul_f32_e32 v7, v0, v1
	s_delay_alu instid0(VALU_DEP_3) | instskip(SKIP_1) | instid1(VALU_DEP_3)
	v_pk_fma_f32 v[4:5], v[0:1], v[4:5], v[10:11] op_sel_hi:[0,1,1]
	v_mov_b64_e32 v[10:11], 0x5b741f1e5c33cd68
	v_pk_add_f32 v[6:7], v[6:7], v[12:13]
	v_mov_b64_e32 v[12:13], 0x5b9f0600d6845497
	s_delay_alu instid0(VALU_DEP_4) | instskip(SKIP_1) | instid1(VALU_DEP_4)
	v_pk_fma_f32 v[4:5], v[0:1], v[4:5], v[8:9] op_sel_hi:[0,1,1]
	v_mov_b64_e32 v[8:9], 0x5e5c878ddd2cf20b
	v_pk_fma_f32 v[6:7], v[0:1], v[6:7], v[14:15] op_sel_hi:[0,1,1]
	v_mov_b64_e32 v[14:15], 0x5e93bcac59515a15
	s_delay_alu instid0(VALU_DEP_4) | instskip(SKIP_1) | instid1(VALU_DEP_4)
	v_pk_fma_f32 v[4:5], v[0:1], v[4:5], v[10:11] op_sel_hi:[0,1,1]
	v_div_scale_f32 v11, null, v2, v2, -1.0
	v_pk_fma_f32 v[6:7], v[0:1], v[6:7], v[12:13] op_sel_hi:[0,1,1]
	s_delay_alu instid0(VALU_DEP_3) | instskip(SKIP_1) | instid1(VALU_DEP_3)
	v_pk_fma_f32 v[4:5], v[0:1], v[4:5], v[8:9] op_sel_hi:[0,1,1]
	v_cndmask_b32_e64 v8, 0, 32, s0
	v_pk_fma_f32 v[6:7], v[0:1], v[6:7], v[14:15] op_sel_hi:[0,1,1]
	s_delay_alu instid0(VALU_DEP_3) | instskip(NEXT) | instid1(VALU_DEP_3)
	v_div_scale_f32 v1, null, v5, v5, v4
	v_ldexp_f32 v8, v2, v8
	s_delay_alu instid0(VALU_DEP_3) | instskip(NEXT) | instid1(VALU_DEP_3)
	v_div_scale_f32 v3, null, v7, v7, v6
	v_rcp_f32_e32 v9, v1
	v_div_scale_f32 v14, vcc_lo, v4, v5, v4
	s_delay_alu instid0(VALU_DEP_2) | instskip(SKIP_2) | instid1(TRANS32_DEP_3)
	v_rcp_f32_e32 v10, v3
	v_div_scale_f32 v15, s1, v6, v7, v6
	v_log_f32_e32 v17, v8
	v_fma_f32 v12, -v1, v9, 1.0
	s_delay_alu instid0(TRANS32_DEP_2) | instskip(NEXT) | instid1(VALU_DEP_2)
	v_fma_f32 v13, -v3, v10, 1.0
	v_fmac_f32_e32 v9, v12, v9
	v_rcp_f32_e32 v12, v11
	s_delay_alu instid0(VALU_DEP_2) | instskip(NEXT) | instid1(TRANS32_DEP_1)
	v_fmac_f32_e32 v10, v13, v10
	v_fma_f32 v8, -v11, v12, 1.0
	s_delay_alu instid0(VALU_DEP_2) | instskip(NEXT) | instid1(VALU_DEP_1)
	v_dual_mul_f32 v13, v14, v9 :: v_dual_mul_f32 v16, v15, v10
	v_dual_fmac_f32 v12, v8, v12 :: v_dual_fma_f32 v18, -v1, v13, v14
	s_delay_alu instid0(VALU_DEP_2) | instskip(SKIP_1) | instid1(VALU_DEP_2)
	v_fma_f32 v19, -v3, v16, v15
	v_mul_f32_e32 v21, 0x3f317217, v17
	v_dual_fmac_f32 v13, v18, v9 :: v_dual_fmac_f32 v16, v19, v10
	s_delay_alu instid0(VALU_DEP_1) | instskip(SKIP_1) | instid1(VALU_DEP_4)
	v_dual_fma_f32 v1, -v1, v13, v14 :: v_dual_fma_f32 v3, -v3, v16, v15
	v_mul_f32_e32 v14, v20, v12
	v_fma_f32 v18, 0x3f317217, v17, -v21
	s_delay_alu instid0(VALU_DEP_3)
	v_div_fmas_f32 v13, v1, v9, v13
	s_mov_b32 vcc_lo, s1
	v_mov_b64_e32 v[8:9], 0xc16ae95ac244dfb3
	v_div_fmas_f32 v1, v3, v10, v16
	v_fma_f32 v3, -v11, v14, v20
	v_cmp_gt_f32_e64 vcc_lo, 0x7f800000, |v17|
	s_delay_alu instid0(VALU_DEP_3) | instskip(SKIP_1) | instid1(VALU_DEP_4)
	v_div_fixup_f32 v6, v1, v7, v6
	v_fmamk_f32 v10, v17, 0x3377d1cf, v18
	v_fmac_f32_e32 v14, v3, v12
	v_pk_add_f32 v[0:1], v[0:1], v[8:9] op_sel_hi:[0,1]
	s_delay_alu instid0(VALU_DEP_3) | instskip(SKIP_1) | instid1(VALU_DEP_2)
	v_dual_mul_f32 v3, v2, v6 :: v_dual_fmac_f32 v10, 0x3f317217, v17
	v_cndmask_b32_e64 v6, 0, 0x41b17218, s0
	v_dual_mul_f32 v1, v1, v3 :: v_dual_fma_f32 v7, -v11, v14, v20
	s_delay_alu instid0(VALU_DEP_3) | instskip(SKIP_1) | instid1(VALU_DEP_2)
	v_cndmask_b32_e32 v8, v17, v10, vcc_lo
	s_mov_b32 vcc_lo, s2
	v_mul_f32_e32 v0, v0, v1
	s_delay_alu instid0(VALU_DEP_3) | instskip(NEXT) | instid1(VALU_DEP_1)
	v_div_fmas_f32 v3, v7, v12, v14
	v_div_fixup_f32 v1, v3, v2, -1.0
	v_div_fixup_f32 v3, v13, v5, v4
	v_sub_f32_e32 v6, v8, v6
	s_delay_alu instid0(VALU_DEP_1) | instskip(NEXT) | instid1(VALU_DEP_1)
	v_fmac_f32_e32 v1, v6, v0
	v_mul_f32_e32 v0, 0x3f22f983, v1
	s_delay_alu instid0(VALU_DEP_1)
	v_fmac_f32_e32 v0, v2, v3
.LBB20_44:
	s_or_b32 exec_lo, exec_lo, s6
.LBB20_45:
	s_delay_alu instid0(SALU_CYCLE_1)
	s_or_b32 exec_lo, exec_lo, s5
                                        ; implicit-def: $vgpr2
.LBB20_46:
	s_and_not1_saveexec_b32 s4, s4
	s_cbranch_execz .LBB20_126
; %bb.47:
	v_add_f32_e32 v0, 0xc016cbe4, v2
                                        ; implicit-def: $vgpr4
                                        ; implicit-def: $vgpr3
	s_delay_alu instid0(VALU_DEP_1) | instskip(NEXT) | instid1(VALU_DEP_1)
	v_and_b32_e32 v1, 0x7fffffff, v0
	v_lshrrev_b32_e32 v5, 23, v1
	v_cmp_ngt_f32_e64 s2, 0x48000000, |v0|
	s_and_saveexec_b32 s0, s2
	s_delay_alu instid0(SALU_CYCLE_1)
	s_xor_b32 s5, exec_lo, s0
	s_cbranch_execz .LBB20_119
; %bb.48:
	s_mov_b32 s0, 0x7fffff
	v_mov_b32_e32 v7, 0
	v_and_or_b32 v6, v1, s0, 0x800000
	s_mov_b64 s[0:1], 0xfe5163ab
	v_add_nc_u32_e32 v3, 0xffffff88, v5
	s_delay_alu instid0(VALU_DEP_2) | instskip(NEXT) | instid1(VALU_DEP_2)
	v_mul_u64_e32 v[8:9], s[0:1], v[6:7]
	v_cmp_lt_u32_e32 vcc_lo, 63, v3
	v_cndmask_b32_e64 v4, 0, 0xffffffc0, vcc_lo
	s_delay_alu instid0(VALU_DEP_3) | instskip(SKIP_2) | instid1(VALU_DEP_3)
	v_dual_mov_b32 v10, v9 :: v_dual_mov_b32 v11, v7
	v_dual_mov_b32 v13, v7 :: v_dual_mov_b32 v15, v7
	;; [unrolled: 1-line block ×3, first 2 shown]
	v_mad_nc_u64_u32 v[10:11], 0x3c439041, v6, v[10:11]
	v_dual_add_nc_u32 v3, v4, v3 :: v_dual_mov_b32 v21, v7
	s_delay_alu instid0(VALU_DEP_1) | instskip(NEXT) | instid1(VALU_DEP_3)
	v_cmp_lt_u32_e64 s0, 31, v3
	v_mov_b32_e32 v12, v11
	s_delay_alu instid0(VALU_DEP_2) | instskip(NEXT) | instid1(VALU_DEP_2)
	v_cndmask_b32_e64 v4, 0, 0xffffffe0, s0
	v_mad_nc_u64_u32 v[12:13], 0xdb629599, v6, v[12:13]
	s_delay_alu instid0(VALU_DEP_2) | instskip(NEXT) | instid1(VALU_DEP_1)
	v_add_nc_u32_e32 v3, v4, v3
	v_cmp_lt_u32_e64 s1, 31, v3
	s_delay_alu instid0(VALU_DEP_3) | instskip(NEXT) | instid1(VALU_DEP_2)
	v_mov_b32_e32 v14, v13
	v_cndmask_b32_e64 v4, 0, 0xffffffe0, s1
	v_cndmask_b32_e32 v8, v12, v8, vcc_lo
	s_delay_alu instid0(VALU_DEP_3) | instskip(NEXT) | instid1(VALU_DEP_1)
	v_mad_nc_u64_u32 v[14:15], 0xf534ddc0, v6, v[14:15]
	v_dual_cndmask_b32 v4, v14, v10 :: v_dual_add_nc_u32 v3, v4, v3
	s_delay_alu instid0(VALU_DEP_2) | instskip(NEXT) | instid1(VALU_DEP_1)
	v_mov_b32_e32 v16, v15
	v_mad_nc_u64_u32 v[16:17], 0xfc2757d1, v6, v[16:17]
	s_delay_alu instid0(VALU_DEP_1) | instskip(NEXT) | instid1(VALU_DEP_1)
	v_dual_mov_b32 v18, v17 :: v_dual_cndmask_b32 v11, v16, v12
	v_mad_nc_u64_u32 v[18:19], 0x4e441529, v6, v[18:19]
	s_delay_alu instid0(VALU_DEP_1) | instskip(NEXT) | instid1(VALU_DEP_1)
	v_dual_mov_b32 v20, v19 :: v_dual_cndmask_b32 v9, v18, v14
	v_mad_nc_u64_u32 v[6:7], 0xa2f9836e, v6, v[20:21]
	s_delay_alu instid0(VALU_DEP_1) | instskip(SKIP_1) | instid1(VALU_DEP_2)
	v_dual_cndmask_b32 v6, v6, v16 :: v_dual_cndmask_b32 v7, v7, v18
	v_cmp_eq_u32_e32 vcc_lo, 0, v3
	v_dual_cndmask_b32 v10, v6, v9, s0 :: v_dual_cndmask_b32 v6, v7, v6, s0
	v_dual_cndmask_b32 v7, v9, v11, s0 :: v_dual_cndmask_b32 v11, v11, v4, s0
	v_dual_sub_nc_u32 v9, 32, v3 :: v_dual_cndmask_b32 v4, v4, v8, s0
	s_delay_alu instid0(VALU_DEP_3) | instskip(NEXT) | instid1(VALU_DEP_2)
	v_cndmask_b32_e64 v6, v6, v10, s1
	v_dual_cndmask_b32 v10, v10, v7, s1 :: v_dual_cndmask_b32 v4, v11, v4, s1
	s_delay_alu instid0(VALU_DEP_1) | instskip(NEXT) | instid1(VALU_DEP_1)
	v_alignbit_b32 v13, v6, v10, v9
	v_dual_cndmask_b32 v7, v7, v11, s1 :: v_dual_cndmask_b32 v3, v13, v6, vcc_lo
	s_delay_alu instid0(VALU_DEP_1) | instskip(NEXT) | instid1(VALU_DEP_4)
	v_alignbit_b32 v12, v10, v7, v9
	v_alignbit_b32 v9, v7, v4, v9
	s_delay_alu instid0(VALU_DEP_3) | instskip(NEXT) | instid1(VALU_DEP_2)
	v_bfe_u32 v8, v3, 29, 1
	v_dual_cndmask_b32 v6, v12, v10 :: v_dual_cndmask_b32 v7, v9, v7
	s_delay_alu instid0(VALU_DEP_2) | instskip(NEXT) | instid1(VALU_DEP_2)
	v_sub_nc_u32_e32 v11, 0, v8
	v_alignbit_b32 v10, v3, v6, 30
	s_delay_alu instid0(VALU_DEP_3) | instskip(SKIP_1) | instid1(VALU_DEP_3)
	v_alignbit_b32 v6, v6, v7, 30
	v_alignbit_b32 v4, v7, v4, 30
	v_xor_b32_e32 v10, v10, v11
	s_delay_alu instid0(VALU_DEP_2) | instskip(NEXT) | instid1(VALU_DEP_2)
	v_xor_b32_e32 v4, v4, v11
	v_clz_i32_u32_e32 v9, v10
	s_delay_alu instid0(VALU_DEP_1) | instskip(NEXT) | instid1(VALU_DEP_1)
	v_min_u32_e32 v9, 32, v9
	v_dual_lshlrev_b32 v12, 23, v9 :: v_dual_bitop2_b32 v6, v6, v11 bitop3:0x14
	v_sub_nc_u32_e32 v7, 31, v9
	s_delay_alu instid0(VALU_DEP_1) | instskip(SKIP_2) | instid1(VALU_DEP_1)
	v_alignbit_b32 v10, v10, v6, v7
	v_lshrrev_b32_e32 v11, 29, v3
	v_alignbit_b32 v4, v6, v4, v7
	v_alignbit_b32 v7, v10, v4, 9
	s_delay_alu instid0(VALU_DEP_3) | instskip(NEXT) | instid1(VALU_DEP_2)
	v_dual_lshrrev_b32 v10, 9, v10 :: v_dual_lshlrev_b32 v6, 31, v11
	v_clz_i32_u32_e32 v13, v7
	s_delay_alu instid0(VALU_DEP_2) | instskip(SKIP_1) | instid1(VALU_DEP_2)
	v_or_b32_e32 v11, 0.5, v6
	v_or_b32_e32 v6, 0x33000000, v6
	v_sub_nc_u32_e32 v11, v11, v12
	s_delay_alu instid0(VALU_DEP_4) | instskip(NEXT) | instid1(VALU_DEP_1)
	v_min_u32_e32 v12, 32, v13
	v_add_lshl_u32 v9, v12, v9, 23
	s_delay_alu instid0(VALU_DEP_1) | instskip(NEXT) | instid1(VALU_DEP_4)
	v_sub_nc_u32_e32 v6, v6, v9
	v_or_b32_e32 v10, v10, v11
	v_not_b32_e32 v11, v12
	s_delay_alu instid0(VALU_DEP_1) | instskip(NEXT) | instid1(VALU_DEP_1)
	v_alignbit_b32 v4, v7, v4, v11
	v_dual_mul_f32 v13, 0x3fc90fda, v10 :: v_dual_lshrrev_b32 v4, 9, v4
	s_delay_alu instid0(VALU_DEP_1) | instskip(NEXT) | instid1(VALU_DEP_2)
	v_or_b32_e32 v4, v6, v4
	v_fma_f32 v7, 0x3fc90fda, v10, -v13
	s_delay_alu instid0(VALU_DEP_1) | instskip(NEXT) | instid1(VALU_DEP_1)
	v_fmamk_f32 v7, v10, 0x33a22168, v7
	v_dual_fmac_f32 v7, 0x3fc90fda, v4 :: v_dual_lshrrev_b32 v4, 30, v3
	s_delay_alu instid0(VALU_DEP_1)
	v_dual_add_f32 v3, v13, v7 :: v_dual_add_nc_u32 v4, v8, v4
	s_or_saveexec_b32 s0, s5
	v_mul_f32_e64 v8, 0x3f22f983, |v0|
	s_xor_b32 exec_lo, exec_lo, s0
	s_branch .LBB20_120
.LBB20_49:
	s_and_not1_saveexec_b32 s0, s0
	s_cbranch_execz .LBB20_39
.LBB20_50:
	s_mov_b32 s2, exec_lo
                                        ; implicit-def: $vgpr2
	v_cmpx_lt_i16_e32 4, v3
	s_xor_b32 s2, exec_lo, s2
	s_cbranch_execz .LBB20_72
; %bb.51:
	s_mov_b32 s3, exec_lo
                                        ; implicit-def: $vgpr2
	v_cmpx_lt_i16_e32 7, v3
	s_xor_b32 s3, exec_lo, s3
	s_cbranch_execz .LBB20_61
; %bb.52:
	;; [unrolled: 6-line block ×4, first 2 shown]
	flat_load_b64 v[0:1], v[0:1]
	s_wait_loadcnt_dscnt 0x0
	v_cvt_f32_f64_e32 v2, v[0:1]
                                        ; implicit-def: $vgpr0_vgpr1
.LBB20_55:
	s_wait_xcnt 0x0
	s_and_not1_saveexec_b32 s5, s5
	s_cbranch_execz .LBB20_57
; %bb.56:
	flat_load_b32 v2, v[0:1]
.LBB20_57:
	s_wait_xcnt 0x0
	s_or_b32 exec_lo, exec_lo, s5
                                        ; implicit-def: $vgpr0_vgpr1
.LBB20_58:
	s_and_not1_saveexec_b32 s4, s4
	s_cbranch_execz .LBB20_60
; %bb.59:
	flat_load_b32 v0, v[0:1]
	s_wait_loadcnt_dscnt 0x0
	v_cvt_f32_f16_e32 v2, v0
.LBB20_60:
	s_wait_xcnt 0x0
	s_or_b32 exec_lo, exec_lo, s4
                                        ; implicit-def: $vgpr0_vgpr1
                                        ; implicit-def: $vgpr3
.LBB20_61:
	s_and_not1_saveexec_b32 s3, s3
	s_cbranch_execz .LBB20_71
; %bb.62:
	s_mov_b32 s4, exec_lo
                                        ; implicit-def: $vgpr2
	v_cmpx_lt_i16_e32 5, v3
	s_xor_b32 s4, exec_lo, s4
	s_cbranch_execz .LBB20_68
; %bb.63:
	s_mov_b32 s5, exec_lo
                                        ; implicit-def: $vgpr2
	v_cmpx_lt_i16_e32 6, v3
	s_xor_b32 s5, exec_lo, s5
	s_cbranch_execz .LBB20_65
; %bb.64:
	flat_load_b64 v[0:1], v[0:1]
	s_wait_loadcnt_dscnt 0x0
	v_cvt_f32_f64_e32 v2, v[0:1]
                                        ; implicit-def: $vgpr0_vgpr1
.LBB20_65:
	s_wait_xcnt 0x0
	s_and_not1_saveexec_b32 s5, s5
	s_cbranch_execz .LBB20_67
; %bb.66:
	s_wait_loadcnt_dscnt 0x0
	flat_load_b32 v2, v[0:1]
.LBB20_67:
	s_wait_xcnt 0x0
	s_or_b32 exec_lo, exec_lo, s5
                                        ; implicit-def: $vgpr0_vgpr1
.LBB20_68:
	s_and_not1_saveexec_b32 s4, s4
	s_cbranch_execz .LBB20_70
; %bb.69:
	flat_load_u16 v0, v[0:1]
	s_wait_loadcnt_dscnt 0x0
	v_cvt_f32_f16_e32 v2, v0
.LBB20_70:
	s_wait_xcnt 0x0
	s_or_b32 exec_lo, exec_lo, s4
.LBB20_71:
	s_delay_alu instid0(SALU_CYCLE_1)
	s_or_b32 exec_lo, exec_lo, s3
                                        ; implicit-def: $vgpr3
                                        ; implicit-def: $vgpr0_vgpr1
.LBB20_72:
	s_and_not1_saveexec_b32 s2, s2
	s_cbranch_execz .LBB20_90
; %bb.73:
	s_mov_b32 s3, exec_lo
                                        ; implicit-def: $vgpr2
	v_cmpx_lt_i16_e32 1, v3
	s_xor_b32 s3, exec_lo, s3
	s_cbranch_execz .LBB20_83
; %bb.74:
	s_mov_b32 s4, exec_lo
                                        ; implicit-def: $vgpr2
	v_cmpx_lt_i16_e32 2, v3
	s_xor_b32 s4, exec_lo, s4
	;; [unrolled: 6-line block ×3, first 2 shown]
	s_cbranch_execz .LBB20_77
; %bb.76:
	flat_load_b64 v[0:1], v[0:1]
	s_wait_loadcnt_dscnt 0x0
	v_xor_b32_e32 v2, v0, v1
	v_cls_i32_e32 v3, v1
	s_delay_alu instid0(VALU_DEP_2) | instskip(NEXT) | instid1(VALU_DEP_1)
	v_ashrrev_i32_e32 v2, 31, v2
	v_add_nc_u32_e32 v2, 32, v2
	s_delay_alu instid0(VALU_DEP_1) | instskip(SKIP_1) | instid1(VALU_DEP_1)
	v_add_min_u32_e64 v2, v3, -1, v2
	s_wait_xcnt 0x0
	v_lshlrev_b64_e32 v[0:1], v2, v[0:1]
	s_delay_alu instid0(VALU_DEP_1) | instskip(NEXT) | instid1(VALU_DEP_1)
	v_min_u32_e32 v0, 1, v0
	v_dual_sub_nc_u32 v1, 32, v2 :: v_dual_bitop2_b32 v0, v1, v0 bitop3:0x54
	s_delay_alu instid0(VALU_DEP_1) | instskip(NEXT) | instid1(VALU_DEP_1)
	v_cvt_f32_i32_e32 v0, v0
	v_ldexp_f32 v2, v0, v1
                                        ; implicit-def: $vgpr0_vgpr1
.LBB20_77:
	s_and_not1_saveexec_b32 s5, s5
	s_cbranch_execz .LBB20_79
; %bb.78:
	flat_load_b32 v0, v[0:1]
	s_wait_loadcnt_dscnt 0x0
	v_cvt_f32_i32_e32 v2, v0
.LBB20_79:
	s_wait_xcnt 0x0
	s_or_b32 exec_lo, exec_lo, s5
                                        ; implicit-def: $vgpr0_vgpr1
.LBB20_80:
	s_and_not1_saveexec_b32 s4, s4
	s_cbranch_execz .LBB20_82
; %bb.81:
	flat_load_i16 v0, v[0:1]
	s_wait_loadcnt_dscnt 0x0
	v_cvt_f32_i32_e32 v2, v0
.LBB20_82:
	s_wait_xcnt 0x0
	s_or_b32 exec_lo, exec_lo, s4
                                        ; implicit-def: $vgpr0_vgpr1
                                        ; implicit-def: $vgpr3
.LBB20_83:
	s_and_not1_saveexec_b32 s3, s3
	s_cbranch_execz .LBB20_89
; %bb.84:
	s_mov_b32 s4, exec_lo
                                        ; implicit-def: $vgpr2
	v_cmpx_lt_i16_e32 0, v3
	s_xor_b32 s4, exec_lo, s4
	s_cbranch_execz .LBB20_86
; %bb.85:
	flat_load_i8 v0, v[0:1]
	s_wait_loadcnt_dscnt 0x0
	v_cvt_f32_i32_e32 v2, v0
                                        ; implicit-def: $vgpr0_vgpr1
.LBB20_86:
	s_wait_xcnt 0x0
	s_and_not1_saveexec_b32 s4, s4
	s_cbranch_execz .LBB20_88
; %bb.87:
	flat_load_u8 v0, v[0:1]
	s_wait_loadcnt_dscnt 0x0
	v_cvt_f32_ubyte0_e32 v2, v0
.LBB20_88:
	s_wait_xcnt 0x0
	s_or_b32 exec_lo, exec_lo, s4
.LBB20_89:
	s_delay_alu instid0(SALU_CYCLE_1)
	s_or_b32 exec_lo, exec_lo, s3
.LBB20_90:
	s_delay_alu instid0(SALU_CYCLE_1) | instskip(NEXT) | instid1(SALU_CYCLE_1)
	s_or_b32 exec_lo, exec_lo, s2
	s_or_b32 s1, s1, exec_lo
	s_or_b32 exec_lo, exec_lo, s0
                                        ; implicit-def: $vgpr0
	s_and_saveexec_b32 s3, s1
	s_cbranch_execnz .LBB20_40
.LBB20_91:
	s_or_b32 exec_lo, exec_lo, s3
	s_wait_loadcnt_dscnt 0x0
	s_set_pc_i64 s[30:31]
.LBB20_92:
	s_and_not1_saveexec_b32 s2, s2
	s_cbranch_execz .LBB20_35
.LBB20_93:
	s_mov_b32 s5, s3
	s_mov_b32 s1, exec_lo
                                        ; implicit-def: $vgpr2
	v_cmpx_lt_i16_e32 22, v3
	s_xor_b32 s1, exec_lo, s1
	s_cbranch_execz .LBB20_109
; %bb.94:
	s_mov_b32 s5, exec_lo
                                        ; implicit-def: $vgpr2
	v_cmpx_lt_i16_e32 23, v3
	s_xor_b32 s5, exec_lo, s5
	s_cbranch_execz .LBB20_106
; %bb.95:
	;; [unrolled: 6-line block ×3, first 2 shown]
	flat_load_u8 v3, v[0:1]
	s_mov_b32 s7, 0
	s_mov_b32 s8, exec_lo
	s_wait_loadcnt_dscnt 0x0
	v_cmpx_lt_i16_e32 0x7f, v3
	s_xor_b32 s8, exec_lo, s8
	s_cbranch_execz .LBB20_129
; %bb.97:
	s_mov_b32 s7, -1
	s_mov_b32 s9, exec_lo
	v_cmpx_eq_u16_e32 0x80, v3
; %bb.98:
	s_xor_b32 s7, exec_lo, -1
; %bb.99:
	s_or_b32 exec_lo, exec_lo, s9
	s_delay_alu instid0(SALU_CYCLE_1)
	s_and_b32 s7, s7, exec_lo
	s_or_saveexec_b32 s8, s8
	v_mov_b32_e32 v2, 0x7f800001
	s_xor_b32 exec_lo, exec_lo, s8
	s_cbranch_execnz .LBB20_130
.LBB20_100:
	s_or_b32 exec_lo, exec_lo, s8
	s_and_saveexec_b32 s8, s7
	s_cbranch_execz .LBB20_102
.LBB20_101:
	v_and_b32_e32 v2, 0xffff, v3
	s_delay_alu instid0(VALU_DEP_1) | instskip(SKIP_1) | instid1(VALU_DEP_2)
	v_and_b32_e32 v4, 3, v2
	v_bfe_u32 v7, v2, 2, 5
	v_clz_i32_u32_e32 v5, v4
	s_delay_alu instid0(VALU_DEP_2) | instskip(NEXT) | instid1(VALU_DEP_2)
	v_cmp_eq_u32_e32 vcc_lo, 0, v7
	v_min_u32_e32 v5, 32, v5
	s_delay_alu instid0(VALU_DEP_1) | instskip(NEXT) | instid1(VALU_DEP_1)
	v_subrev_nc_u32_e32 v6, 29, v5
	v_dual_lshlrev_b32 v2, v6, v2 :: v_dual_sub_nc_u32 v5, 30, v5
	s_delay_alu instid0(VALU_DEP_1) | instskip(NEXT) | instid1(VALU_DEP_1)
	v_dual_lshlrev_b32 v3, 24, v3 :: v_dual_bitop2_b32 v2, 3, v2 bitop3:0x40
	v_dual_cndmask_b32 v5, v7, v5 :: v_dual_cndmask_b32 v2, v4, v2
	s_delay_alu instid0(VALU_DEP_2) | instskip(NEXT) | instid1(VALU_DEP_2)
	v_and_b32_e32 v3, 0x80000000, v3
	v_lshl_add_u32 v4, v5, 23, 0x37800000
	s_delay_alu instid0(VALU_DEP_3) | instskip(NEXT) | instid1(VALU_DEP_1)
	v_lshlrev_b32_e32 v2, 21, v2
	v_or3_b32 v2, v3, v4, v2
.LBB20_102:
	s_or_b32 exec_lo, exec_lo, s8
.LBB20_103:
	s_and_not1_saveexec_b32 s6, s6
	s_cbranch_execz .LBB20_105
; %bb.104:
	flat_load_u8 v2, v[0:1]
	s_wait_loadcnt_dscnt 0x0
	v_lshlrev_b32_e32 v2, 24, v2
	s_delay_alu instid0(VALU_DEP_1) | instskip(NEXT) | instid1(VALU_DEP_1)
	v_and_b32_e32 v3, 0x7f000000, v2
	v_clz_i32_u32_e32 v4, v3
	v_cmp_ne_u32_e32 vcc_lo, 0, v3
	v_add_nc_u32_e32 v6, 0x1000000, v3
	s_delay_alu instid0(VALU_DEP_3) | instskip(NEXT) | instid1(VALU_DEP_1)
	v_min_u32_e32 v4, 32, v4
	v_sub_nc_u32_e64 v4, v4, 4 clamp
	s_delay_alu instid0(VALU_DEP_1) | instskip(NEXT) | instid1(VALU_DEP_1)
	v_dual_lshlrev_b32 v5, v4, v3 :: v_dual_lshlrev_b32 v4, 23, v4
	v_lshrrev_b32_e32 v5, 4, v5
	s_delay_alu instid0(VALU_DEP_1) | instskip(NEXT) | instid1(VALU_DEP_1)
	v_dual_sub_nc_u32 v4, v5, v4 :: v_dual_ashrrev_i32 v5, 8, v6
	v_add_nc_u32_e32 v4, 0x3c000000, v4
	s_delay_alu instid0(VALU_DEP_1) | instskip(NEXT) | instid1(VALU_DEP_1)
	v_and_or_b32 v4, 0x7f800000, v5, v4
	v_cndmask_b32_e32 v3, 0, v4, vcc_lo
	s_delay_alu instid0(VALU_DEP_1)
	v_and_or_b32 v2, 0x80000000, v2, v3
.LBB20_105:
	s_wait_xcnt 0x0
	s_or_b32 exec_lo, exec_lo, s6
.LBB20_106:
	s_and_not1_saveexec_b32 s5, s5
	s_cbranch_execz .LBB20_108
; %bb.107:
	flat_load_u8 v2, v[0:1]
	s_wait_loadcnt_dscnt 0x0
	v_lshlrev_b32_e32 v3, 25, v2
	v_lshlrev_b16 v2, 8, v2
	s_delay_alu instid0(VALU_DEP_1) | instskip(SKIP_1) | instid1(VALU_DEP_2)
	v_and_or_b32 v5, 0x7f00, v2, 0.5
	v_bfe_i32 v2, v2, 0, 16
	v_dual_add_f32 v5, -0.5, v5 :: v_dual_lshrrev_b32 v4, 4, v3
	v_cmp_gt_u32_e32 vcc_lo, 0x8000000, v3
	s_delay_alu instid0(VALU_DEP_2) | instskip(NEXT) | instid1(VALU_DEP_1)
	v_or_b32_e32 v4, 0x70000000, v4
	v_mul_f32_e32 v4, 0x7800000, v4
	s_delay_alu instid0(VALU_DEP_1) | instskip(NEXT) | instid1(VALU_DEP_1)
	v_cndmask_b32_e32 v3, v4, v5, vcc_lo
	v_and_or_b32 v2, 0x80000000, v2, v3
.LBB20_108:
	s_wait_xcnt 0x0
	s_or_b32 exec_lo, exec_lo, s5
	s_delay_alu instid0(SALU_CYCLE_1)
	s_or_b32 s5, s3, exec_lo
                                        ; implicit-def: $vgpr3
.LBB20_109:
	s_or_saveexec_b32 s1, s1
	s_mov_b32 s6, 0
	s_mov_b32 s7, s4
	s_xor_b32 exec_lo, exec_lo, s1
	s_cbranch_execz .LBB20_117
; %bb.110:
	s_mov_b32 s6, s4
	s_mov_b32 s7, s5
	s_mov_b32 s8, exec_lo
                                        ; implicit-def: $vgpr2
	v_cmpx_lt_i16_e32 14, v3
	s_xor_b32 s8, exec_lo, s8
	s_cbranch_execz .LBB20_114
; %bb.111:
	s_mov_b32 s6, -1
	s_mov_b32 s7, s5
	s_mov_b32 s9, exec_lo
                                        ; implicit-def: $vgpr2
	v_cmpx_eq_u16_e32 15, v3
	s_cbranch_execz .LBB20_113
; %bb.112:
	flat_load_u16 v2, v[0:1]
	s_or_b32 s7, s5, exec_lo
	s_xor_b32 s6, exec_lo, -1
	s_wait_loadcnt_dscnt 0x0
	v_lshlrev_b32_e32 v2, 16, v2
.LBB20_113:
	s_wait_xcnt 0x0
	s_or_b32 exec_lo, exec_lo, s9
	s_delay_alu instid0(SALU_CYCLE_1)
	s_and_not1_b32 s9, s5, exec_lo
	s_and_b32 s7, s7, exec_lo
	s_and_not1_b32 s10, s4, exec_lo
	s_and_b32 s6, s6, exec_lo
	s_or_b32 s7, s9, s7
	s_or_b32 s6, s10, s6
                                        ; implicit-def: $vgpr3
.LBB20_114:
	s_or_saveexec_b32 s8, s8
	s_mov_b32 s9, 0
	s_xor_b32 exec_lo, exec_lo, s8
; %bb.115:
	v_cmp_ne_u16_e32 vcc_lo, 11, v3
	s_and_not1_b32 s6, s6, exec_lo
	s_mov_b32 s9, exec_lo
	s_and_b32 s10, vcc_lo, exec_lo
	s_delay_alu instid0(SALU_CYCLE_1)
	s_or_b32 s6, s6, s10
; %bb.116:
	s_or_b32 exec_lo, exec_lo, s8
	s_delay_alu instid0(SALU_CYCLE_1)
	s_and_not1_b32 s5, s5, exec_lo
	s_and_b32 s7, s7, exec_lo
	s_and_b32 s8, s6, exec_lo
	s_or_b32 s5, s5, s7
	s_and_not1_b32 s7, s4, exec_lo
	s_and_b32 s6, s9, exec_lo
	s_or_b32 s7, s7, s8
.LBB20_117:
	s_or_b32 exec_lo, exec_lo, s1
	s_delay_alu instid0(SALU_CYCLE_1)
	s_and_not1_b32 s1, s3, exec_lo
	s_and_b32 s3, s5, exec_lo
	s_and_not1_b32 s4, s4, exec_lo
	s_and_b32 s5, s7, exec_lo
	s_or_b32 s3, s1, s3
	s_and_b32 s1, s6, exec_lo
	s_or_b32 s4, s4, s5
	s_or_b32 exec_lo, exec_lo, s2
	s_and_saveexec_b32 s2, s4
	s_cbranch_execz .LBB20_36
.LBB20_118:
	s_trap 2
	; divergent unreachable
	s_and_not1_b32 s1, s1, exec_lo
	s_or_b32 exec_lo, exec_lo, s2
	s_and_saveexec_b32 s2, s1
	s_delay_alu instid0(SALU_CYCLE_1)
	s_xor_b32 s1, exec_lo, s2
	s_cbranch_execnz .LBB20_37
	s_branch .LBB20_38
.LBB20_119:
	s_or_saveexec_b32 s0, s5
	v_mul_f32_e64 v8, 0x3f22f983, |v0|
	s_xor_b32 exec_lo, exec_lo, s0
.LBB20_120:
	s_delay_alu instid0(VALU_DEP_1) | instskip(NEXT) | instid1(VALU_DEP_1)
	v_rndne_f32_e32 v4, v8
	v_fma_f32 v3, 0xbfc90fda, v4, |v0|
	s_delay_alu instid0(VALU_DEP_1) | instskip(NEXT) | instid1(VALU_DEP_1)
	v_fmamk_f32 v3, v4, 0xb3a22168, v3
	v_fmamk_f32 v3, v4, 0xa7c234c4, v3
	v_cvt_i32_f32_e32 v4, v4
; %bb.121:
	s_or_b32 exec_lo, exec_lo, s0
                                        ; implicit-def: $vgpr7
                                        ; implicit-def: $vgpr6
	s_and_saveexec_b32 s0, s2
	s_delay_alu instid0(SALU_CYCLE_1)
	s_xor_b32 s2, exec_lo, s0
	s_cbranch_execz .LBB20_123
; %bb.122:
	s_mov_b32 s0, 0x7fffff
	v_mov_b32_e32 v7, 0
	v_and_or_b32 v6, v1, s0, 0x800000
	s_mov_b64 s[0:1], 0xfe5163ab
	v_add_nc_u32_e32 v5, 0xffffff88, v5
	s_delay_alu instid0(VALU_DEP_2) | instskip(NEXT) | instid1(VALU_DEP_2)
	v_mul_u64_e32 v[8:9], s[0:1], v[6:7]
	v_cmp_lt_u32_e32 vcc_lo, 63, v5
	s_delay_alu instid0(VALU_DEP_2) | instskip(SKIP_2) | instid1(VALU_DEP_3)
	v_dual_mov_b32 v10, v9 :: v_dual_mov_b32 v11, v7
	v_dual_mov_b32 v13, v7 :: v_dual_mov_b32 v15, v7
	;; [unrolled: 1-line block ×3, first 2 shown]
	v_mad_nc_u64_u32 v[10:11], 0x3c439041, v6, v[10:11]
	v_cndmask_b32_e64 v9, 0, 0xffffffc0, vcc_lo
	s_delay_alu instid0(VALU_DEP_1) | instskip(NEXT) | instid1(VALU_DEP_3)
	v_dual_mov_b32 v21, v7 :: v_dual_add_nc_u32 v5, v9, v5
	v_mov_b32_e32 v12, v11
	s_delay_alu instid0(VALU_DEP_2) | instskip(NEXT) | instid1(VALU_DEP_2)
	v_cmp_lt_u32_e64 s0, 31, v5
	v_mad_nc_u64_u32 v[12:13], 0xdb629599, v6, v[12:13]
	s_delay_alu instid0(VALU_DEP_2) | instskip(NEXT) | instid1(VALU_DEP_1)
	v_cndmask_b32_e64 v9, 0, 0xffffffe0, s0
	v_add_nc_u32_e32 v5, v9, v5
	s_delay_alu instid0(VALU_DEP_3) | instskip(NEXT) | instid1(VALU_DEP_2)
	v_mov_b32_e32 v14, v13
	v_cmp_lt_u32_e64 s1, 31, v5
	v_cndmask_b32_e32 v8, v12, v8, vcc_lo
	s_delay_alu instid0(VALU_DEP_3) | instskip(NEXT) | instid1(VALU_DEP_3)
	v_mad_nc_u64_u32 v[14:15], 0xf534ddc0, v6, v[14:15]
	v_cndmask_b32_e64 v9, 0, 0xffffffe0, s1
	s_delay_alu instid0(VALU_DEP_1) | instskip(NEXT) | instid1(VALU_DEP_3)
	v_dual_add_nc_u32 v5, v9, v5 :: v_dual_cndmask_b32 v9, v14, v10, vcc_lo
	v_mov_b32_e32 v16, v15
	s_delay_alu instid0(VALU_DEP_1) | instskip(NEXT) | instid1(VALU_DEP_1)
	v_mad_nc_u64_u32 v[16:17], 0xfc2757d1, v6, v[16:17]
	v_dual_mov_b32 v18, v17 :: v_dual_cndmask_b32 v13, v16, v12
	s_delay_alu instid0(VALU_DEP_1) | instskip(NEXT) | instid1(VALU_DEP_1)
	v_mad_nc_u64_u32 v[18:19], 0x4e441529, v6, v[18:19]
	v_dual_mov_b32 v20, v19 :: v_dual_cndmask_b32 v11, v18, v14
	s_delay_alu instid0(VALU_DEP_1) | instskip(NEXT) | instid1(VALU_DEP_1)
	v_mad_nc_u64_u32 v[6:7], 0xa2f9836e, v6, v[20:21]
	v_dual_cndmask_b32 v6, v6, v16 :: v_dual_cndmask_b32 v7, v7, v18
	v_cmp_eq_u32_e32 vcc_lo, 0, v5
	s_delay_alu instid0(VALU_DEP_2) | instskip(SKIP_2) | instid1(VALU_DEP_3)
	v_dual_cndmask_b32 v10, v6, v11, s0 :: v_dual_cndmask_b32 v6, v7, v6, s0
	v_cndmask_b32_e64 v7, v11, v13, s0
	v_sub_nc_u32_e32 v11, 32, v5
	v_dual_cndmask_b32 v13, v13, v9, s0 :: v_dual_cndmask_b32 v6, v6, v10, s1
	s_delay_alu instid0(VALU_DEP_3) | instskip(NEXT) | instid1(VALU_DEP_1)
	v_cndmask_b32_e64 v10, v10, v7, s1
	v_alignbit_b32 v14, v6, v10, v11
	s_delay_alu instid0(VALU_DEP_1) | instskip(NEXT) | instid1(VALU_DEP_1)
	v_dual_cndmask_b32 v7, v7, v13, s1 :: v_dual_cndmask_b32 v5, v14, v6, vcc_lo
	v_alignbit_b32 v12, v10, v7, v11
	v_cndmask_b32_e64 v6, v9, v8, s0
	s_delay_alu instid0(VALU_DEP_3) | instskip(NEXT) | instid1(VALU_DEP_3)
	v_bfe_u32 v9, v5, 29, 1
	v_cndmask_b32_e32 v8, v12, v10, vcc_lo
	s_delay_alu instid0(VALU_DEP_2) | instskip(NEXT) | instid1(VALU_DEP_2)
	v_dual_cndmask_b32 v6, v13, v6, s1 :: v_dual_sub_nc_u32 v12, 0, v9
	v_alignbit_b32 v10, v5, v8, 30
	s_delay_alu instid0(VALU_DEP_2) | instskip(NEXT) | instid1(VALU_DEP_1)
	v_alignbit_b32 v11, v7, v6, v11
	v_dual_cndmask_b32 v7, v11, v7, vcc_lo :: v_dual_bitop2_b32 v10, v10, v12 bitop3:0x14
	s_delay_alu instid0(VALU_DEP_1) | instskip(NEXT) | instid1(VALU_DEP_2)
	v_clz_i32_u32_e32 v11, v10
	v_alignbit_b32 v8, v8, v7, 30
	v_alignbit_b32 v6, v7, v6, 30
	s_delay_alu instid0(VALU_DEP_3) | instskip(NEXT) | instid1(VALU_DEP_3)
	v_min_u32_e32 v11, 32, v11
	v_xor_b32_e32 v7, v8, v12
	s_delay_alu instid0(VALU_DEP_3) | instskip(NEXT) | instid1(VALU_DEP_3)
	v_dual_lshrrev_b32 v12, 29, v5 :: v_dual_bitop2_b32 v6, v6, v12 bitop3:0x14
	v_dual_lshrrev_b32 v5, 30, v5 :: v_dual_sub_nc_u32 v8, 31, v11
	v_lshlrev_b32_e32 v13, 23, v11
	s_delay_alu instid0(VALU_DEP_2) | instskip(NEXT) | instid1(VALU_DEP_4)
	v_alignbit_b32 v10, v10, v7, v8
	v_alignbit_b32 v6, v7, v6, v8
	v_lshlrev_b32_e32 v7, 31, v12
	s_delay_alu instid0(VALU_DEP_2) | instskip(NEXT) | instid1(VALU_DEP_2)
	v_alignbit_b32 v8, v10, v6, 9
	v_dual_lshrrev_b32 v10, 9, v10 :: v_dual_bitop2_b32 v12, 0.5, v7 bitop3:0x54
	v_or_b32_e32 v7, 0x33000000, v7
	s_delay_alu instid0(VALU_DEP_3) | instskip(NEXT) | instid1(VALU_DEP_3)
	v_clz_i32_u32_e32 v14, v8
	v_sub_nc_u32_e32 v12, v12, v13
	s_delay_alu instid0(VALU_DEP_2) | instskip(NEXT) | instid1(VALU_DEP_1)
	v_min_u32_e32 v13, 32, v14
	v_add_lshl_u32 v11, v13, v11, 23
	s_delay_alu instid0(VALU_DEP_1) | instskip(SKIP_1) | instid1(VALU_DEP_1)
	v_dual_sub_nc_u32 v7, v7, v11 :: v_dual_bitop2_b32 v10, v10, v12 bitop3:0x54
	v_not_b32_e32 v12, v13
	v_alignbit_b32 v6, v8, v6, v12
	s_delay_alu instid0(VALU_DEP_1) | instskip(NEXT) | instid1(VALU_DEP_4)
	v_lshrrev_b32_e32 v6, 9, v6
	v_mul_f32_e32 v14, 0x3fc90fda, v10
	s_delay_alu instid0(VALU_DEP_2) | instskip(NEXT) | instid1(VALU_DEP_2)
	v_or_b32_e32 v6, v7, v6
	v_fma_f32 v8, 0x3fc90fda, v10, -v14
	s_delay_alu instid0(VALU_DEP_1) | instskip(NEXT) | instid1(VALU_DEP_1)
	v_dual_fmamk_f32 v8, v10, 0x33a22168, v8 :: v_dual_add_nc_u32 v7, v9, v5
	v_fmac_f32_e32 v8, 0x3fc90fda, v6
	s_delay_alu instid0(VALU_DEP_1)
	v_add_f32_e32 v6, v14, v8
                                        ; implicit-def: $vgpr8
	s_and_not1_saveexec_b32 s0, s2
	s_cbranch_execnz .LBB20_124
	s_branch .LBB20_125
.LBB20_123:
	s_and_not1_saveexec_b32 s0, s2
.LBB20_124:
	v_rndne_f32_e32 v5, v8
	s_delay_alu instid0(VALU_DEP_1) | instskip(SKIP_1) | instid1(VALU_DEP_2)
	v_fma_f32 v6, 0xbfc90fda, v5, |v0|
	v_cvt_i32_f32_e32 v7, v5
	v_fmamk_f32 v6, v5, 0xb3a22168, v6
	s_delay_alu instid0(VALU_DEP_1)
	v_fmamk_f32 v6, v5, 0xa7c234c4, v6
.LBB20_125:
	s_or_b32 exec_lo, exec_lo, s0
	v_div_scale_f32 v5, null, v2, v2, 0x40a00000
	v_div_scale_f32 v10, vcc_lo, 0x40a00000, v2, 0x40a00000
	s_mov_b32 s0, 0xb94c1982
	v_rcp_f32_e32 v8, v5
	v_mul_f32_e32 v17, 0x4f800000, v2
	s_mov_b32 s1, 0x37d75334
	v_xor_b32_e32 v1, v1, v0
	s_delay_alu instid0(TRANS32_DEP_1) | instskip(NEXT) | instid1(VALU_DEP_1)
	v_fma_f32 v9, -v5, v8, 1.0
	v_fmac_f32_e32 v8, v9, v8
	s_delay_alu instid0(VALU_DEP_1) | instskip(NEXT) | instid1(VALU_DEP_1)
	v_mul_f32_e32 v9, v10, v8
	v_fma_f32 v11, -v5, v9, v10
	s_delay_alu instid0(VALU_DEP_1) | instskip(NEXT) | instid1(VALU_DEP_1)
	v_dual_fmac_f32 v9, v11, v8 :: v_dual_mul_f32 v11, v6, v6
	v_fma_f32 v5, -v5, v9, v10
	s_delay_alu instid0(VALU_DEP_2) | instskip(NEXT) | instid1(VALU_DEP_2)
	v_fmaak_f32 v20, s0, v11, 0x3c0881c4
	v_div_fmas_f32 v5, v5, v8, v9
	v_mul_f32_e32 v8, v3, v3
	s_delay_alu instid0(VALU_DEP_3) | instskip(SKIP_1) | instid1(VALU_DEP_4)
	v_fmaak_f32 v20, v11, v20, 0xbe2aaa9d
	v_dual_lshlrev_b32 v4, 30, v4 :: v_dual_bitop2_b32 v9, 1, v4 bitop3:0x40
	v_div_fixup_f32 v5, v5, v2, 0x40a00000
	s_delay_alu instid0(VALU_DEP_4)
	v_fmaak_f32 v18, s0, v8, 0x3c0881c4
	v_cmp_gt_f32_e64 s0, 0xf800000, v2
	v_and_b32_e32 v12, 1, v7
	v_cmp_eq_u32_e64 s2, 0, v9
	v_mul_f32_e32 v10, v5, v5
	v_fmaak_f32 v18, v8, v18, 0xbe2aaa9d
	v_dual_cndmask_b32 v2, v2, v17, s0 :: v_dual_lshlrev_b32 v7, 30, v7
	v_and_b32_e32 v4, 0x80000000, v4
	s_delay_alu instid0(VALU_DEP_4) | instskip(NEXT) | instid1(VALU_DEP_3)
	v_dual_fmaak_f32 v13, 0, v10, 0x3d513fd3 :: v_dual_mul_f32 v20, v11, v20
	v_sqrt_f32_e32 v24, v2
	v_fmaak_f32 v14, 0, v10, 0x3a15c4d9
	v_fmaak_f32 v16, 0, v10, 0x3a47c962
	s_delay_alu instid0(VALU_DEP_3)
	v_dual_fmaak_f32 v13, v10, v13, 0x409f6dae :: v_dual_mul_f32 v18, v8, v18
	v_fmaak_f32 v15, 0, v10, 0x42947983
	s_delay_alu instid0(TRANS32_DEP_1) | instid1(VALU_DEP_4)
	v_dual_fmaak_f32 v14, v10, v14, 0x3d8cfeeb :: v_dual_add_nc_u32 v29, 1, v24
	s_delay_alu instid0(VALU_DEP_3) | instskip(NEXT) | instid1(VALU_DEP_3)
	v_dual_fmaak_f32 v16, v10, v16, 0x3d95ca45 :: v_dual_fmac_f32 v3, v3, v18
	v_fmaak_f32 v15, v10, v15, 0x44840e5d
	s_delay_alu instid0(VALU_DEP_3) | instskip(SKIP_1) | instid1(VALU_DEP_4)
	v_fmaak_f32 v14, v10, v14, 0x3f8d754e
	v_dual_fmaak_f32 v21, s1, v11, 0xbab64f3b :: v_dual_fmac_f32 v6, v6, v20
	v_fmaak_f32 v16, v10, v16, 0x3f9047f6
	s_delay_alu instid0(VALU_DEP_4) | instskip(NEXT) | instid1(VALU_DEP_4)
	v_fmaak_f32 v15, v10, v15, 0x459bd349
	v_fmaak_f32 v14, v10, v14, 0x40a25d18
	s_delay_alu instid0(VALU_DEP_4) | instskip(NEXT) | instid1(VALU_DEP_4)
	v_fmaak_f32 v21, v11, v21, 0x3d2aabf7
	;; [unrolled: 3-line block ×5, first 2 shown]
	v_fmaak_f32 v14, v10, v14, 0x40a6b6ea
	s_delay_alu instid0(VALU_DEP_4) | instskip(NEXT) | instid1(VALU_DEP_4)
	v_fma_f32 v11, v11, v21, 1.0
	v_fmaak_f32 v16, v10, v16, 0x40a6dd51
	s_delay_alu instid0(VALU_DEP_4) | instskip(NEXT) | instid1(VALU_DEP_4)
	v_fmaak_f32 v15, v10, v15, 0x4530a316
	v_fma_f32 v14, v10, v14, 1.0
	s_delay_alu instid0(VALU_DEP_3) | instskip(NEXT) | instid1(VALU_DEP_3)
	v_fma_f32 v16, v10, v16, 1.0
	v_fmaak_f32 v15, v10, v15, 0x43a80bfb
	s_delay_alu instid0(VALU_DEP_2) | instskip(SKIP_1) | instid1(VALU_DEP_1)
	v_div_scale_f32 v27, vcc_lo, v16, v14, v16
	v_fmaak_f32 v13, v10, v13, 0x4297a5cd
	v_fmaak_f32 v13, v10, v13, 0x43b763ca
	s_delay_alu instid0(VALU_DEP_1) | instskip(NEXT) | instid1(VALU_DEP_1)
	v_fmaak_f32 v13, v10, v13, 0x4431b6ce
	v_fmaak_f32 v13, v10, v13, 0x44155f56
	s_delay_alu instid0(VALU_DEP_1) | instskip(NEXT) | instid1(VALU_DEP_1)
	v_fmaak_f32 v13, v10, v13, 0x4353b052
	v_fmaak_f32 v10, v10, v13, 0x41c9a7fa
	v_div_scale_f32 v13, null, v14, v14, v16
	s_delay_alu instid0(VALU_DEP_2) | instskip(NEXT) | instid1(VALU_DEP_2)
	v_div_scale_f32 v17, null, v15, v15, v10
	v_rcp_f32_e32 v22, v13
	s_delay_alu instid0(VALU_DEP_1) | instskip(NEXT) | instid1(TRANS32_DEP_2)
	v_rcp_f32_e32 v23, v17
	v_fma_f32 v25, -v13, v22, 1.0
	s_delay_alu instid0(TRANS32_DEP_1) | instskip(NEXT) | instid1(VALU_DEP_1)
	v_fma_f32 v26, -v17, v23, 1.0
	v_dual_fmac_f32 v22, v25, v22 :: v_dual_fmac_f32 v23, v26, v23
	s_delay_alu instid0(VALU_DEP_1) | instskip(NEXT) | instid1(VALU_DEP_1)
	v_dual_add_nc_u32 v26, -1, v24 :: v_dual_mul_f32 v28, v27, v22
	v_fma_f32 v20, -v26, v24, v2
	s_delay_alu instid0(VALU_DEP_2) | instskip(SKIP_2) | instid1(VALU_DEP_2)
	v_fma_f32 v18, -v13, v28, v27
	v_fmaak_f32 v19, s1, v8, 0xbab64f3b
	v_div_scale_f32 v25, s1, v10, v15, v10
	v_dual_fmac_f32 v28, v18, v22 :: v_dual_fmaak_f32 v19, v8, v19, 0x3d2aabf7
	s_delay_alu instid0(VALU_DEP_2) | instskip(NEXT) | instid1(VALU_DEP_2)
	v_mul_f32_e32 v30, v25, v23
	v_fmaak_f32 v19, v8, v19, 0xbf000004
	s_delay_alu instid0(VALU_DEP_1) | instskip(NEXT) | instid1(VALU_DEP_1)
	v_fma_f32 v8, v8, v19, 1.0
	v_dual_fma_f32 v19, -v17, v30, v25 :: v_dual_cndmask_b32 v3, v8, v3, s2
	s_delay_alu instid0(VALU_DEP_1) | instskip(SKIP_2) | instid1(VALU_DEP_4)
	v_dual_fmac_f32 v30, v19, v23 :: v_dual_fma_f32 v8, -v13, v28, v27
	v_cmp_eq_u32_e64 s2, 0, v12
	v_fma_f32 v18, -v29, v24, v2
	v_xor3_b32 v1, v1, v4, v3
	s_delay_alu instid0(VALU_DEP_4)
	v_fma_f32 v9, -v17, v30, v25
	v_div_fmas_f32 v8, v8, v22, v28
	s_mov_b32 vcc_lo, s1
	v_cndmask_b32_e64 v6, -v6, v11, s2
	v_cmp_lt_f32_e64 s1, 0, v18
	v_div_fmas_f32 v9, v9, v23, v30
	v_cmp_ge_f32_e32 vcc_lo, 0, v20
	s_delay_alu instid0(VALU_DEP_2) | instskip(SKIP_4) | instid1(VALU_DEP_4)
	v_div_fixup_f32 v3, v9, v15, v10
	v_cndmask_b32_e32 v11, v24, v26, vcc_lo
	v_cmp_class_f32_e64 vcc_lo, v0, 0x1f8
	v_bitop3_b32 v0, v7, v6, 0x80000000 bitop3:0x6c
	v_div_fixup_f32 v6, v8, v14, v16
	v_dual_mul_f32 v3, v5, v3 :: v_dual_cndmask_b32 v4, v11, v29, s1
	v_cndmask_b32_e32 v1, 0x7fc00000, v1, vcc_lo
	s_delay_alu instid0(VALU_DEP_4) | instskip(SKIP_1) | instid1(VALU_DEP_4)
	v_cndmask_b32_e32 v0, 0x7fc00000, v0, vcc_lo
	v_cmp_class_f32_e64 vcc_lo, v2, 0x260
	v_mul_f32_e32 v5, 0x37800000, v4
	s_delay_alu instid0(VALU_DEP_1) | instskip(NEXT) | instid1(VALU_DEP_1)
	v_dual_mul_f32 v0, v3, v0 :: v_dual_cndmask_b32 v3, v4, v5, s0
	v_dual_fmac_f32 v0, v6, v1 :: v_dual_cndmask_b32 v1, v3, v2
	s_delay_alu instid0(VALU_DEP_1) | instskip(NEXT) | instid1(VALU_DEP_1)
	v_mul_f32_e32 v0, 0x3f4c422a, v0
	v_div_scale_f32 v2, null, v1, v1, v0
	s_delay_alu instid0(VALU_DEP_1) | instskip(SKIP_1) | instid1(TRANS32_DEP_1)
	v_rcp_f32_e32 v3, v2
	v_nop
	v_fma_f32 v4, -v2, v3, 1.0
	s_delay_alu instid0(VALU_DEP_1) | instskip(SKIP_1) | instid1(VALU_DEP_1)
	v_fmac_f32_e32 v3, v4, v3
	v_div_scale_f32 v4, vcc_lo, v0, v1, v0
	v_mul_f32_e32 v5, v4, v3
	s_delay_alu instid0(VALU_DEP_1) | instskip(NEXT) | instid1(VALU_DEP_1)
	v_fma_f32 v6, -v2, v5, v4
	v_fmac_f32_e32 v5, v6, v3
	s_delay_alu instid0(VALU_DEP_1) | instskip(NEXT) | instid1(VALU_DEP_1)
	v_fma_f32 v2, -v2, v5, v4
	v_div_fmas_f32 v2, v2, v3, v5
	s_delay_alu instid0(VALU_DEP_1)
	v_div_fixup_f32 v0, v2, v1, v0
.LBB20_126:
	s_or_b32 exec_lo, exec_lo, s4
	s_delay_alu instid0(SALU_CYCLE_1)
	s_or_b32 exec_lo, exec_lo, s3
	s_set_pc_i64 s[30:31]
.LBB20_127:
	s_or_saveexec_b32 s8, s8
	v_mov_b32_e32 v2, 0x7f800001
	s_xor_b32 exec_lo, exec_lo, s8
	s_cbranch_execz .LBB20_30
.LBB20_128:
	v_cmp_ne_u16_e32 vcc_lo, 0, v3
	v_mov_b32_e32 v2, 0
	s_and_not1_b32 s7, s7, exec_lo
	s_and_b32 s9, vcc_lo, exec_lo
	s_delay_alu instid0(SALU_CYCLE_1)
	s_or_b32 s7, s7, s9
	s_or_b32 exec_lo, exec_lo, s8
	s_and_saveexec_b32 s8, s7
	s_cbranch_execnz .LBB20_31
	s_branch .LBB20_32
.LBB20_129:
	s_or_saveexec_b32 s8, s8
	v_mov_b32_e32 v2, 0x7f800001
	s_xor_b32 exec_lo, exec_lo, s8
	s_cbranch_execz .LBB20_100
.LBB20_130:
	v_cmp_ne_u16_e32 vcc_lo, 0, v3
	v_mov_b32_e32 v2, 0
	s_and_not1_b32 s7, s7, exec_lo
	s_and_b32 s9, vcc_lo, exec_lo
	s_delay_alu instid0(SALU_CYCLE_1)
	s_or_b32 s7, s7, s9
	s_or_b32 exec_lo, exec_lo, s8
	s_and_saveexec_b32 s8, s7
	s_cbranch_execnz .LBB20_101
	s_branch .LBB20_102
.Lfunc_end20:
	.size	_ZN2at6native6invokeIZZZNS0_12_GLOBAL__N_121bessel_y1_kernel_cudaERNS_18TensorIteratorBaseEENKUlvE_clEvENKUlvE0_clEvEUlfE_i15function_traitsIS7_EEENT1_11result_typeERKT_PrKPcPKT0_PKN3c1010ScalarTypeEi, .Lfunc_end20-_ZN2at6native6invokeIZZZNS0_12_GLOBAL__N_121bessel_y1_kernel_cudaERNS_18TensorIteratorBaseEENKUlvE_clEvENKUlvE0_clEvEUlfE_i15function_traitsIS7_EEENT1_11result_typeERKT_PrKPcPKT0_PKN3c1010ScalarTypeEi
                                        ; -- End function
	.set .L_ZN2at6native6invokeIZZZNS0_12_GLOBAL__N_121bessel_y1_kernel_cudaERNS_18TensorIteratorBaseEENKUlvE_clEvENKUlvE0_clEvEUlfE_i15function_traitsIS7_EEENT1_11result_typeERKT_PrKPcPKT0_PKN3c1010ScalarTypeEi.num_vgpr, 31
	.set .L_ZN2at6native6invokeIZZZNS0_12_GLOBAL__N_121bessel_y1_kernel_cudaERNS_18TensorIteratorBaseEENKUlvE_clEvENKUlvE0_clEvEUlfE_i15function_traitsIS7_EEENT1_11result_typeERKT_PrKPcPKT0_PKN3c1010ScalarTypeEi.num_agpr, 0
	.set .L_ZN2at6native6invokeIZZZNS0_12_GLOBAL__N_121bessel_y1_kernel_cudaERNS_18TensorIteratorBaseEENKUlvE_clEvENKUlvE0_clEvEUlfE_i15function_traitsIS7_EEENT1_11result_typeERKT_PrKPcPKT0_PKN3c1010ScalarTypeEi.numbered_sgpr, 32
	.set .L_ZN2at6native6invokeIZZZNS0_12_GLOBAL__N_121bessel_y1_kernel_cudaERNS_18TensorIteratorBaseEENKUlvE_clEvENKUlvE0_clEvEUlfE_i15function_traitsIS7_EEENT1_11result_typeERKT_PrKPcPKT0_PKN3c1010ScalarTypeEi.num_named_barrier, 0
	.set .L_ZN2at6native6invokeIZZZNS0_12_GLOBAL__N_121bessel_y1_kernel_cudaERNS_18TensorIteratorBaseEENKUlvE_clEvENKUlvE0_clEvEUlfE_i15function_traitsIS7_EEENT1_11result_typeERKT_PrKPcPKT0_PKN3c1010ScalarTypeEi.private_seg_size, 0
	.set .L_ZN2at6native6invokeIZZZNS0_12_GLOBAL__N_121bessel_y1_kernel_cudaERNS_18TensorIteratorBaseEENKUlvE_clEvENKUlvE0_clEvEUlfE_i15function_traitsIS7_EEENT1_11result_typeERKT_PrKPcPKT0_PKN3c1010ScalarTypeEi.uses_vcc, 1
	.set .L_ZN2at6native6invokeIZZZNS0_12_GLOBAL__N_121bessel_y1_kernel_cudaERNS_18TensorIteratorBaseEENKUlvE_clEvENKUlvE0_clEvEUlfE_i15function_traitsIS7_EEENT1_11result_typeERKT_PrKPcPKT0_PKN3c1010ScalarTypeEi.uses_flat_scratch, 0
	.set .L_ZN2at6native6invokeIZZZNS0_12_GLOBAL__N_121bessel_y1_kernel_cudaERNS_18TensorIteratorBaseEENKUlvE_clEvENKUlvE0_clEvEUlfE_i15function_traitsIS7_EEENT1_11result_typeERKT_PrKPcPKT0_PKN3c1010ScalarTypeEi.has_dyn_sized_stack, 0
	.set .L_ZN2at6native6invokeIZZZNS0_12_GLOBAL__N_121bessel_y1_kernel_cudaERNS_18TensorIteratorBaseEENKUlvE_clEvENKUlvE0_clEvEUlfE_i15function_traitsIS7_EEENT1_11result_typeERKT_PrKPcPKT0_PKN3c1010ScalarTypeEi.has_recursion, 0
	.set .L_ZN2at6native6invokeIZZZNS0_12_GLOBAL__N_121bessel_y1_kernel_cudaERNS_18TensorIteratorBaseEENKUlvE_clEvENKUlvE0_clEvEUlfE_i15function_traitsIS7_EEENT1_11result_typeERKT_PrKPcPKT0_PKN3c1010ScalarTypeEi.has_indirect_call, 0
	.section	.AMDGPU.csdata,"",@progbits
; Function info:
; codeLenInByte = 6168
; TotalNumSgprs: 34
; NumVgprs: 31
; ScratchSize: 0
; MemoryBound: 1
	.section	.text._ZN2at6native32elementwise_kernel_manual_unrollILi128ELi4EZNS0_15gpu_kernel_implIZZZNS0_12_GLOBAL__N_121bessel_y1_kernel_cudaERNS_18TensorIteratorBaseEENKUlvE_clEvENKUlvE0_clEvEUlfE_EEvS5_RKT_EUlibE_EEviT1_,"axG",@progbits,_ZN2at6native32elementwise_kernel_manual_unrollILi128ELi4EZNS0_15gpu_kernel_implIZZZNS0_12_GLOBAL__N_121bessel_y1_kernel_cudaERNS_18TensorIteratorBaseEENKUlvE_clEvENKUlvE0_clEvEUlfE_EEvS5_RKT_EUlibE_EEviT1_,comdat
	.globl	_ZN2at6native32elementwise_kernel_manual_unrollILi128ELi4EZNS0_15gpu_kernel_implIZZZNS0_12_GLOBAL__N_121bessel_y1_kernel_cudaERNS_18TensorIteratorBaseEENKUlvE_clEvENKUlvE0_clEvEUlfE_EEvS5_RKT_EUlibE_EEviT1_ ; -- Begin function _ZN2at6native32elementwise_kernel_manual_unrollILi128ELi4EZNS0_15gpu_kernel_implIZZZNS0_12_GLOBAL__N_121bessel_y1_kernel_cudaERNS_18TensorIteratorBaseEENKUlvE_clEvENKUlvE0_clEvEUlfE_EEvS5_RKT_EUlibE_EEviT1_
	.p2align	8
	.type	_ZN2at6native32elementwise_kernel_manual_unrollILi128ELi4EZNS0_15gpu_kernel_implIZZZNS0_12_GLOBAL__N_121bessel_y1_kernel_cudaERNS_18TensorIteratorBaseEENKUlvE_clEvENKUlvE0_clEvEUlfE_EEvS5_RKT_EUlibE_EEviT1_,@function
_ZN2at6native32elementwise_kernel_manual_unrollILi128ELi4EZNS0_15gpu_kernel_implIZZZNS0_12_GLOBAL__N_121bessel_y1_kernel_cudaERNS_18TensorIteratorBaseEENKUlvE_clEvENKUlvE0_clEvEUlfE_EEvS5_RKT_EUlibE_EEviT1_: ; @_ZN2at6native32elementwise_kernel_manual_unrollILi128ELi4EZNS0_15gpu_kernel_implIZZZNS0_12_GLOBAL__N_121bessel_y1_kernel_cudaERNS_18TensorIteratorBaseEENKUlvE_clEvENKUlvE0_clEvEUlfE_EEvS5_RKT_EUlibE_EEviT1_
; %bb.0:
	v_mov_b32_e32 v1, 0
	s_bfe_u32 s3, ttmp6, 0x4000c
	s_clause 0x2
	s_load_b64 s[16:17], s[0:1], 0x18
	s_load_b32 s21, s[0:1], 0x0
	s_load_b128 s[12:15], s[0:1], 0x8
	global_load_u16 v1, v1, s[0:1] offset:33
	s_add_co_i32 s3, s3, 1
	s_and_b32 s2, ttmp6, 15
	s_mul_i32 s3, ttmp9, s3
	s_getreg_b32 s4, hwreg(HW_REG_IB_STS2, 6, 4)
	s_add_co_i32 s2, s2, s3
	s_cmp_eq_u32 s4, 0
	s_mov_b32 s18, 0
	s_wait_xcnt 0x0
	s_cselect_b32 s0, ttmp9, s2
	s_mov_b32 s20, 0
	v_lshl_or_b32 v31, s0, 9, v0
	s_mov_b32 s32, 0
	s_mov_b32 s0, exec_lo
	s_delay_alu instid0(VALU_DEP_1) | instskip(SKIP_3) | instid1(VALU_DEP_2)
	v_or_b32_e32 v35, 0x180, v31
	s_wait_loadcnt 0x0
	v_and_b32_e32 v0, 0xffff, v1
	v_readfirstlane_b32 s11, v1
	v_lshrrev_b32_e32 v33, 8, v0
	s_wait_kmcnt 0x0
	v_cmpx_le_i32_e64 s21, v35
	s_xor_b32 s19, exec_lo, s0
	s_cbranch_execz .LBB21_512
; %bb.1:
	s_mov_b32 s0, -1
	s_mov_b32 s23, 0
	s_mov_b32 s22, exec_lo
	v_cmpx_gt_i32_e64 s21, v31
	s_cbranch_execz .LBB21_124
; %bb.2:
	v_dual_mov_b32 v0, s14 :: v_dual_mov_b32 v1, s15
	v_dual_mov_b32 v2, s17 :: v_dual_mov_b32 v3, v33
	v_mov_b32_e32 v4, v31
	s_get_pc_i64 s[0:1]
	s_add_nc_u64 s[0:1], s[0:1], _ZN2at6native6invokeIZZZNS0_12_GLOBAL__N_121bessel_y1_kernel_cudaERNS_18TensorIteratorBaseEENKUlvE_clEvENKUlvE0_clEvEUlfE_i15function_traitsIS7_EEENT1_11result_typeERKT_PrKPcPKT0_PKN3c1010ScalarTypeEi@rel64+4
	s_delay_alu instid0(SALU_CYCLE_1) | instskip(SKIP_2) | instid1(SALU_CYCLE_1)
	s_swap_pc_i64 s[30:31], s[0:1]
	v_mul_lo_u32 v2, v31, s16
	s_and_b32 s1, s11, 0xff
	s_cmp_lt_i32 s1, 11
	s_delay_alu instid0(VALU_DEP_1) | instskip(NEXT) | instid1(VALU_DEP_1)
	v_ashrrev_i32_e32 v3, 31, v2
	v_add_nc_u64_e32 v[2:3], s[12:13], v[2:3]
	s_cbranch_scc1 .LBB21_9
; %bb.3:
	s_and_b32 s2, 0xffff, s1
	s_delay_alu instid0(SALU_CYCLE_1)
	s_cmp_gt_i32 s2, 25
	s_cbranch_scc0 .LBB21_12
; %bb.4:
	s_cmp_gt_i32 s2, 28
	s_cbranch_scc0 .LBB21_13
; %bb.5:
	;; [unrolled: 3-line block ×4, first 2 shown]
	s_mov_b32 s4, 0
	s_mov_b32 s0, -1
	s_cmp_eq_u32 s2, 46
	s_mov_b32 s3, 0
	s_cbranch_scc0 .LBB21_16
; %bb.8:
	v_bfe_u32 v1, v0, 16, 1
	v_cmp_o_f32_e32 vcc_lo, v0, v0
	s_mov_b32 s3, -1
	s_mov_b32 s0, 0
	s_delay_alu instid0(VALU_DEP_2) | instskip(NEXT) | instid1(VALU_DEP_1)
	v_add3_u32 v1, v0, v1, 0x7fff
	v_lshrrev_b32_e32 v1, 16, v1
	s_delay_alu instid0(VALU_DEP_1)
	v_cndmask_b32_e32 v1, 0x7fc0, v1, vcc_lo
	global_store_b32 v[2:3], v1, off
	s_branch .LBB21_16
.LBB21_9:
	s_mov_b32 s0, 0
	s_mov_b32 s3, 0
	s_cbranch_execnz .LBB21_84
.LBB21_10:
	s_and_not1_b32 vcc_lo, exec_lo, s3
	s_cbranch_vccnz .LBB21_122
.LBB21_11:
	v_add_nc_u32_e32 v31, 0x80, v31
	s_mov_b32 s1, -1
	s_branch .LBB21_123
.LBB21_12:
	s_mov_b32 s0, 0
	s_mov_b32 s3, 0
	s_cbranch_execnz .LBB21_43
	s_branch .LBB21_83
.LBB21_13:
	s_mov_b32 s4, -1
	s_mov_b32 s0, 0
	s_mov_b32 s3, 0
	s_branch .LBB21_26
.LBB21_14:
	s_mov_b32 s4, -1
	s_mov_b32 s0, 0
	s_mov_b32 s3, 0
	s_branch .LBB21_22
.LBB21_15:
	s_mov_b32 s4, -1
	s_mov_b32 s0, 0
	s_mov_b32 s3, 0
.LBB21_16:
	s_and_b32 vcc_lo, exec_lo, s4
	s_cbranch_vccz .LBB21_21
; %bb.17:
	s_cmp_eq_u32 s2, 44
	s_mov_b32 s0, -1
	s_cbranch_scc0 .LBB21_21
; %bb.18:
	v_bfe_u32 v4, v0, 23, 8
	s_wait_xcnt 0x0
	v_mov_b32_e32 v1, 0xff
	s_mov_b32 s3, exec_lo
	s_delay_alu instid0(VALU_DEP_2)
	v_cmpx_ne_u32_e32 0xff, v4
	s_cbranch_execz .LBB21_20
; %bb.19:
	v_and_b32_e32 v1, 0x400000, v0
	v_and_or_b32 v4, 0x3fffff, v0, v4
	s_delay_alu instid0(VALU_DEP_2) | instskip(NEXT) | instid1(VALU_DEP_2)
	v_cmp_ne_u32_e32 vcc_lo, 0, v1
	v_cmp_ne_u32_e64 s0, 0, v4
	v_lshrrev_b32_e32 v1, 23, v0
	s_and_b32 s0, vcc_lo, s0
	s_delay_alu instid0(SALU_CYCLE_1) | instskip(NEXT) | instid1(VALU_DEP_1)
	v_cndmask_b32_e64 v4, 0, 1, s0
	v_add_nc_u32_e32 v1, v1, v4
.LBB21_20:
	s_or_b32 exec_lo, exec_lo, s3
	s_mov_b32 s3, -1
	s_mov_b32 s0, 0
	global_store_b8 v[2:3], v1, off
.LBB21_21:
	s_mov_b32 s4, 0
.LBB21_22:
	s_delay_alu instid0(SALU_CYCLE_1)
	s_and_b32 vcc_lo, exec_lo, s4
	s_cbranch_vccz .LBB21_25
; %bb.23:
	s_cmp_eq_u32 s2, 29
	s_mov_b32 s0, -1
	s_cbranch_scc0 .LBB21_25
; %bb.24:
	s_wait_xcnt 0x0
	v_trunc_f32_e32 v1, v0
	s_mov_b32 s3, -1
	s_mov_b32 s0, 0
	s_mov_b32 s4, 0
	s_delay_alu instid0(VALU_DEP_1) | instskip(NEXT) | instid1(VALU_DEP_1)
	v_mul_f32_e32 v4, 0x2f800000, v1
	v_floor_f32_e32 v4, v4
	s_delay_alu instid0(VALU_DEP_1) | instskip(SKIP_1) | instid1(VALU_DEP_2)
	v_fmamk_f32 v1, v4, 0xcf800000, v1
	v_cvt_u32_f32_e32 v5, v4
	v_cvt_u32_f32_e32 v4, v1
	global_store_b64 v[2:3], v[4:5], off
	s_branch .LBB21_26
.LBB21_25:
	s_mov_b32 s4, 0
.LBB21_26:
	s_delay_alu instid0(SALU_CYCLE_1)
	s_and_b32 vcc_lo, exec_lo, s4
	s_cbranch_vccz .LBB21_42
; %bb.27:
	s_cmp_lt_i32 s2, 27
	s_mov_b32 s3, -1
	s_cbranch_scc1 .LBB21_33
; %bb.28:
	s_wait_xcnt 0x0
	v_cvt_u32_f32_e32 v1, v0
	s_cmp_gt_i32 s2, 27
	s_cbranch_scc0 .LBB21_30
; %bb.29:
	s_mov_b32 s3, 0
	global_store_b32 v[2:3], v1, off
.LBB21_30:
	s_and_not1_b32 vcc_lo, exec_lo, s3
	s_cbranch_vccnz .LBB21_32
; %bb.31:
	global_store_b16 v[2:3], v1, off
.LBB21_32:
	s_mov_b32 s3, 0
.LBB21_33:
	s_delay_alu instid0(SALU_CYCLE_1)
	s_and_not1_b32 vcc_lo, exec_lo, s3
	s_cbranch_vccnz .LBB21_41
; %bb.34:
	s_wait_xcnt 0x0
	v_and_b32_e32 v1, 0x7fffffff, v0
	v_mov_b32_e32 v4, 0x80
	s_mov_b32 s3, exec_lo
	s_delay_alu instid0(VALU_DEP_2)
	v_cmpx_gt_u32_e32 0x43800000, v1
	s_cbranch_execz .LBB21_40
; %bb.35:
	v_cmp_lt_u32_e32 vcc_lo, 0x3bffffff, v1
	s_mov_b32 s4, 0
                                        ; implicit-def: $vgpr1
	s_and_saveexec_b32 s5, vcc_lo
	s_delay_alu instid0(SALU_CYCLE_1)
	s_xor_b32 s5, exec_lo, s5
	s_cbranch_execz .LBB21_141
; %bb.36:
	v_bfe_u32 v1, v0, 20, 1
	s_mov_b32 s4, exec_lo
	s_delay_alu instid0(VALU_DEP_1) | instskip(NEXT) | instid1(VALU_DEP_1)
	v_add3_u32 v1, v0, v1, 0x487ffff
	v_lshrrev_b32_e32 v1, 20, v1
	s_and_not1_saveexec_b32 s5, s5
	s_cbranch_execnz .LBB21_142
.LBB21_37:
	s_or_b32 exec_lo, exec_lo, s5
	v_mov_b32_e32 v4, 0
	s_and_saveexec_b32 s5, s4
.LBB21_38:
	v_lshrrev_b32_e32 v4, 24, v0
	s_delay_alu instid0(VALU_DEP_1)
	v_and_or_b32 v4, 0x80, v4, v1
.LBB21_39:
	s_or_b32 exec_lo, exec_lo, s5
.LBB21_40:
	s_delay_alu instid0(SALU_CYCLE_1)
	s_or_b32 exec_lo, exec_lo, s3
	global_store_b8 v[2:3], v4, off
.LBB21_41:
	s_mov_b32 s3, -1
.LBB21_42:
	s_branch .LBB21_83
.LBB21_43:
	s_cmp_gt_i32 s2, 22
	s_mov_b32 s4, -1
	s_cbranch_scc0 .LBB21_75
; %bb.44:
	s_cmp_lt_i32 s2, 24
	s_mov_b32 s3, -1
	s_cbranch_scc1 .LBB21_64
; %bb.45:
	s_cmp_gt_i32 s2, 24
	s_cbranch_scc0 .LBB21_53
; %bb.46:
	s_wait_xcnt 0x0
	v_and_b32_e32 v1, 0x7fffffff, v0
	v_mov_b32_e32 v4, 0x80
	s_mov_b32 s3, exec_lo
	s_delay_alu instid0(VALU_DEP_2)
	v_cmpx_gt_u32_e32 0x47800000, v1
	s_cbranch_execz .LBB21_52
; %bb.47:
	v_cmp_lt_u32_e32 vcc_lo, 0x37ffffff, v1
	s_mov_b32 s4, 0
                                        ; implicit-def: $vgpr1
	s_and_saveexec_b32 s5, vcc_lo
	s_delay_alu instid0(SALU_CYCLE_1)
	s_xor_b32 s5, exec_lo, s5
	s_cbranch_execz .LBB21_144
; %bb.48:
	v_bfe_u32 v1, v0, 21, 1
	s_mov_b32 s4, exec_lo
	s_delay_alu instid0(VALU_DEP_1) | instskip(NEXT) | instid1(VALU_DEP_1)
	v_add3_u32 v1, v0, v1, 0x88fffff
	v_lshrrev_b32_e32 v1, 21, v1
	s_and_not1_saveexec_b32 s5, s5
	s_cbranch_execnz .LBB21_145
.LBB21_49:
	s_or_b32 exec_lo, exec_lo, s5
	v_mov_b32_e32 v4, 0
	s_and_saveexec_b32 s5, s4
.LBB21_50:
	v_lshrrev_b32_e32 v4, 24, v0
	s_delay_alu instid0(VALU_DEP_1)
	v_and_or_b32 v4, 0x80, v4, v1
.LBB21_51:
	s_or_b32 exec_lo, exec_lo, s5
.LBB21_52:
	s_delay_alu instid0(SALU_CYCLE_1)
	s_or_b32 exec_lo, exec_lo, s3
	s_mov_b32 s3, 0
	global_store_b8 v[2:3], v4, off
.LBB21_53:
	s_and_b32 vcc_lo, exec_lo, s3
	s_cbranch_vccz .LBB21_63
; %bb.54:
	s_wait_xcnt 0x0
	v_and_b32_e32 v4, 0x7fffffff, v0
	s_mov_b32 s3, exec_lo
                                        ; implicit-def: $vgpr1
	s_delay_alu instid0(VALU_DEP_1)
	v_cmpx_gt_u32_e32 0x43f00000, v4
	s_xor_b32 s3, exec_lo, s3
	s_cbranch_execz .LBB21_60
; %bb.55:
	s_mov_b32 s4, exec_lo
                                        ; implicit-def: $vgpr1
	v_cmpx_lt_u32_e32 0x3c7fffff, v4
	s_xor_b32 s4, exec_lo, s4
; %bb.56:
	v_bfe_u32 v1, v0, 20, 1
	s_delay_alu instid0(VALU_DEP_1) | instskip(NEXT) | instid1(VALU_DEP_1)
	v_add3_u32 v1, v0, v1, 0x407ffff
	v_and_b32_e32 v4, 0xff00000, v1
	v_lshrrev_b32_e32 v1, 20, v1
	s_delay_alu instid0(VALU_DEP_2) | instskip(NEXT) | instid1(VALU_DEP_2)
	v_cmp_ne_u32_e32 vcc_lo, 0x7f00000, v4
	v_cndmask_b32_e32 v1, 0x7e, v1, vcc_lo
; %bb.57:
	s_and_not1_saveexec_b32 s4, s4
; %bb.58:
	v_add_f32_e64 v1, 0x46800000, |v0|
; %bb.59:
	s_or_b32 exec_lo, exec_lo, s4
                                        ; implicit-def: $vgpr4
.LBB21_60:
	s_and_not1_saveexec_b32 s3, s3
; %bb.61:
	v_mov_b32_e32 v1, 0x7f
	v_cmp_lt_u32_e32 vcc_lo, 0x7f800000, v4
	s_delay_alu instid0(VALU_DEP_2)
	v_cndmask_b32_e32 v1, 0x7e, v1, vcc_lo
; %bb.62:
	s_or_b32 exec_lo, exec_lo, s3
	v_lshrrev_b32_e32 v4, 24, v0
	s_delay_alu instid0(VALU_DEP_1)
	v_and_or_b32 v1, 0x80, v4, v1
	global_store_b8 v[2:3], v1, off
.LBB21_63:
	s_mov_b32 s3, 0
.LBB21_64:
	s_delay_alu instid0(SALU_CYCLE_1)
	s_and_not1_b32 vcc_lo, exec_lo, s3
	s_cbranch_vccnz .LBB21_74
; %bb.65:
	s_wait_xcnt 0x0
	v_and_b32_e32 v4, 0x7fffffff, v0
	s_mov_b32 s3, exec_lo
                                        ; implicit-def: $vgpr1
	s_delay_alu instid0(VALU_DEP_1)
	v_cmpx_gt_u32_e32 0x47800000, v4
	s_xor_b32 s3, exec_lo, s3
	s_cbranch_execz .LBB21_71
; %bb.66:
	s_mov_b32 s4, exec_lo
                                        ; implicit-def: $vgpr1
	v_cmpx_lt_u32_e32 0x387fffff, v4
	s_xor_b32 s4, exec_lo, s4
; %bb.67:
	v_bfe_u32 v1, v0, 21, 1
	s_delay_alu instid0(VALU_DEP_1) | instskip(NEXT) | instid1(VALU_DEP_1)
	v_add3_u32 v1, v0, v1, 0x80fffff
	v_lshrrev_b32_e32 v1, 21, v1
; %bb.68:
	s_and_not1_saveexec_b32 s4, s4
; %bb.69:
	v_add_f32_e64 v1, 0x43000000, |v0|
; %bb.70:
	s_or_b32 exec_lo, exec_lo, s4
                                        ; implicit-def: $vgpr4
.LBB21_71:
	s_and_not1_saveexec_b32 s3, s3
; %bb.72:
	v_mov_b32_e32 v1, 0x7f
	v_cmp_lt_u32_e32 vcc_lo, 0x7f800000, v4
	s_delay_alu instid0(VALU_DEP_2)
	v_cndmask_b32_e32 v1, 0x7c, v1, vcc_lo
; %bb.73:
	s_or_b32 exec_lo, exec_lo, s3
	v_lshrrev_b32_e32 v4, 24, v0
	s_delay_alu instid0(VALU_DEP_1)
	v_and_or_b32 v1, 0x80, v4, v1
	global_store_b8 v[2:3], v1, off
.LBB21_74:
	s_mov_b32 s4, 0
	s_mov_b32 s3, -1
.LBB21_75:
	s_and_not1_b32 vcc_lo, exec_lo, s4
	s_cbranch_vccnz .LBB21_83
; %bb.76:
	s_cmp_gt_i32 s2, 14
	s_mov_b32 s4, -1
	s_cbranch_scc0 .LBB21_80
; %bb.77:
	s_cmp_eq_u32 s2, 15
	s_mov_b32 s0, -1
	s_cbranch_scc0 .LBB21_79
; %bb.78:
	s_wait_xcnt 0x0
	v_bfe_u32 v1, v0, 16, 1
	v_cmp_o_f32_e32 vcc_lo, v0, v0
	s_mov_b32 s3, -1
	s_mov_b32 s0, 0
	s_delay_alu instid0(VALU_DEP_2) | instskip(NEXT) | instid1(VALU_DEP_1)
	v_add3_u32 v1, v0, v1, 0x7fff
	v_lshrrev_b32_e32 v1, 16, v1
	s_delay_alu instid0(VALU_DEP_1)
	v_cndmask_b32_e32 v1, 0x7fc0, v1, vcc_lo
	global_store_b16 v[2:3], v1, off
.LBB21_79:
	s_mov_b32 s4, 0
.LBB21_80:
	s_delay_alu instid0(SALU_CYCLE_1)
	s_and_b32 vcc_lo, exec_lo, s4
	s_cbranch_vccz .LBB21_83
; %bb.81:
	s_cmp_eq_u32 s2, 11
	s_mov_b32 s0, -1
	s_cbranch_scc0 .LBB21_83
; %bb.82:
	v_cmp_neq_f32_e32 vcc_lo, 0, v0
	s_mov_b32 s0, 0
	s_mov_b32 s3, -1
	s_wait_xcnt 0x0
	v_cndmask_b32_e64 v1, 0, 1, vcc_lo
	global_store_b8 v[2:3], v1, off
.LBB21_83:
	s_branch .LBB21_10
.LBB21_84:
	s_and_b32 s1, 0xffff, s1
	s_mov_b32 s2, -1
	s_cmp_lt_i32 s1, 5
	s_cbranch_scc1 .LBB21_105
; %bb.85:
	s_cmp_lt_i32 s1, 8
	s_cbranch_scc1 .LBB21_95
; %bb.86:
	;; [unrolled: 3-line block ×3, first 2 shown]
	s_cmp_gt_i32 s1, 9
	s_cbranch_scc0 .LBB21_89
; %bb.88:
	s_wait_xcnt 0x0
	v_cvt_f64_f32_e32 v[4:5], v0
	v_mov_b32_e32 v6, 0
	s_mov_b32 s2, 0
	s_delay_alu instid0(VALU_DEP_1)
	v_mov_b32_e32 v7, v6
	global_store_b128 v[2:3], v[4:7], off
.LBB21_89:
	s_and_not1_b32 vcc_lo, exec_lo, s2
	s_cbranch_vccnz .LBB21_91
; %bb.90:
	s_wait_xcnt 0x0
	v_mov_b32_e32 v1, 0
	global_store_b64 v[2:3], v[0:1], off
.LBB21_91:
	s_mov_b32 s2, 0
.LBB21_92:
	s_delay_alu instid0(SALU_CYCLE_1)
	s_and_not1_b32 vcc_lo, exec_lo, s2
	s_cbranch_vccnz .LBB21_94
; %bb.93:
	s_wait_xcnt 0x0
	v_cvt_f16_f32_e32 v1, v0
	s_delay_alu instid0(VALU_DEP_1)
	v_and_b32_e32 v1, 0xffff, v1
	global_store_b32 v[2:3], v1, off
.LBB21_94:
	s_mov_b32 s2, 0
.LBB21_95:
	s_delay_alu instid0(SALU_CYCLE_1)
	s_and_not1_b32 vcc_lo, exec_lo, s2
	s_cbranch_vccnz .LBB21_104
; %bb.96:
	s_cmp_lt_i32 s1, 6
	s_mov_b32 s2, -1
	s_cbranch_scc1 .LBB21_102
; %bb.97:
	s_cmp_gt_i32 s1, 6
	s_cbranch_scc0 .LBB21_99
; %bb.98:
	s_wait_xcnt 0x0
	v_cvt_f64_f32_e32 v[4:5], v0
	s_mov_b32 s2, 0
	global_store_b64 v[2:3], v[4:5], off
.LBB21_99:
	s_and_not1_b32 vcc_lo, exec_lo, s2
	s_cbranch_vccnz .LBB21_101
; %bb.100:
	global_store_b32 v[2:3], v0, off
.LBB21_101:
	s_mov_b32 s2, 0
.LBB21_102:
	s_delay_alu instid0(SALU_CYCLE_1)
	s_and_not1_b32 vcc_lo, exec_lo, s2
	s_cbranch_vccnz .LBB21_104
; %bb.103:
	s_wait_xcnt 0x0
	v_cvt_f16_f32_e32 v1, v0
	global_store_b16 v[2:3], v1, off
.LBB21_104:
	s_mov_b32 s2, 0
.LBB21_105:
	s_delay_alu instid0(SALU_CYCLE_1)
	s_and_not1_b32 vcc_lo, exec_lo, s2
	s_cbranch_vccnz .LBB21_121
; %bb.106:
	s_cmp_lt_i32 s1, 2
	s_mov_b32 s2, -1
	s_cbranch_scc1 .LBB21_116
; %bb.107:
	s_cmp_lt_i32 s1, 3
	s_cbranch_scc1 .LBB21_113
; %bb.108:
	s_cmp_gt_i32 s1, 3
	s_cbranch_scc0 .LBB21_110
; %bb.109:
	s_wait_xcnt 0x0
	v_trunc_f32_e32 v1, v0
	s_mov_b32 s2, 0
	s_delay_alu instid0(VALU_DEP_1) | instskip(NEXT) | instid1(VALU_DEP_1)
	v_mul_f32_e64 v4, 0x2f800000, |v1|
	v_floor_f32_e32 v5, v4
	v_ashrrev_i32_e32 v4, 31, v1
	s_delay_alu instid0(VALU_DEP_2) | instskip(SKIP_1) | instid1(VALU_DEP_3)
	v_fma_f32 v6, 0xcf800000, v5, |v1|
	v_cvt_u32_f32_e32 v1, v5
	v_mov_b32_e32 v5, v4
	s_delay_alu instid0(VALU_DEP_3) | instskip(NEXT) | instid1(VALU_DEP_3)
	v_cvt_u32_f32_e32 v6, v6
	v_xor_b32_e32 v7, v1, v4
	s_delay_alu instid0(VALU_DEP_2) | instskip(NEXT) | instid1(VALU_DEP_1)
	v_xor_b32_e32 v6, v6, v4
	v_sub_nc_u64_e32 v[4:5], v[6:7], v[4:5]
	global_store_b64 v[2:3], v[4:5], off
.LBB21_110:
	s_and_not1_b32 vcc_lo, exec_lo, s2
	s_cbranch_vccnz .LBB21_112
; %bb.111:
	s_wait_xcnt 0x0
	v_cvt_i32_f32_e32 v1, v0
	global_store_b32 v[2:3], v1, off
.LBB21_112:
	s_mov_b32 s2, 0
.LBB21_113:
	s_delay_alu instid0(SALU_CYCLE_1)
	s_and_not1_b32 vcc_lo, exec_lo, s2
	s_cbranch_vccnz .LBB21_115
; %bb.114:
	s_wait_xcnt 0x0
	v_cvt_i32_f32_e32 v1, v0
	global_store_b16 v[2:3], v1, off
.LBB21_115:
	s_mov_b32 s2, 0
.LBB21_116:
	s_delay_alu instid0(SALU_CYCLE_1)
	s_and_not1_b32 vcc_lo, exec_lo, s2
	s_cbranch_vccnz .LBB21_121
; %bb.117:
	s_cmp_gt_i32 s1, 0
	s_mov_b32 s1, -1
	s_cbranch_scc0 .LBB21_119
; %bb.118:
	s_wait_xcnt 0x0
	v_cvt_i32_f32_e32 v1, v0
	s_mov_b32 s1, 0
	global_store_b8 v[2:3], v1, off
.LBB21_119:
	s_and_not1_b32 vcc_lo, exec_lo, s1
	s_cbranch_vccnz .LBB21_121
; %bb.120:
	s_wait_xcnt 0x0
	v_trunc_f32_e32 v0, v0
	s_delay_alu instid0(VALU_DEP_1) | instskip(NEXT) | instid1(VALU_DEP_1)
	v_mul_f32_e64 v1, 0x2f800000, |v0|
	v_floor_f32_e32 v1, v1
	s_delay_alu instid0(VALU_DEP_1) | instskip(SKIP_1) | instid1(VALU_DEP_2)
	v_fma_f32 v1, 0xcf800000, v1, |v0|
	v_ashrrev_i32_e32 v0, 31, v0
	v_cvt_u32_f32_e32 v1, v1
	s_delay_alu instid0(VALU_DEP_1) | instskip(NEXT) | instid1(VALU_DEP_1)
	v_xor_b32_e32 v1, v1, v0
	v_sub_nc_u32_e32 v0, v1, v0
	global_store_b8 v[2:3], v0, off
.LBB21_121:
	s_branch .LBB21_11
.LBB21_122:
	s_mov_b32 s1, 0
                                        ; implicit-def: $vgpr31
.LBB21_123:
	s_and_b32 s20, s0, exec_lo
	s_or_not1_b32 s0, s1, exec_lo
.LBB21_124:
	s_wait_xcnt 0x0
	s_or_b32 exec_lo, exec_lo, s22
	s_mov_b32 s2, 0
                                        ; implicit-def: $sgpr1
                                        ; implicit-def: $vgpr2_vgpr3
                                        ; implicit-def: $vgpr0
	s_and_saveexec_b32 s22, s0
	s_cbranch_execz .LBB21_133
; %bb.125:
	s_mov_b32 s3, -1
	s_mov_b32 s23, s20
	s_mov_b32 s24, exec_lo
	v_cmpx_gt_i32_e64 s21, v31
	s_cbranch_execz .LBB21_256
; %bb.126:
	v_dual_mov_b32 v0, s14 :: v_dual_mov_b32 v1, s15
	v_dual_mov_b32 v2, s17 :: v_dual_mov_b32 v3, v33
	v_mov_b32_e32 v4, v31
	s_get_pc_i64 s[0:1]
	s_add_nc_u64 s[0:1], s[0:1], _ZN2at6native6invokeIZZZNS0_12_GLOBAL__N_121bessel_y1_kernel_cudaERNS_18TensorIteratorBaseEENKUlvE_clEvENKUlvE0_clEvEUlfE_i15function_traitsIS7_EEENT1_11result_typeERKT_PrKPcPKT0_PKN3c1010ScalarTypeEi@rel64+4
	s_delay_alu instid0(SALU_CYCLE_1) | instskip(SKIP_2) | instid1(SALU_CYCLE_1)
	s_swap_pc_i64 s[30:31], s[0:1]
	v_mul_lo_u32 v2, v31, s16
	s_and_b32 s1, s11, 0xff
	s_cmp_lt_i32 s1, 11
	s_delay_alu instid0(VALU_DEP_1) | instskip(NEXT) | instid1(VALU_DEP_1)
	v_ashrrev_i32_e32 v3, 31, v2
	v_add_nc_u64_e32 v[2:3], s[12:13], v[2:3]
	s_cbranch_scc1 .LBB21_136
; %bb.127:
	s_and_b32 s2, 0xffff, s1
	s_delay_alu instid0(SALU_CYCLE_1)
	s_cmp_gt_i32 s2, 25
	s_cbranch_scc0 .LBB21_139
; %bb.128:
	s_cmp_gt_i32 s2, 28
	s_cbranch_scc0 .LBB21_140
; %bb.129:
	;; [unrolled: 3-line block ×4, first 2 shown]
	s_mov_b32 s4, 0
	s_mov_b32 s0, -1
	s_cmp_eq_u32 s2, 46
	s_mov_b32 s3, 0
	s_cbranch_scc0 .LBB21_147
; %bb.132:
	v_bfe_u32 v1, v0, 16, 1
	v_cmp_o_f32_e32 vcc_lo, v0, v0
	s_mov_b32 s3, -1
	s_mov_b32 s0, 0
	s_delay_alu instid0(VALU_DEP_2) | instskip(NEXT) | instid1(VALU_DEP_1)
	v_add3_u32 v1, v0, v1, 0x7fff
	v_lshrrev_b32_e32 v1, 16, v1
	s_delay_alu instid0(VALU_DEP_1)
	v_cndmask_b32_e32 v1, 0x7fc0, v1, vcc_lo
	global_store_b32 v[2:3], v1, off
	s_branch .LBB21_147
.LBB21_133:
	s_or_b32 exec_lo, exec_lo, s22
	s_mov_b32 s0, 0
	s_and_saveexec_b32 s3, s20
	s_cbranch_execnz .LBB21_472
.LBB21_134:
	s_or_b32 exec_lo, exec_lo, s3
	s_and_saveexec_b32 s3, s23
	s_delay_alu instid0(SALU_CYCLE_1)
	s_xor_b32 s3, exec_lo, s3
	s_cbranch_execz .LBB21_473
.LBB21_135:
	v_cmp_neq_f32_e32 vcc_lo, 0, v0
	v_cndmask_b32_e64 v1, 0, 1, vcc_lo
	global_store_b8 v[2:3], v1, off
	s_wait_xcnt 0x0
	s_or_b32 exec_lo, exec_lo, s3
	s_and_saveexec_b32 s3, s2
	s_delay_alu instid0(SALU_CYCLE_1)
	s_xor_b32 s2, exec_lo, s3
	s_cbranch_execz .LBB21_511
	s_branch .LBB21_474
.LBB21_136:
	s_mov_b32 s3, 0
	s_mov_b32 s0, s20
	s_cbranch_execnz .LBB21_216
.LBB21_137:
	s_and_not1_b32 vcc_lo, exec_lo, s3
	s_cbranch_vccnz .LBB21_254
.LBB21_138:
	v_add_nc_u32_e32 v31, 0x80, v31
	s_mov_b32 s1, -1
	s_branch .LBB21_255
.LBB21_139:
	s_mov_b32 s4, -1
	s_mov_b32 s3, 0
	s_mov_b32 s0, s20
	s_branch .LBB21_174
.LBB21_140:
	s_mov_b32 s4, -1
	s_mov_b32 s3, 0
	s_mov_b32 s0, s20
	s_branch .LBB21_157
.LBB21_141:
	s_and_not1_saveexec_b32 s5, s5
	s_cbranch_execz .LBB21_37
.LBB21_142:
	v_add_f32_e64 v1, 0x46000000, |v0|
	s_and_not1_b32 s4, s4, exec_lo
	s_delay_alu instid0(VALU_DEP_1) | instskip(NEXT) | instid1(VALU_DEP_1)
	v_and_b32_e32 v1, 0xff, v1
	v_cmp_ne_u32_e32 vcc_lo, 0, v1
	s_and_b32 s6, vcc_lo, exec_lo
	s_delay_alu instid0(SALU_CYCLE_1)
	s_or_b32 s4, s4, s6
	s_or_b32 exec_lo, exec_lo, s5
	v_mov_b32_e32 v4, 0
	s_and_saveexec_b32 s5, s4
	s_cbranch_execnz .LBB21_38
	s_branch .LBB21_39
.LBB21_143:
	s_mov_b32 s4, -1
	s_mov_b32 s3, 0
	s_mov_b32 s0, s20
	s_branch .LBB21_153
.LBB21_144:
	s_and_not1_saveexec_b32 s5, s5
	s_cbranch_execz .LBB21_49
.LBB21_145:
	v_add_f32_e64 v1, 0x42800000, |v0|
	s_and_not1_b32 s4, s4, exec_lo
	s_delay_alu instid0(VALU_DEP_1) | instskip(NEXT) | instid1(VALU_DEP_1)
	v_and_b32_e32 v1, 0xff, v1
	v_cmp_ne_u32_e32 vcc_lo, 0, v1
	s_and_b32 s6, vcc_lo, exec_lo
	s_delay_alu instid0(SALU_CYCLE_1)
	s_or_b32 s4, s4, s6
	s_or_b32 exec_lo, exec_lo, s5
	v_mov_b32_e32 v4, 0
	s_and_saveexec_b32 s5, s4
	s_cbranch_execnz .LBB21_50
	s_branch .LBB21_51
.LBB21_146:
	s_mov_b32 s4, -1
	s_mov_b32 s3, 0
	s_mov_b32 s0, s20
.LBB21_147:
	s_and_b32 vcc_lo, exec_lo, s4
	s_cbranch_vccz .LBB21_152
; %bb.148:
	s_cmp_eq_u32 s2, 44
	s_mov_b32 s0, -1
	s_cbranch_scc0 .LBB21_152
; %bb.149:
	v_bfe_u32 v4, v0, 23, 8
	s_wait_xcnt 0x0
	v_mov_b32_e32 v1, 0xff
	s_mov_b32 s3, exec_lo
	s_delay_alu instid0(VALU_DEP_2)
	v_cmpx_ne_u32_e32 0xff, v4
	s_cbranch_execz .LBB21_151
; %bb.150:
	v_and_b32_e32 v1, 0x400000, v0
	v_and_or_b32 v4, 0x3fffff, v0, v4
	s_delay_alu instid0(VALU_DEP_2) | instskip(NEXT) | instid1(VALU_DEP_2)
	v_cmp_ne_u32_e32 vcc_lo, 0, v1
	v_cmp_ne_u32_e64 s0, 0, v4
	v_lshrrev_b32_e32 v1, 23, v0
	s_and_b32 s0, vcc_lo, s0
	s_delay_alu instid0(SALU_CYCLE_1) | instskip(NEXT) | instid1(VALU_DEP_1)
	v_cndmask_b32_e64 v4, 0, 1, s0
	v_add_nc_u32_e32 v1, v1, v4
.LBB21_151:
	s_or_b32 exec_lo, exec_lo, s3
	s_mov_b32 s3, -1
	s_mov_b32 s0, 0
	global_store_b8 v[2:3], v1, off
.LBB21_152:
	s_mov_b32 s4, 0
.LBB21_153:
	s_delay_alu instid0(SALU_CYCLE_1)
	s_and_b32 vcc_lo, exec_lo, s4
	s_cbranch_vccz .LBB21_156
; %bb.154:
	s_cmp_eq_u32 s2, 29
	s_mov_b32 s0, -1
	s_cbranch_scc0 .LBB21_156
; %bb.155:
	s_wait_xcnt 0x0
	v_trunc_f32_e32 v1, v0
	s_mov_b32 s3, -1
	s_mov_b32 s0, 0
	s_mov_b32 s4, 0
	s_delay_alu instid0(VALU_DEP_1) | instskip(NEXT) | instid1(VALU_DEP_1)
	v_mul_f32_e32 v4, 0x2f800000, v1
	v_floor_f32_e32 v4, v4
	s_delay_alu instid0(VALU_DEP_1) | instskip(SKIP_1) | instid1(VALU_DEP_2)
	v_fmamk_f32 v1, v4, 0xcf800000, v1
	v_cvt_u32_f32_e32 v5, v4
	v_cvt_u32_f32_e32 v4, v1
	global_store_b64 v[2:3], v[4:5], off
	s_branch .LBB21_157
.LBB21_156:
	s_mov_b32 s4, 0
.LBB21_157:
	s_delay_alu instid0(SALU_CYCLE_1)
	s_and_b32 vcc_lo, exec_lo, s4
	s_cbranch_vccz .LBB21_173
; %bb.158:
	s_cmp_lt_i32 s2, 27
	s_mov_b32 s3, -1
	s_cbranch_scc1 .LBB21_164
; %bb.159:
	s_wait_xcnt 0x0
	v_cvt_u32_f32_e32 v1, v0
	s_cmp_gt_i32 s2, 27
	s_cbranch_scc0 .LBB21_161
; %bb.160:
	s_mov_b32 s3, 0
	global_store_b32 v[2:3], v1, off
.LBB21_161:
	s_and_not1_b32 vcc_lo, exec_lo, s3
	s_cbranch_vccnz .LBB21_163
; %bb.162:
	global_store_b16 v[2:3], v1, off
.LBB21_163:
	s_mov_b32 s3, 0
.LBB21_164:
	s_delay_alu instid0(SALU_CYCLE_1)
	s_and_not1_b32 vcc_lo, exec_lo, s3
	s_cbranch_vccnz .LBB21_172
; %bb.165:
	s_wait_xcnt 0x0
	v_and_b32_e32 v1, 0x7fffffff, v0
	v_mov_b32_e32 v4, 0x80
	s_mov_b32 s3, exec_lo
	s_delay_alu instid0(VALU_DEP_2)
	v_cmpx_gt_u32_e32 0x43800000, v1
	s_cbranch_execz .LBB21_171
; %bb.166:
	v_cmp_lt_u32_e32 vcc_lo, 0x3bffffff, v1
	s_mov_b32 s4, 0
                                        ; implicit-def: $vgpr1
	s_and_saveexec_b32 s5, vcc_lo
	s_delay_alu instid0(SALU_CYCLE_1)
	s_xor_b32 s5, exec_lo, s5
	s_cbranch_execz .LBB21_268
; %bb.167:
	v_bfe_u32 v1, v0, 20, 1
	s_mov_b32 s4, exec_lo
	s_delay_alu instid0(VALU_DEP_1) | instskip(NEXT) | instid1(VALU_DEP_1)
	v_add3_u32 v1, v0, v1, 0x487ffff
	v_lshrrev_b32_e32 v1, 20, v1
	s_and_not1_saveexec_b32 s5, s5
	s_cbranch_execnz .LBB21_269
.LBB21_168:
	s_or_b32 exec_lo, exec_lo, s5
	v_mov_b32_e32 v4, 0
	s_and_saveexec_b32 s5, s4
.LBB21_169:
	v_lshrrev_b32_e32 v4, 24, v0
	s_delay_alu instid0(VALU_DEP_1)
	v_and_or_b32 v4, 0x80, v4, v1
.LBB21_170:
	s_or_b32 exec_lo, exec_lo, s5
.LBB21_171:
	s_delay_alu instid0(SALU_CYCLE_1)
	s_or_b32 exec_lo, exec_lo, s3
	global_store_b8 v[2:3], v4, off
.LBB21_172:
	s_mov_b32 s3, -1
.LBB21_173:
	s_mov_b32 s4, 0
.LBB21_174:
	s_delay_alu instid0(SALU_CYCLE_1)
	s_and_b32 vcc_lo, exec_lo, s4
	s_cbranch_vccz .LBB21_215
; %bb.175:
	s_cmp_gt_i32 s2, 22
	s_mov_b32 s4, -1
	s_cbranch_scc0 .LBB21_207
; %bb.176:
	s_cmp_lt_i32 s2, 24
	s_mov_b32 s3, -1
	s_cbranch_scc1 .LBB21_196
; %bb.177:
	s_cmp_gt_i32 s2, 24
	s_cbranch_scc0 .LBB21_185
; %bb.178:
	s_wait_xcnt 0x0
	v_and_b32_e32 v1, 0x7fffffff, v0
	v_mov_b32_e32 v4, 0x80
	s_mov_b32 s3, exec_lo
	s_delay_alu instid0(VALU_DEP_2)
	v_cmpx_gt_u32_e32 0x47800000, v1
	s_cbranch_execz .LBB21_184
; %bb.179:
	v_cmp_lt_u32_e32 vcc_lo, 0x37ffffff, v1
	s_mov_b32 s4, 0
                                        ; implicit-def: $vgpr1
	s_and_saveexec_b32 s5, vcc_lo
	s_delay_alu instid0(SALU_CYCLE_1)
	s_xor_b32 s5, exec_lo, s5
	s_cbranch_execz .LBB21_271
; %bb.180:
	v_bfe_u32 v1, v0, 21, 1
	s_mov_b32 s4, exec_lo
	s_delay_alu instid0(VALU_DEP_1) | instskip(NEXT) | instid1(VALU_DEP_1)
	v_add3_u32 v1, v0, v1, 0x88fffff
	v_lshrrev_b32_e32 v1, 21, v1
	s_and_not1_saveexec_b32 s5, s5
	s_cbranch_execnz .LBB21_272
.LBB21_181:
	s_or_b32 exec_lo, exec_lo, s5
	v_mov_b32_e32 v4, 0
	s_and_saveexec_b32 s5, s4
.LBB21_182:
	v_lshrrev_b32_e32 v4, 24, v0
	s_delay_alu instid0(VALU_DEP_1)
	v_and_or_b32 v4, 0x80, v4, v1
.LBB21_183:
	s_or_b32 exec_lo, exec_lo, s5
.LBB21_184:
	s_delay_alu instid0(SALU_CYCLE_1)
	s_or_b32 exec_lo, exec_lo, s3
	s_mov_b32 s3, 0
	global_store_b8 v[2:3], v4, off
.LBB21_185:
	s_and_b32 vcc_lo, exec_lo, s3
	s_cbranch_vccz .LBB21_195
; %bb.186:
	s_wait_xcnt 0x0
	v_and_b32_e32 v4, 0x7fffffff, v0
	s_mov_b32 s3, exec_lo
                                        ; implicit-def: $vgpr1
	s_delay_alu instid0(VALU_DEP_1)
	v_cmpx_gt_u32_e32 0x43f00000, v4
	s_xor_b32 s3, exec_lo, s3
	s_cbranch_execz .LBB21_192
; %bb.187:
	s_mov_b32 s4, exec_lo
                                        ; implicit-def: $vgpr1
	v_cmpx_lt_u32_e32 0x3c7fffff, v4
	s_xor_b32 s4, exec_lo, s4
; %bb.188:
	v_bfe_u32 v1, v0, 20, 1
	s_delay_alu instid0(VALU_DEP_1) | instskip(NEXT) | instid1(VALU_DEP_1)
	v_add3_u32 v1, v0, v1, 0x407ffff
	v_and_b32_e32 v4, 0xff00000, v1
	v_lshrrev_b32_e32 v1, 20, v1
	s_delay_alu instid0(VALU_DEP_2) | instskip(NEXT) | instid1(VALU_DEP_2)
	v_cmp_ne_u32_e32 vcc_lo, 0x7f00000, v4
	v_cndmask_b32_e32 v1, 0x7e, v1, vcc_lo
; %bb.189:
	s_and_not1_saveexec_b32 s4, s4
; %bb.190:
	v_add_f32_e64 v1, 0x46800000, |v0|
; %bb.191:
	s_or_b32 exec_lo, exec_lo, s4
                                        ; implicit-def: $vgpr4
.LBB21_192:
	s_and_not1_saveexec_b32 s3, s3
; %bb.193:
	v_mov_b32_e32 v1, 0x7f
	v_cmp_lt_u32_e32 vcc_lo, 0x7f800000, v4
	s_delay_alu instid0(VALU_DEP_2)
	v_cndmask_b32_e32 v1, 0x7e, v1, vcc_lo
; %bb.194:
	s_or_b32 exec_lo, exec_lo, s3
	v_lshrrev_b32_e32 v4, 24, v0
	s_delay_alu instid0(VALU_DEP_1)
	v_and_or_b32 v1, 0x80, v4, v1
	global_store_b8 v[2:3], v1, off
.LBB21_195:
	s_mov_b32 s3, 0
.LBB21_196:
	s_delay_alu instid0(SALU_CYCLE_1)
	s_and_not1_b32 vcc_lo, exec_lo, s3
	s_cbranch_vccnz .LBB21_206
; %bb.197:
	s_wait_xcnt 0x0
	v_and_b32_e32 v4, 0x7fffffff, v0
	s_mov_b32 s3, exec_lo
                                        ; implicit-def: $vgpr1
	s_delay_alu instid0(VALU_DEP_1)
	v_cmpx_gt_u32_e32 0x47800000, v4
	s_xor_b32 s3, exec_lo, s3
	s_cbranch_execz .LBB21_203
; %bb.198:
	s_mov_b32 s4, exec_lo
                                        ; implicit-def: $vgpr1
	v_cmpx_lt_u32_e32 0x387fffff, v4
	s_xor_b32 s4, exec_lo, s4
; %bb.199:
	v_bfe_u32 v1, v0, 21, 1
	s_delay_alu instid0(VALU_DEP_1) | instskip(NEXT) | instid1(VALU_DEP_1)
	v_add3_u32 v1, v0, v1, 0x80fffff
	v_lshrrev_b32_e32 v1, 21, v1
; %bb.200:
	s_and_not1_saveexec_b32 s4, s4
; %bb.201:
	v_add_f32_e64 v1, 0x43000000, |v0|
; %bb.202:
	s_or_b32 exec_lo, exec_lo, s4
                                        ; implicit-def: $vgpr4
.LBB21_203:
	s_and_not1_saveexec_b32 s3, s3
; %bb.204:
	v_mov_b32_e32 v1, 0x7f
	v_cmp_lt_u32_e32 vcc_lo, 0x7f800000, v4
	s_delay_alu instid0(VALU_DEP_2)
	v_cndmask_b32_e32 v1, 0x7c, v1, vcc_lo
; %bb.205:
	s_or_b32 exec_lo, exec_lo, s3
	v_lshrrev_b32_e32 v4, 24, v0
	s_delay_alu instid0(VALU_DEP_1)
	v_and_or_b32 v1, 0x80, v4, v1
	global_store_b8 v[2:3], v1, off
.LBB21_206:
	s_mov_b32 s4, 0
	s_mov_b32 s3, -1
.LBB21_207:
	s_and_not1_b32 vcc_lo, exec_lo, s4
	s_cbranch_vccnz .LBB21_215
; %bb.208:
	s_cmp_gt_i32 s2, 14
	s_mov_b32 s4, -1
	s_cbranch_scc0 .LBB21_212
; %bb.209:
	s_cmp_eq_u32 s2, 15
	s_mov_b32 s0, -1
	s_cbranch_scc0 .LBB21_211
; %bb.210:
	s_wait_xcnt 0x0
	v_bfe_u32 v1, v0, 16, 1
	v_cmp_o_f32_e32 vcc_lo, v0, v0
	s_mov_b32 s3, -1
	s_mov_b32 s0, 0
	s_delay_alu instid0(VALU_DEP_2) | instskip(NEXT) | instid1(VALU_DEP_1)
	v_add3_u32 v1, v0, v1, 0x7fff
	v_lshrrev_b32_e32 v1, 16, v1
	s_delay_alu instid0(VALU_DEP_1)
	v_cndmask_b32_e32 v1, 0x7fc0, v1, vcc_lo
	global_store_b16 v[2:3], v1, off
.LBB21_211:
	s_mov_b32 s4, 0
.LBB21_212:
	s_delay_alu instid0(SALU_CYCLE_1)
	s_and_b32 vcc_lo, exec_lo, s4
	s_cbranch_vccz .LBB21_215
; %bb.213:
	s_cmp_eq_u32 s2, 11
	s_mov_b32 s0, -1
	s_cbranch_scc0 .LBB21_215
; %bb.214:
	v_cmp_neq_f32_e32 vcc_lo, 0, v0
	s_mov_b32 s0, 0
	s_mov_b32 s3, -1
	s_wait_xcnt 0x0
	v_cndmask_b32_e64 v1, 0, 1, vcc_lo
	global_store_b8 v[2:3], v1, off
.LBB21_215:
	s_branch .LBB21_137
.LBB21_216:
	s_and_b32 s1, 0xffff, s1
	s_mov_b32 s2, -1
	s_cmp_lt_i32 s1, 5
	s_cbranch_scc1 .LBB21_237
; %bb.217:
	s_cmp_lt_i32 s1, 8
	s_cbranch_scc1 .LBB21_227
; %bb.218:
	;; [unrolled: 3-line block ×3, first 2 shown]
	s_cmp_gt_i32 s1, 9
	s_cbranch_scc0 .LBB21_221
; %bb.220:
	s_wait_xcnt 0x0
	v_cvt_f64_f32_e32 v[4:5], v0
	v_mov_b32_e32 v6, 0
	s_mov_b32 s2, 0
	s_delay_alu instid0(VALU_DEP_1)
	v_mov_b32_e32 v7, v6
	global_store_b128 v[2:3], v[4:7], off
.LBB21_221:
	s_and_not1_b32 vcc_lo, exec_lo, s2
	s_cbranch_vccnz .LBB21_223
; %bb.222:
	s_wait_xcnt 0x0
	v_mov_b32_e32 v1, 0
	global_store_b64 v[2:3], v[0:1], off
.LBB21_223:
	s_mov_b32 s2, 0
.LBB21_224:
	s_delay_alu instid0(SALU_CYCLE_1)
	s_and_not1_b32 vcc_lo, exec_lo, s2
	s_cbranch_vccnz .LBB21_226
; %bb.225:
	s_wait_xcnt 0x0
	v_cvt_f16_f32_e32 v1, v0
	s_delay_alu instid0(VALU_DEP_1)
	v_and_b32_e32 v1, 0xffff, v1
	global_store_b32 v[2:3], v1, off
.LBB21_226:
	s_mov_b32 s2, 0
.LBB21_227:
	s_delay_alu instid0(SALU_CYCLE_1)
	s_and_not1_b32 vcc_lo, exec_lo, s2
	s_cbranch_vccnz .LBB21_236
; %bb.228:
	s_cmp_lt_i32 s1, 6
	s_mov_b32 s2, -1
	s_cbranch_scc1 .LBB21_234
; %bb.229:
	s_cmp_gt_i32 s1, 6
	s_cbranch_scc0 .LBB21_231
; %bb.230:
	s_wait_xcnt 0x0
	v_cvt_f64_f32_e32 v[4:5], v0
	s_mov_b32 s2, 0
	global_store_b64 v[2:3], v[4:5], off
.LBB21_231:
	s_and_not1_b32 vcc_lo, exec_lo, s2
	s_cbranch_vccnz .LBB21_233
; %bb.232:
	global_store_b32 v[2:3], v0, off
.LBB21_233:
	s_mov_b32 s2, 0
.LBB21_234:
	s_delay_alu instid0(SALU_CYCLE_1)
	s_and_not1_b32 vcc_lo, exec_lo, s2
	s_cbranch_vccnz .LBB21_236
; %bb.235:
	s_wait_xcnt 0x0
	v_cvt_f16_f32_e32 v1, v0
	global_store_b16 v[2:3], v1, off
.LBB21_236:
	s_mov_b32 s2, 0
.LBB21_237:
	s_delay_alu instid0(SALU_CYCLE_1)
	s_and_not1_b32 vcc_lo, exec_lo, s2
	s_cbranch_vccnz .LBB21_253
; %bb.238:
	s_cmp_lt_i32 s1, 2
	s_mov_b32 s2, -1
	s_cbranch_scc1 .LBB21_248
; %bb.239:
	s_cmp_lt_i32 s1, 3
	s_cbranch_scc1 .LBB21_245
; %bb.240:
	s_cmp_gt_i32 s1, 3
	s_cbranch_scc0 .LBB21_242
; %bb.241:
	s_wait_xcnt 0x0
	v_trunc_f32_e32 v1, v0
	s_mov_b32 s2, 0
	s_delay_alu instid0(VALU_DEP_1) | instskip(NEXT) | instid1(VALU_DEP_1)
	v_mul_f32_e64 v4, 0x2f800000, |v1|
	v_floor_f32_e32 v5, v4
	v_ashrrev_i32_e32 v4, 31, v1
	s_delay_alu instid0(VALU_DEP_2) | instskip(SKIP_1) | instid1(VALU_DEP_3)
	v_fma_f32 v6, 0xcf800000, v5, |v1|
	v_cvt_u32_f32_e32 v1, v5
	v_mov_b32_e32 v5, v4
	s_delay_alu instid0(VALU_DEP_3) | instskip(NEXT) | instid1(VALU_DEP_3)
	v_cvt_u32_f32_e32 v6, v6
	v_xor_b32_e32 v7, v1, v4
	s_delay_alu instid0(VALU_DEP_2) | instskip(NEXT) | instid1(VALU_DEP_1)
	v_xor_b32_e32 v6, v6, v4
	v_sub_nc_u64_e32 v[4:5], v[6:7], v[4:5]
	global_store_b64 v[2:3], v[4:5], off
.LBB21_242:
	s_and_not1_b32 vcc_lo, exec_lo, s2
	s_cbranch_vccnz .LBB21_244
; %bb.243:
	s_wait_xcnt 0x0
	v_cvt_i32_f32_e32 v1, v0
	global_store_b32 v[2:3], v1, off
.LBB21_244:
	s_mov_b32 s2, 0
.LBB21_245:
	s_delay_alu instid0(SALU_CYCLE_1)
	s_and_not1_b32 vcc_lo, exec_lo, s2
	s_cbranch_vccnz .LBB21_247
; %bb.246:
	s_wait_xcnt 0x0
	v_cvt_i32_f32_e32 v1, v0
	global_store_b16 v[2:3], v1, off
.LBB21_247:
	s_mov_b32 s2, 0
.LBB21_248:
	s_delay_alu instid0(SALU_CYCLE_1)
	s_and_not1_b32 vcc_lo, exec_lo, s2
	s_cbranch_vccnz .LBB21_253
; %bb.249:
	s_cmp_gt_i32 s1, 0
	s_mov_b32 s1, -1
	s_cbranch_scc0 .LBB21_251
; %bb.250:
	s_wait_xcnt 0x0
	v_cvt_i32_f32_e32 v1, v0
	s_mov_b32 s1, 0
	global_store_b8 v[2:3], v1, off
.LBB21_251:
	s_and_not1_b32 vcc_lo, exec_lo, s1
	s_cbranch_vccnz .LBB21_253
; %bb.252:
	s_wait_xcnt 0x0
	v_trunc_f32_e32 v0, v0
	s_delay_alu instid0(VALU_DEP_1) | instskip(NEXT) | instid1(VALU_DEP_1)
	v_mul_f32_e64 v1, 0x2f800000, |v0|
	v_floor_f32_e32 v1, v1
	s_delay_alu instid0(VALU_DEP_1) | instskip(SKIP_1) | instid1(VALU_DEP_2)
	v_fma_f32 v1, 0xcf800000, v1, |v0|
	v_ashrrev_i32_e32 v0, 31, v0
	v_cvt_u32_f32_e32 v1, v1
	s_delay_alu instid0(VALU_DEP_1) | instskip(NEXT) | instid1(VALU_DEP_1)
	v_xor_b32_e32 v1, v1, v0
	v_sub_nc_u32_e32 v0, v1, v0
	global_store_b8 v[2:3], v0, off
.LBB21_253:
	s_branch .LBB21_138
.LBB21_254:
	s_mov_b32 s1, 0
                                        ; implicit-def: $vgpr31
.LBB21_255:
	s_and_not1_b32 s2, s20, exec_lo
	s_and_b32 s0, s0, exec_lo
	s_or_not1_b32 s3, s1, exec_lo
	s_or_b32 s23, s2, s0
.LBB21_256:
	s_wait_xcnt 0x0
	s_or_b32 exec_lo, exec_lo, s24
	s_mov_b32 s0, 0
	s_mov_b32 s2, 0
                                        ; implicit-def: $sgpr1
                                        ; implicit-def: $vgpr2_vgpr3
                                        ; implicit-def: $vgpr0
	s_and_saveexec_b32 s24, s3
	s_cbranch_execz .LBB21_471
; %bb.257:
	s_mov_b32 s3, -1
	s_mov_b32 s26, s23
	s_mov_b32 s25, exec_lo
	v_cmpx_gt_i32_e64 s21, v31
	s_cbranch_execz .LBB21_386
; %bb.258:
	v_dual_mov_b32 v0, s14 :: v_dual_mov_b32 v1, s15
	v_dual_mov_b32 v2, s17 :: v_dual_mov_b32 v3, v33
	v_mov_b32_e32 v4, v31
	s_get_pc_i64 s[0:1]
	s_add_nc_u64 s[0:1], s[0:1], _ZN2at6native6invokeIZZZNS0_12_GLOBAL__N_121bessel_y1_kernel_cudaERNS_18TensorIteratorBaseEENKUlvE_clEvENKUlvE0_clEvEUlfE_i15function_traitsIS7_EEENT1_11result_typeERKT_PrKPcPKT0_PKN3c1010ScalarTypeEi@rel64+4
	s_delay_alu instid0(SALU_CYCLE_1) | instskip(SKIP_2) | instid1(SALU_CYCLE_1)
	s_swap_pc_i64 s[30:31], s[0:1]
	v_mul_lo_u32 v2, v31, s16
	s_and_b32 s1, s11, 0xff
	s_cmp_lt_i32 s1, 11
	s_delay_alu instid0(VALU_DEP_1) | instskip(NEXT) | instid1(VALU_DEP_1)
	v_ashrrev_i32_e32 v3, 31, v2
	v_add_nc_u64_e32 v[2:3], s[12:13], v[2:3]
	s_cbranch_scc1 .LBB21_265
; %bb.259:
	s_and_b32 s2, 0xffff, s1
	s_delay_alu instid0(SALU_CYCLE_1)
	s_cmp_gt_i32 s2, 25
	s_cbranch_scc0 .LBB21_266
; %bb.260:
	s_cmp_gt_i32 s2, 28
	s_cbranch_scc0 .LBB21_267
; %bb.261:
	;; [unrolled: 3-line block ×4, first 2 shown]
	s_mov_b32 s4, 0
	s_mov_b32 s0, -1
	s_cmp_eq_u32 s2, 46
	s_mov_b32 s3, 0
	s_cbranch_scc0 .LBB21_274
; %bb.264:
	v_bfe_u32 v1, v0, 16, 1
	v_cmp_o_f32_e32 vcc_lo, v0, v0
	s_mov_b32 s3, -1
	s_mov_b32 s0, 0
	s_delay_alu instid0(VALU_DEP_2) | instskip(NEXT) | instid1(VALU_DEP_1)
	v_add3_u32 v1, v0, v1, 0x7fff
	v_lshrrev_b32_e32 v1, 16, v1
	s_delay_alu instid0(VALU_DEP_1)
	v_cndmask_b32_e32 v1, 0x7fc0, v1, vcc_lo
	global_store_b32 v[2:3], v1, off
	s_branch .LBB21_274
.LBB21_265:
	s_mov_b32 s2, -1
	s_mov_b32 s3, 0
	s_mov_b32 s0, s23
	s_branch .LBB21_343
.LBB21_266:
	s_mov_b32 s4, -1
	s_mov_b32 s3, 0
	s_mov_b32 s0, s23
	s_branch .LBB21_301
.LBB21_267:
	s_mov_b32 s4, -1
	s_mov_b32 s3, 0
	s_mov_b32 s0, s23
	s_branch .LBB21_284
.LBB21_268:
	s_and_not1_saveexec_b32 s5, s5
	s_cbranch_execz .LBB21_168
.LBB21_269:
	v_add_f32_e64 v1, 0x46000000, |v0|
	s_and_not1_b32 s4, s4, exec_lo
	s_delay_alu instid0(VALU_DEP_1) | instskip(NEXT) | instid1(VALU_DEP_1)
	v_and_b32_e32 v1, 0xff, v1
	v_cmp_ne_u32_e32 vcc_lo, 0, v1
	s_and_b32 s6, vcc_lo, exec_lo
	s_delay_alu instid0(SALU_CYCLE_1)
	s_or_b32 s4, s4, s6
	s_or_b32 exec_lo, exec_lo, s5
	v_mov_b32_e32 v4, 0
	s_and_saveexec_b32 s5, s4
	s_cbranch_execnz .LBB21_169
	s_branch .LBB21_170
.LBB21_270:
	s_mov_b32 s4, -1
	s_mov_b32 s3, 0
	s_mov_b32 s0, s23
	s_branch .LBB21_280
.LBB21_271:
	s_and_not1_saveexec_b32 s5, s5
	s_cbranch_execz .LBB21_181
.LBB21_272:
	v_add_f32_e64 v1, 0x42800000, |v0|
	s_and_not1_b32 s4, s4, exec_lo
	s_delay_alu instid0(VALU_DEP_1) | instskip(NEXT) | instid1(VALU_DEP_1)
	v_and_b32_e32 v1, 0xff, v1
	v_cmp_ne_u32_e32 vcc_lo, 0, v1
	s_and_b32 s6, vcc_lo, exec_lo
	s_delay_alu instid0(SALU_CYCLE_1)
	s_or_b32 s4, s4, s6
	s_or_b32 exec_lo, exec_lo, s5
	v_mov_b32_e32 v4, 0
	s_and_saveexec_b32 s5, s4
	s_cbranch_execnz .LBB21_182
	s_branch .LBB21_183
.LBB21_273:
	s_mov_b32 s4, -1
	s_mov_b32 s3, 0
	s_mov_b32 s0, s23
.LBB21_274:
	s_and_b32 vcc_lo, exec_lo, s4
	s_cbranch_vccz .LBB21_279
; %bb.275:
	s_cmp_eq_u32 s2, 44
	s_mov_b32 s0, -1
	s_cbranch_scc0 .LBB21_279
; %bb.276:
	v_bfe_u32 v4, v0, 23, 8
	s_wait_xcnt 0x0
	v_mov_b32_e32 v1, 0xff
	s_mov_b32 s3, exec_lo
	s_delay_alu instid0(VALU_DEP_2)
	v_cmpx_ne_u32_e32 0xff, v4
	s_cbranch_execz .LBB21_278
; %bb.277:
	v_and_b32_e32 v1, 0x400000, v0
	v_and_or_b32 v4, 0x3fffff, v0, v4
	s_delay_alu instid0(VALU_DEP_2) | instskip(NEXT) | instid1(VALU_DEP_2)
	v_cmp_ne_u32_e32 vcc_lo, 0, v1
	v_cmp_ne_u32_e64 s0, 0, v4
	v_lshrrev_b32_e32 v1, 23, v0
	s_and_b32 s0, vcc_lo, s0
	s_delay_alu instid0(SALU_CYCLE_1) | instskip(NEXT) | instid1(VALU_DEP_1)
	v_cndmask_b32_e64 v4, 0, 1, s0
	v_add_nc_u32_e32 v1, v1, v4
.LBB21_278:
	s_or_b32 exec_lo, exec_lo, s3
	s_mov_b32 s3, -1
	s_mov_b32 s0, 0
	global_store_b8 v[2:3], v1, off
.LBB21_279:
	s_mov_b32 s4, 0
.LBB21_280:
	s_delay_alu instid0(SALU_CYCLE_1)
	s_and_b32 vcc_lo, exec_lo, s4
	s_cbranch_vccz .LBB21_283
; %bb.281:
	s_cmp_eq_u32 s2, 29
	s_mov_b32 s0, -1
	s_cbranch_scc0 .LBB21_283
; %bb.282:
	s_wait_xcnt 0x0
	v_trunc_f32_e32 v1, v0
	s_mov_b32 s3, -1
	s_mov_b32 s0, 0
	s_mov_b32 s4, 0
	s_delay_alu instid0(VALU_DEP_1) | instskip(NEXT) | instid1(VALU_DEP_1)
	v_mul_f32_e32 v4, 0x2f800000, v1
	v_floor_f32_e32 v4, v4
	s_delay_alu instid0(VALU_DEP_1) | instskip(SKIP_1) | instid1(VALU_DEP_2)
	v_fmamk_f32 v1, v4, 0xcf800000, v1
	v_cvt_u32_f32_e32 v5, v4
	v_cvt_u32_f32_e32 v4, v1
	global_store_b64 v[2:3], v[4:5], off
	s_branch .LBB21_284
.LBB21_283:
	s_mov_b32 s4, 0
.LBB21_284:
	s_delay_alu instid0(SALU_CYCLE_1)
	s_and_b32 vcc_lo, exec_lo, s4
	s_cbranch_vccz .LBB21_300
; %bb.285:
	s_cmp_lt_i32 s2, 27
	s_mov_b32 s3, -1
	s_cbranch_scc1 .LBB21_291
; %bb.286:
	s_wait_xcnt 0x0
	v_cvt_u32_f32_e32 v1, v0
	s_cmp_gt_i32 s2, 27
	s_cbranch_scc0 .LBB21_288
; %bb.287:
	s_mov_b32 s3, 0
	global_store_b32 v[2:3], v1, off
.LBB21_288:
	s_and_not1_b32 vcc_lo, exec_lo, s3
	s_cbranch_vccnz .LBB21_290
; %bb.289:
	global_store_b16 v[2:3], v1, off
.LBB21_290:
	s_mov_b32 s3, 0
.LBB21_291:
	s_delay_alu instid0(SALU_CYCLE_1)
	s_and_not1_b32 vcc_lo, exec_lo, s3
	s_cbranch_vccnz .LBB21_299
; %bb.292:
	s_wait_xcnt 0x0
	v_and_b32_e32 v1, 0x7fffffff, v0
	v_mov_b32_e32 v4, 0x80
	s_mov_b32 s3, exec_lo
	s_delay_alu instid0(VALU_DEP_2)
	v_cmpx_gt_u32_e32 0x43800000, v1
	s_cbranch_execz .LBB21_298
; %bb.293:
	v_cmp_lt_u32_e32 vcc_lo, 0x3bffffff, v1
	s_mov_b32 s4, 0
                                        ; implicit-def: $vgpr1
	s_and_saveexec_b32 s5, vcc_lo
	s_delay_alu instid0(SALU_CYCLE_1)
	s_xor_b32 s5, exec_lo, s5
	s_cbranch_execz .LBB21_396
; %bb.294:
	v_bfe_u32 v1, v0, 20, 1
	s_mov_b32 s4, exec_lo
	s_delay_alu instid0(VALU_DEP_1) | instskip(NEXT) | instid1(VALU_DEP_1)
	v_add3_u32 v1, v0, v1, 0x487ffff
	v_lshrrev_b32_e32 v1, 20, v1
	s_and_not1_saveexec_b32 s5, s5
	s_cbranch_execnz .LBB21_397
.LBB21_295:
	s_or_b32 exec_lo, exec_lo, s5
	v_mov_b32_e32 v4, 0
	s_and_saveexec_b32 s5, s4
.LBB21_296:
	v_lshrrev_b32_e32 v4, 24, v0
	s_delay_alu instid0(VALU_DEP_1)
	v_and_or_b32 v4, 0x80, v4, v1
.LBB21_297:
	s_or_b32 exec_lo, exec_lo, s5
.LBB21_298:
	s_delay_alu instid0(SALU_CYCLE_1)
	s_or_b32 exec_lo, exec_lo, s3
	global_store_b8 v[2:3], v4, off
.LBB21_299:
	s_mov_b32 s3, -1
.LBB21_300:
	s_mov_b32 s4, 0
.LBB21_301:
	s_delay_alu instid0(SALU_CYCLE_1)
	s_and_b32 vcc_lo, exec_lo, s4
	s_cbranch_vccz .LBB21_342
; %bb.302:
	s_cmp_gt_i32 s2, 22
	s_mov_b32 s4, -1
	s_cbranch_scc0 .LBB21_334
; %bb.303:
	s_cmp_lt_i32 s2, 24
	s_mov_b32 s3, -1
	s_cbranch_scc1 .LBB21_323
; %bb.304:
	s_cmp_gt_i32 s2, 24
	s_cbranch_scc0 .LBB21_312
; %bb.305:
	s_wait_xcnt 0x0
	v_and_b32_e32 v1, 0x7fffffff, v0
	v_mov_b32_e32 v4, 0x80
	s_mov_b32 s3, exec_lo
	s_delay_alu instid0(VALU_DEP_2)
	v_cmpx_gt_u32_e32 0x47800000, v1
	s_cbranch_execz .LBB21_311
; %bb.306:
	v_cmp_lt_u32_e32 vcc_lo, 0x37ffffff, v1
	s_mov_b32 s4, 0
                                        ; implicit-def: $vgpr1
	s_and_saveexec_b32 s5, vcc_lo
	s_delay_alu instid0(SALU_CYCLE_1)
	s_xor_b32 s5, exec_lo, s5
	s_cbranch_execz .LBB21_398
; %bb.307:
	v_bfe_u32 v1, v0, 21, 1
	s_mov_b32 s4, exec_lo
	s_delay_alu instid0(VALU_DEP_1) | instskip(NEXT) | instid1(VALU_DEP_1)
	v_add3_u32 v1, v0, v1, 0x88fffff
	v_lshrrev_b32_e32 v1, 21, v1
	s_and_not1_saveexec_b32 s5, s5
	s_cbranch_execnz .LBB21_399
.LBB21_308:
	s_or_b32 exec_lo, exec_lo, s5
	v_mov_b32_e32 v4, 0
	s_and_saveexec_b32 s5, s4
.LBB21_309:
	v_lshrrev_b32_e32 v4, 24, v0
	s_delay_alu instid0(VALU_DEP_1)
	v_and_or_b32 v4, 0x80, v4, v1
.LBB21_310:
	s_or_b32 exec_lo, exec_lo, s5
.LBB21_311:
	s_delay_alu instid0(SALU_CYCLE_1)
	s_or_b32 exec_lo, exec_lo, s3
	s_mov_b32 s3, 0
	global_store_b8 v[2:3], v4, off
.LBB21_312:
	s_and_b32 vcc_lo, exec_lo, s3
	s_cbranch_vccz .LBB21_322
; %bb.313:
	s_wait_xcnt 0x0
	v_and_b32_e32 v4, 0x7fffffff, v0
	s_mov_b32 s3, exec_lo
                                        ; implicit-def: $vgpr1
	s_delay_alu instid0(VALU_DEP_1)
	v_cmpx_gt_u32_e32 0x43f00000, v4
	s_xor_b32 s3, exec_lo, s3
	s_cbranch_execz .LBB21_319
; %bb.314:
	s_mov_b32 s4, exec_lo
                                        ; implicit-def: $vgpr1
	v_cmpx_lt_u32_e32 0x3c7fffff, v4
	s_xor_b32 s4, exec_lo, s4
; %bb.315:
	v_bfe_u32 v1, v0, 20, 1
	s_delay_alu instid0(VALU_DEP_1) | instskip(NEXT) | instid1(VALU_DEP_1)
	v_add3_u32 v1, v0, v1, 0x407ffff
	v_and_b32_e32 v4, 0xff00000, v1
	v_lshrrev_b32_e32 v1, 20, v1
	s_delay_alu instid0(VALU_DEP_2) | instskip(NEXT) | instid1(VALU_DEP_2)
	v_cmp_ne_u32_e32 vcc_lo, 0x7f00000, v4
	v_cndmask_b32_e32 v1, 0x7e, v1, vcc_lo
; %bb.316:
	s_and_not1_saveexec_b32 s4, s4
; %bb.317:
	v_add_f32_e64 v1, 0x46800000, |v0|
; %bb.318:
	s_or_b32 exec_lo, exec_lo, s4
                                        ; implicit-def: $vgpr4
.LBB21_319:
	s_and_not1_saveexec_b32 s3, s3
; %bb.320:
	v_mov_b32_e32 v1, 0x7f
	v_cmp_lt_u32_e32 vcc_lo, 0x7f800000, v4
	s_delay_alu instid0(VALU_DEP_2)
	v_cndmask_b32_e32 v1, 0x7e, v1, vcc_lo
; %bb.321:
	s_or_b32 exec_lo, exec_lo, s3
	v_lshrrev_b32_e32 v4, 24, v0
	s_delay_alu instid0(VALU_DEP_1)
	v_and_or_b32 v1, 0x80, v4, v1
	global_store_b8 v[2:3], v1, off
.LBB21_322:
	s_mov_b32 s3, 0
.LBB21_323:
	s_delay_alu instid0(SALU_CYCLE_1)
	s_and_not1_b32 vcc_lo, exec_lo, s3
	s_cbranch_vccnz .LBB21_333
; %bb.324:
	s_wait_xcnt 0x0
	v_and_b32_e32 v4, 0x7fffffff, v0
	s_mov_b32 s3, exec_lo
                                        ; implicit-def: $vgpr1
	s_delay_alu instid0(VALU_DEP_1)
	v_cmpx_gt_u32_e32 0x47800000, v4
	s_xor_b32 s3, exec_lo, s3
	s_cbranch_execz .LBB21_330
; %bb.325:
	s_mov_b32 s4, exec_lo
                                        ; implicit-def: $vgpr1
	v_cmpx_lt_u32_e32 0x387fffff, v4
	s_xor_b32 s4, exec_lo, s4
; %bb.326:
	v_bfe_u32 v1, v0, 21, 1
	s_delay_alu instid0(VALU_DEP_1) | instskip(NEXT) | instid1(VALU_DEP_1)
	v_add3_u32 v1, v0, v1, 0x80fffff
	v_lshrrev_b32_e32 v1, 21, v1
; %bb.327:
	s_and_not1_saveexec_b32 s4, s4
; %bb.328:
	v_add_f32_e64 v1, 0x43000000, |v0|
; %bb.329:
	s_or_b32 exec_lo, exec_lo, s4
                                        ; implicit-def: $vgpr4
.LBB21_330:
	s_and_not1_saveexec_b32 s3, s3
; %bb.331:
	v_mov_b32_e32 v1, 0x7f
	v_cmp_lt_u32_e32 vcc_lo, 0x7f800000, v4
	s_delay_alu instid0(VALU_DEP_2)
	v_cndmask_b32_e32 v1, 0x7c, v1, vcc_lo
; %bb.332:
	s_or_b32 exec_lo, exec_lo, s3
	v_lshrrev_b32_e32 v4, 24, v0
	s_delay_alu instid0(VALU_DEP_1)
	v_and_or_b32 v1, 0x80, v4, v1
	global_store_b8 v[2:3], v1, off
.LBB21_333:
	s_mov_b32 s4, 0
	s_mov_b32 s3, -1
.LBB21_334:
	s_and_not1_b32 vcc_lo, exec_lo, s4
	s_cbranch_vccnz .LBB21_342
; %bb.335:
	s_cmp_gt_i32 s2, 14
	s_mov_b32 s4, -1
	s_cbranch_scc0 .LBB21_339
; %bb.336:
	s_cmp_eq_u32 s2, 15
	s_mov_b32 s0, -1
	s_cbranch_scc0 .LBB21_338
; %bb.337:
	s_wait_xcnt 0x0
	v_bfe_u32 v1, v0, 16, 1
	v_cmp_o_f32_e32 vcc_lo, v0, v0
	s_mov_b32 s3, -1
	s_mov_b32 s0, 0
	s_delay_alu instid0(VALU_DEP_2) | instskip(NEXT) | instid1(VALU_DEP_1)
	v_add3_u32 v1, v0, v1, 0x7fff
	v_lshrrev_b32_e32 v1, 16, v1
	s_delay_alu instid0(VALU_DEP_1)
	v_cndmask_b32_e32 v1, 0x7fc0, v1, vcc_lo
	global_store_b16 v[2:3], v1, off
.LBB21_338:
	s_mov_b32 s4, 0
.LBB21_339:
	s_delay_alu instid0(SALU_CYCLE_1)
	s_and_b32 vcc_lo, exec_lo, s4
	s_cbranch_vccz .LBB21_342
; %bb.340:
	s_cmp_eq_u32 s2, 11
	s_mov_b32 s0, -1
	s_cbranch_scc0 .LBB21_342
; %bb.341:
	v_cmp_neq_f32_e32 vcc_lo, 0, v0
	s_mov_b32 s0, 0
	s_mov_b32 s3, -1
	s_wait_xcnt 0x0
	v_cndmask_b32_e64 v1, 0, 1, vcc_lo
	global_store_b8 v[2:3], v1, off
.LBB21_342:
	s_mov_b32 s2, 0
.LBB21_343:
	s_delay_alu instid0(SALU_CYCLE_1)
	s_and_b32 vcc_lo, exec_lo, s2
	s_cbranch_vccz .LBB21_382
; %bb.344:
	s_and_b32 s1, 0xffff, s1
	s_mov_b32 s2, -1
	s_cmp_lt_i32 s1, 5
	s_cbranch_scc1 .LBB21_365
; %bb.345:
	s_cmp_lt_i32 s1, 8
	s_cbranch_scc1 .LBB21_355
; %bb.346:
	;; [unrolled: 3-line block ×3, first 2 shown]
	s_cmp_gt_i32 s1, 9
	s_cbranch_scc0 .LBB21_349
; %bb.348:
	s_wait_xcnt 0x0
	v_cvt_f64_f32_e32 v[4:5], v0
	v_mov_b32_e32 v6, 0
	s_mov_b32 s2, 0
	s_delay_alu instid0(VALU_DEP_1)
	v_mov_b32_e32 v7, v6
	global_store_b128 v[2:3], v[4:7], off
.LBB21_349:
	s_and_not1_b32 vcc_lo, exec_lo, s2
	s_cbranch_vccnz .LBB21_351
; %bb.350:
	s_wait_xcnt 0x0
	v_mov_b32_e32 v1, 0
	global_store_b64 v[2:3], v[0:1], off
.LBB21_351:
	s_mov_b32 s2, 0
.LBB21_352:
	s_delay_alu instid0(SALU_CYCLE_1)
	s_and_not1_b32 vcc_lo, exec_lo, s2
	s_cbranch_vccnz .LBB21_354
; %bb.353:
	s_wait_xcnt 0x0
	v_cvt_f16_f32_e32 v1, v0
	s_delay_alu instid0(VALU_DEP_1)
	v_and_b32_e32 v1, 0xffff, v1
	global_store_b32 v[2:3], v1, off
.LBB21_354:
	s_mov_b32 s2, 0
.LBB21_355:
	s_delay_alu instid0(SALU_CYCLE_1)
	s_and_not1_b32 vcc_lo, exec_lo, s2
	s_cbranch_vccnz .LBB21_364
; %bb.356:
	s_cmp_lt_i32 s1, 6
	s_mov_b32 s2, -1
	s_cbranch_scc1 .LBB21_362
; %bb.357:
	s_cmp_gt_i32 s1, 6
	s_cbranch_scc0 .LBB21_359
; %bb.358:
	s_wait_xcnt 0x0
	v_cvt_f64_f32_e32 v[4:5], v0
	s_mov_b32 s2, 0
	global_store_b64 v[2:3], v[4:5], off
.LBB21_359:
	s_and_not1_b32 vcc_lo, exec_lo, s2
	s_cbranch_vccnz .LBB21_361
; %bb.360:
	global_store_b32 v[2:3], v0, off
.LBB21_361:
	s_mov_b32 s2, 0
.LBB21_362:
	s_delay_alu instid0(SALU_CYCLE_1)
	s_and_not1_b32 vcc_lo, exec_lo, s2
	s_cbranch_vccnz .LBB21_364
; %bb.363:
	s_wait_xcnt 0x0
	v_cvt_f16_f32_e32 v1, v0
	global_store_b16 v[2:3], v1, off
.LBB21_364:
	s_mov_b32 s2, 0
.LBB21_365:
	s_delay_alu instid0(SALU_CYCLE_1)
	s_and_not1_b32 vcc_lo, exec_lo, s2
	s_cbranch_vccnz .LBB21_381
; %bb.366:
	s_cmp_lt_i32 s1, 2
	s_mov_b32 s2, -1
	s_cbranch_scc1 .LBB21_376
; %bb.367:
	s_cmp_lt_i32 s1, 3
	s_cbranch_scc1 .LBB21_373
; %bb.368:
	s_cmp_gt_i32 s1, 3
	s_cbranch_scc0 .LBB21_370
; %bb.369:
	s_wait_xcnt 0x0
	v_trunc_f32_e32 v1, v0
	s_mov_b32 s2, 0
	s_delay_alu instid0(VALU_DEP_1) | instskip(NEXT) | instid1(VALU_DEP_1)
	v_mul_f32_e64 v4, 0x2f800000, |v1|
	v_floor_f32_e32 v5, v4
	v_ashrrev_i32_e32 v4, 31, v1
	s_delay_alu instid0(VALU_DEP_2) | instskip(SKIP_1) | instid1(VALU_DEP_3)
	v_fma_f32 v6, 0xcf800000, v5, |v1|
	v_cvt_u32_f32_e32 v1, v5
	v_mov_b32_e32 v5, v4
	s_delay_alu instid0(VALU_DEP_3) | instskip(NEXT) | instid1(VALU_DEP_3)
	v_cvt_u32_f32_e32 v6, v6
	v_xor_b32_e32 v7, v1, v4
	s_delay_alu instid0(VALU_DEP_2) | instskip(NEXT) | instid1(VALU_DEP_1)
	v_xor_b32_e32 v6, v6, v4
	v_sub_nc_u64_e32 v[4:5], v[6:7], v[4:5]
	global_store_b64 v[2:3], v[4:5], off
.LBB21_370:
	s_and_not1_b32 vcc_lo, exec_lo, s2
	s_cbranch_vccnz .LBB21_372
; %bb.371:
	s_wait_xcnt 0x0
	v_cvt_i32_f32_e32 v1, v0
	global_store_b32 v[2:3], v1, off
.LBB21_372:
	s_mov_b32 s2, 0
.LBB21_373:
	s_delay_alu instid0(SALU_CYCLE_1)
	s_and_not1_b32 vcc_lo, exec_lo, s2
	s_cbranch_vccnz .LBB21_375
; %bb.374:
	s_wait_xcnt 0x0
	v_cvt_i32_f32_e32 v1, v0
	global_store_b16 v[2:3], v1, off
.LBB21_375:
	s_mov_b32 s2, 0
.LBB21_376:
	s_delay_alu instid0(SALU_CYCLE_1)
	s_and_not1_b32 vcc_lo, exec_lo, s2
	s_cbranch_vccnz .LBB21_381
; %bb.377:
	s_cmp_gt_i32 s1, 0
	s_mov_b32 s1, -1
	s_cbranch_scc0 .LBB21_379
; %bb.378:
	s_wait_xcnt 0x0
	v_cvt_i32_f32_e32 v1, v0
	s_mov_b32 s1, 0
	global_store_b8 v[2:3], v1, off
.LBB21_379:
	s_and_not1_b32 vcc_lo, exec_lo, s1
	s_cbranch_vccnz .LBB21_381
; %bb.380:
	s_wait_xcnt 0x0
	v_trunc_f32_e32 v0, v0
	s_delay_alu instid0(VALU_DEP_1) | instskip(NEXT) | instid1(VALU_DEP_1)
	v_mul_f32_e64 v1, 0x2f800000, |v0|
	v_floor_f32_e32 v1, v1
	s_delay_alu instid0(VALU_DEP_1) | instskip(SKIP_1) | instid1(VALU_DEP_2)
	v_fma_f32 v1, 0xcf800000, v1, |v0|
	v_ashrrev_i32_e32 v0, 31, v0
	v_cvt_u32_f32_e32 v1, v1
	s_delay_alu instid0(VALU_DEP_1) | instskip(NEXT) | instid1(VALU_DEP_1)
	v_xor_b32_e32 v1, v1, v0
	v_sub_nc_u32_e32 v0, v1, v0
	global_store_b8 v[2:3], v0, off
.LBB21_381:
	s_mov_b32 s3, -1
.LBB21_382:
	s_delay_alu instid0(SALU_CYCLE_1)
	s_and_not1_b32 vcc_lo, exec_lo, s3
	s_cbranch_vccnz .LBB21_384
; %bb.383:
	v_add_nc_u32_e32 v31, 0x80, v31
	s_mov_b32 s1, -1
	s_branch .LBB21_385
.LBB21_384:
	s_mov_b32 s1, 0
                                        ; implicit-def: $vgpr31
.LBB21_385:
	s_and_not1_b32 s2, s23, exec_lo
	s_and_b32 s0, s0, exec_lo
	s_or_not1_b32 s3, s1, exec_lo
	s_or_b32 s26, s2, s0
.LBB21_386:
	s_wait_xcnt 0x0
	s_or_b32 exec_lo, exec_lo, s25
	s_mov_b32 s0, 0
	s_mov_b32 s2, 0
                                        ; implicit-def: $sgpr1
                                        ; implicit-def: $vgpr2_vgpr3
                                        ; implicit-def: $vgpr0
	s_and_saveexec_b32 s25, s3
	s_cbranch_execz .LBB21_470
; %bb.387:
	v_cmp_gt_i32_e32 vcc_lo, s21, v31
	s_mov_b32 s3, s26
                                        ; implicit-def: $sgpr1
                                        ; implicit-def: $vgpr2_vgpr3
                                        ; implicit-def: $vgpr0
	s_and_saveexec_b32 s21, vcc_lo
	s_cbranch_execz .LBB21_469
; %bb.388:
	v_dual_mov_b32 v0, s14 :: v_dual_mov_b32 v1, s15
	v_dual_mov_b32 v2, s17 :: v_dual_mov_b32 v3, v33
	v_mov_b32_e32 v4, v31
	s_get_pc_i64 s[0:1]
	s_add_nc_u64 s[0:1], s[0:1], _ZN2at6native6invokeIZZZNS0_12_GLOBAL__N_121bessel_y1_kernel_cudaERNS_18TensorIteratorBaseEENKUlvE_clEvENKUlvE0_clEvEUlfE_i15function_traitsIS7_EEENT1_11result_typeERKT_PrKPcPKT0_PKN3c1010ScalarTypeEi@rel64+4
	s_delay_alu instid0(SALU_CYCLE_1) | instskip(SKIP_2) | instid1(SALU_CYCLE_1)
	s_swap_pc_i64 s[30:31], s[0:1]
	v_mul_lo_u32 v2, v31, s16
	s_and_b32 s1, s11, 0xff
	s_cmp_lt_i32 s1, 11
	s_delay_alu instid0(VALU_DEP_1) | instskip(NEXT) | instid1(VALU_DEP_1)
	v_ashrrev_i32_e32 v3, 31, v2
	v_add_nc_u64_e32 v[2:3], s[12:13], v[2:3]
	s_cbranch_scc1 .LBB21_395
; %bb.389:
	s_and_b32 s2, 0xffff, s1
	s_mov_b32 s3, -1
	s_cmp_gt_i32 s2, 25
	s_mov_b32 s0, s26
	s_cbranch_scc0 .LBB21_427
; %bb.390:
	s_cmp_gt_i32 s2, 28
	s_mov_b32 s0, s26
	s_cbranch_scc0 .LBB21_411
; %bb.391:
	;; [unrolled: 4-line block ×4, first 2 shown]
	s_cmp_eq_u32 s2, 46
	s_mov_b32 s0, -1
	s_cbranch_scc0 .LBB21_400
; %bb.394:
	v_bfe_u32 v1, v0, 16, 1
	v_cmp_o_f32_e32 vcc_lo, v0, v0
	s_mov_b32 s0, 0
	s_mov_b32 s3, 0
	s_delay_alu instid0(VALU_DEP_2) | instskip(NEXT) | instid1(VALU_DEP_1)
	v_add3_u32 v1, v0, v1, 0x7fff
	v_lshrrev_b32_e32 v1, 16, v1
	s_delay_alu instid0(VALU_DEP_1)
	v_cndmask_b32_e32 v1, 0x7fc0, v1, vcc_lo
	global_store_b32 v[2:3], v1, off
	s_branch .LBB21_401
.LBB21_395:
	s_mov_b32 s4, 0
	s_mov_b32 s3, -1
	s_mov_b32 s0, s26
	s_branch .LBB21_468
.LBB21_396:
	s_and_not1_saveexec_b32 s5, s5
	s_cbranch_execz .LBB21_295
.LBB21_397:
	v_add_f32_e64 v1, 0x46000000, |v0|
	s_and_not1_b32 s4, s4, exec_lo
	s_delay_alu instid0(VALU_DEP_1) | instskip(NEXT) | instid1(VALU_DEP_1)
	v_and_b32_e32 v1, 0xff, v1
	v_cmp_ne_u32_e32 vcc_lo, 0, v1
	s_and_b32 s6, vcc_lo, exec_lo
	s_delay_alu instid0(SALU_CYCLE_1)
	s_or_b32 s4, s4, s6
	s_or_b32 exec_lo, exec_lo, s5
	v_mov_b32_e32 v4, 0
	s_and_saveexec_b32 s5, s4
	s_cbranch_execnz .LBB21_296
	s_branch .LBB21_297
.LBB21_398:
	s_and_not1_saveexec_b32 s5, s5
	s_cbranch_execz .LBB21_308
.LBB21_399:
	v_add_f32_e64 v1, 0x42800000, |v0|
	s_and_not1_b32 s4, s4, exec_lo
	s_delay_alu instid0(VALU_DEP_1) | instskip(NEXT) | instid1(VALU_DEP_1)
	v_and_b32_e32 v1, 0xff, v1
	v_cmp_ne_u32_e32 vcc_lo, 0, v1
	s_and_b32 s6, vcc_lo, exec_lo
	s_delay_alu instid0(SALU_CYCLE_1)
	s_or_b32 s4, s4, s6
	s_or_b32 exec_lo, exec_lo, s5
	v_mov_b32_e32 v4, 0
	s_and_saveexec_b32 s5, s4
	s_cbranch_execnz .LBB21_309
	s_branch .LBB21_310
.LBB21_400:
	s_mov_b32 s3, 0
.LBB21_401:
	s_delay_alu instid0(SALU_CYCLE_1)
	s_and_b32 vcc_lo, exec_lo, s3
	s_cbranch_vccz .LBB21_406
; %bb.402:
	s_cmp_eq_u32 s2, 44
	s_mov_b32 s0, -1
	s_cbranch_scc0 .LBB21_406
; %bb.403:
	v_bfe_u32 v4, v0, 23, 8
	s_wait_xcnt 0x0
	v_mov_b32_e32 v1, 0xff
	s_mov_b32 s3, exec_lo
	s_delay_alu instid0(VALU_DEP_2)
	v_cmpx_ne_u32_e32 0xff, v4
	s_cbranch_execz .LBB21_405
; %bb.404:
	v_and_b32_e32 v1, 0x400000, v0
	v_and_or_b32 v4, 0x3fffff, v0, v4
	s_delay_alu instid0(VALU_DEP_2) | instskip(NEXT) | instid1(VALU_DEP_2)
	v_cmp_ne_u32_e32 vcc_lo, 0, v1
	v_cmp_ne_u32_e64 s0, 0, v4
	v_lshrrev_b32_e32 v1, 23, v0
	s_and_b32 s0, vcc_lo, s0
	s_delay_alu instid0(SALU_CYCLE_1) | instskip(NEXT) | instid1(VALU_DEP_1)
	v_cndmask_b32_e64 v4, 0, 1, s0
	v_add_nc_u32_e32 v1, v1, v4
.LBB21_405:
	s_or_b32 exec_lo, exec_lo, s3
	s_mov_b32 s0, 0
	global_store_b8 v[2:3], v1, off
.LBB21_406:
	s_mov_b32 s3, 0
.LBB21_407:
	s_delay_alu instid0(SALU_CYCLE_1)
	s_and_b32 vcc_lo, exec_lo, s3
	s_cbranch_vccz .LBB21_410
; %bb.408:
	s_cmp_eq_u32 s2, 29
	s_mov_b32 s0, -1
	s_cbranch_scc0 .LBB21_410
; %bb.409:
	s_wait_xcnt 0x0
	v_trunc_f32_e32 v1, v0
	s_mov_b32 s0, 0
	s_mov_b32 s3, 0
	s_delay_alu instid0(VALU_DEP_1) | instskip(NEXT) | instid1(VALU_DEP_1)
	v_mul_f32_e32 v4, 0x2f800000, v1
	v_floor_f32_e32 v4, v4
	s_delay_alu instid0(VALU_DEP_1) | instskip(SKIP_1) | instid1(VALU_DEP_2)
	v_fmamk_f32 v1, v4, 0xcf800000, v1
	v_cvt_u32_f32_e32 v5, v4
	v_cvt_u32_f32_e32 v4, v1
	global_store_b64 v[2:3], v[4:5], off
	s_branch .LBB21_411
.LBB21_410:
	s_mov_b32 s3, 0
.LBB21_411:
	s_delay_alu instid0(SALU_CYCLE_1)
	s_and_b32 vcc_lo, exec_lo, s3
	s_cbranch_vccz .LBB21_426
; %bb.412:
	s_cmp_lt_i32 s2, 27
	s_mov_b32 s3, -1
	s_cbranch_scc1 .LBB21_418
; %bb.413:
	s_wait_xcnt 0x0
	v_cvt_u32_f32_e32 v1, v0
	s_cmp_gt_i32 s2, 27
	s_cbranch_scc0 .LBB21_415
; %bb.414:
	s_mov_b32 s3, 0
	global_store_b32 v[2:3], v1, off
.LBB21_415:
	s_and_not1_b32 vcc_lo, exec_lo, s3
	s_cbranch_vccnz .LBB21_417
; %bb.416:
	global_store_b16 v[2:3], v1, off
.LBB21_417:
	s_mov_b32 s3, 0
.LBB21_418:
	s_delay_alu instid0(SALU_CYCLE_1)
	s_and_not1_b32 vcc_lo, exec_lo, s3
	s_cbranch_vccnz .LBB21_426
; %bb.419:
	s_wait_xcnt 0x0
	v_and_b32_e32 v1, 0x7fffffff, v0
	v_mov_b32_e32 v4, 0x80
	s_mov_b32 s3, exec_lo
	s_delay_alu instid0(VALU_DEP_2)
	v_cmpx_gt_u32_e32 0x43800000, v1
	s_cbranch_execz .LBB21_425
; %bb.420:
	v_cmp_lt_u32_e32 vcc_lo, 0x3bffffff, v1
	s_mov_b32 s4, 0
                                        ; implicit-def: $vgpr1
	s_and_saveexec_b32 s5, vcc_lo
	s_delay_alu instid0(SALU_CYCLE_1)
	s_xor_b32 s5, exec_lo, s5
	s_cbranch_execz .LBB21_1007
; %bb.421:
	v_bfe_u32 v1, v0, 20, 1
	s_mov_b32 s4, exec_lo
	s_delay_alu instid0(VALU_DEP_1) | instskip(NEXT) | instid1(VALU_DEP_1)
	v_add3_u32 v1, v0, v1, 0x487ffff
	v_lshrrev_b32_e32 v1, 20, v1
	s_and_not1_saveexec_b32 s5, s5
	s_cbranch_execnz .LBB21_1008
.LBB21_422:
	s_or_b32 exec_lo, exec_lo, s5
	v_mov_b32_e32 v4, 0
	s_and_saveexec_b32 s5, s4
.LBB21_423:
	v_lshrrev_b32_e32 v4, 24, v0
	s_delay_alu instid0(VALU_DEP_1)
	v_and_or_b32 v4, 0x80, v4, v1
.LBB21_424:
	s_or_b32 exec_lo, exec_lo, s5
.LBB21_425:
	s_delay_alu instid0(SALU_CYCLE_1)
	s_or_b32 exec_lo, exec_lo, s3
	global_store_b8 v[2:3], v4, off
.LBB21_426:
	s_mov_b32 s3, 0
.LBB21_427:
	s_delay_alu instid0(SALU_CYCLE_1)
	s_and_b32 vcc_lo, exec_lo, s3
	s_mov_b32 s3, 0
	s_cbranch_vccz .LBB21_467
; %bb.428:
	s_cmp_gt_i32 s2, 22
	s_mov_b32 s4, -1
	s_cbranch_scc0 .LBB21_460
; %bb.429:
	s_cmp_lt_i32 s2, 24
	s_cbranch_scc1 .LBB21_449
; %bb.430:
	s_cmp_gt_i32 s2, 24
	s_cbranch_scc0 .LBB21_438
; %bb.431:
	s_wait_xcnt 0x0
	v_and_b32_e32 v1, 0x7fffffff, v0
	v_mov_b32_e32 v4, 0x80
	s_mov_b32 s4, exec_lo
	s_delay_alu instid0(VALU_DEP_2)
	v_cmpx_gt_u32_e32 0x47800000, v1
	s_cbranch_execz .LBB21_437
; %bb.432:
	v_cmp_lt_u32_e32 vcc_lo, 0x37ffffff, v1
	s_mov_b32 s5, 0
                                        ; implicit-def: $vgpr1
	s_and_saveexec_b32 s6, vcc_lo
	s_delay_alu instid0(SALU_CYCLE_1)
	s_xor_b32 s6, exec_lo, s6
	s_cbranch_execz .LBB21_1011
; %bb.433:
	v_bfe_u32 v1, v0, 21, 1
	s_mov_b32 s5, exec_lo
	s_delay_alu instid0(VALU_DEP_1) | instskip(NEXT) | instid1(VALU_DEP_1)
	v_add3_u32 v1, v0, v1, 0x88fffff
	v_lshrrev_b32_e32 v1, 21, v1
	s_and_not1_saveexec_b32 s6, s6
	s_cbranch_execnz .LBB21_1012
.LBB21_434:
	s_or_b32 exec_lo, exec_lo, s6
	v_mov_b32_e32 v4, 0
	s_and_saveexec_b32 s6, s5
.LBB21_435:
	v_lshrrev_b32_e32 v4, 24, v0
	s_delay_alu instid0(VALU_DEP_1)
	v_and_or_b32 v4, 0x80, v4, v1
.LBB21_436:
	s_or_b32 exec_lo, exec_lo, s6
.LBB21_437:
	s_delay_alu instid0(SALU_CYCLE_1)
	s_or_b32 exec_lo, exec_lo, s4
	s_mov_b32 s4, 0
	global_store_b8 v[2:3], v4, off
.LBB21_438:
	s_and_b32 vcc_lo, exec_lo, s4
	s_cbranch_vccz .LBB21_448
; %bb.439:
	s_wait_xcnt 0x0
	v_and_b32_e32 v4, 0x7fffffff, v0
	s_mov_b32 s4, exec_lo
                                        ; implicit-def: $vgpr1
	s_delay_alu instid0(VALU_DEP_1)
	v_cmpx_gt_u32_e32 0x43f00000, v4
	s_xor_b32 s4, exec_lo, s4
	s_cbranch_execz .LBB21_445
; %bb.440:
	s_mov_b32 s5, exec_lo
                                        ; implicit-def: $vgpr1
	v_cmpx_lt_u32_e32 0x3c7fffff, v4
	s_xor_b32 s5, exec_lo, s5
; %bb.441:
	v_bfe_u32 v1, v0, 20, 1
	s_delay_alu instid0(VALU_DEP_1) | instskip(NEXT) | instid1(VALU_DEP_1)
	v_add3_u32 v1, v0, v1, 0x407ffff
	v_and_b32_e32 v4, 0xff00000, v1
	v_lshrrev_b32_e32 v1, 20, v1
	s_delay_alu instid0(VALU_DEP_2) | instskip(NEXT) | instid1(VALU_DEP_2)
	v_cmp_ne_u32_e32 vcc_lo, 0x7f00000, v4
	v_cndmask_b32_e32 v1, 0x7e, v1, vcc_lo
; %bb.442:
	s_and_not1_saveexec_b32 s5, s5
; %bb.443:
	v_add_f32_e64 v1, 0x46800000, |v0|
; %bb.444:
	s_or_b32 exec_lo, exec_lo, s5
                                        ; implicit-def: $vgpr4
.LBB21_445:
	s_and_not1_saveexec_b32 s4, s4
; %bb.446:
	v_mov_b32_e32 v1, 0x7f
	v_cmp_lt_u32_e32 vcc_lo, 0x7f800000, v4
	s_delay_alu instid0(VALU_DEP_2)
	v_cndmask_b32_e32 v1, 0x7e, v1, vcc_lo
; %bb.447:
	s_or_b32 exec_lo, exec_lo, s4
	v_lshrrev_b32_e32 v4, 24, v0
	s_delay_alu instid0(VALU_DEP_1)
	v_and_or_b32 v1, 0x80, v4, v1
	global_store_b8 v[2:3], v1, off
.LBB21_448:
	s_mov_b32 s4, 0
.LBB21_449:
	s_delay_alu instid0(SALU_CYCLE_1)
	s_and_not1_b32 vcc_lo, exec_lo, s4
	s_cbranch_vccnz .LBB21_459
; %bb.450:
	s_wait_xcnt 0x0
	v_and_b32_e32 v4, 0x7fffffff, v0
	s_mov_b32 s4, exec_lo
                                        ; implicit-def: $vgpr1
	s_delay_alu instid0(VALU_DEP_1)
	v_cmpx_gt_u32_e32 0x47800000, v4
	s_xor_b32 s4, exec_lo, s4
	s_cbranch_execz .LBB21_456
; %bb.451:
	s_mov_b32 s5, exec_lo
                                        ; implicit-def: $vgpr1
	v_cmpx_lt_u32_e32 0x387fffff, v4
	s_xor_b32 s5, exec_lo, s5
; %bb.452:
	v_bfe_u32 v1, v0, 21, 1
	s_delay_alu instid0(VALU_DEP_1) | instskip(NEXT) | instid1(VALU_DEP_1)
	v_add3_u32 v1, v0, v1, 0x80fffff
	v_lshrrev_b32_e32 v1, 21, v1
; %bb.453:
	s_and_not1_saveexec_b32 s5, s5
; %bb.454:
	v_add_f32_e64 v1, 0x43000000, |v0|
; %bb.455:
	s_or_b32 exec_lo, exec_lo, s5
                                        ; implicit-def: $vgpr4
.LBB21_456:
	s_and_not1_saveexec_b32 s4, s4
; %bb.457:
	v_mov_b32_e32 v1, 0x7f
	v_cmp_lt_u32_e32 vcc_lo, 0x7f800000, v4
	s_delay_alu instid0(VALU_DEP_2)
	v_cndmask_b32_e32 v1, 0x7c, v1, vcc_lo
; %bb.458:
	s_or_b32 exec_lo, exec_lo, s4
	v_lshrrev_b32_e32 v4, 24, v0
	s_delay_alu instid0(VALU_DEP_1)
	v_and_or_b32 v1, 0x80, v4, v1
	global_store_b8 v[2:3], v1, off
.LBB21_459:
	s_mov_b32 s4, 0
.LBB21_460:
	s_delay_alu instid0(SALU_CYCLE_1)
	s_and_not1_b32 vcc_lo, exec_lo, s4
	s_mov_b32 s4, 0
	s_cbranch_vccnz .LBB21_468
; %bb.461:
	s_cmp_gt_i32 s2, 14
	s_mov_b32 s4, -1
	s_cbranch_scc0 .LBB21_465
; %bb.462:
	s_cmp_eq_u32 s2, 15
	s_mov_b32 s0, -1
	s_cbranch_scc0 .LBB21_464
; %bb.463:
	s_wait_xcnt 0x0
	v_bfe_u32 v1, v0, 16, 1
	v_cmp_o_f32_e32 vcc_lo, v0, v0
	s_mov_b32 s0, 0
	s_delay_alu instid0(VALU_DEP_2) | instskip(NEXT) | instid1(VALU_DEP_1)
	v_add3_u32 v1, v0, v1, 0x7fff
	v_lshrrev_b32_e32 v1, 16, v1
	s_delay_alu instid0(VALU_DEP_1)
	v_cndmask_b32_e32 v1, 0x7fc0, v1, vcc_lo
	global_store_b16 v[2:3], v1, off
.LBB21_464:
	s_mov_b32 s4, 0
.LBB21_465:
	s_delay_alu instid0(SALU_CYCLE_1)
	s_and_b32 vcc_lo, exec_lo, s4
	s_mov_b32 s4, 0
	s_cbranch_vccz .LBB21_468
; %bb.466:
	s_cmp_lg_u32 s2, 11
	s_mov_b32 s4, -1
	s_cselect_b32 s2, -1, 0
	s_and_not1_b32 s0, s0, exec_lo
	s_and_b32 s2, s2, exec_lo
	s_delay_alu instid0(SALU_CYCLE_1)
	s_or_b32 s0, s0, s2
	s_branch .LBB21_468
.LBB21_467:
	s_mov_b32 s4, 0
.LBB21_468:
	s_and_b32 s2, s3, exec_lo
	s_and_not1_b32 s3, s26, exec_lo
	s_and_b32 s5, s0, exec_lo
	s_and_b32 s0, s4, exec_lo
	s_or_b32 s3, s3, s5
.LBB21_469:
	s_wait_xcnt 0x0
	s_or_b32 exec_lo, exec_lo, s21
	s_delay_alu instid0(SALU_CYCLE_1)
	s_and_not1_b32 s4, s26, exec_lo
	s_and_b32 s3, s3, exec_lo
	s_and_b32 s2, s2, exec_lo
	;; [unrolled: 1-line block ×3, first 2 shown]
	s_or_b32 s26, s4, s3
.LBB21_470:
	s_or_b32 exec_lo, exec_lo, s25
	s_delay_alu instid0(SALU_CYCLE_1)
	s_and_not1_b32 s3, s23, exec_lo
	s_and_b32 s4, s26, exec_lo
	s_and_b32 s2, s2, exec_lo
	;; [unrolled: 1-line block ×3, first 2 shown]
	s_or_b32 s23, s3, s4
.LBB21_471:
	s_or_b32 exec_lo, exec_lo, s24
	s_delay_alu instid0(SALU_CYCLE_1)
	s_and_not1_b32 s3, s20, exec_lo
	s_and_b32 s4, s23, exec_lo
	s_and_b32 s2, s2, exec_lo
	;; [unrolled: 1-line block ×3, first 2 shown]
	s_or_b32 s20, s3, s4
	s_or_b32 exec_lo, exec_lo, s22
	s_mov_b32 s0, 0
	s_and_saveexec_b32 s3, s20
	s_cbranch_execz .LBB21_134
.LBB21_472:
	s_mov_b32 s0, exec_lo
	s_and_not1_b32 s23, s23, exec_lo
	s_trap 2
	s_or_b32 exec_lo, exec_lo, s3
	s_and_saveexec_b32 s3, s23
	s_delay_alu instid0(SALU_CYCLE_1)
	s_xor_b32 s3, exec_lo, s3
	s_cbranch_execnz .LBB21_135
.LBB21_473:
	s_or_b32 exec_lo, exec_lo, s3
	s_and_saveexec_b32 s3, s2
	s_delay_alu instid0(SALU_CYCLE_1)
	s_xor_b32 s2, exec_lo, s3
	s_cbranch_execz .LBB21_511
.LBB21_474:
	s_sext_i32_i16 s4, s1
	s_mov_b32 s3, -1
	s_cmp_lt_i32 s4, 5
	s_cbranch_scc1 .LBB21_495
; %bb.475:
	s_cmp_lt_i32 s4, 8
	s_cbranch_scc1 .LBB21_485
; %bb.476:
	;; [unrolled: 3-line block ×3, first 2 shown]
	s_cmp_gt_i32 s4, 9
	s_cbranch_scc0 .LBB21_479
; %bb.478:
	v_cvt_f64_f32_e32 v[4:5], v0
	v_mov_b32_e32 v6, 0
	s_mov_b32 s3, 0
	s_delay_alu instid0(VALU_DEP_1)
	v_mov_b32_e32 v7, v6
	global_store_b128 v[2:3], v[4:7], off
.LBB21_479:
	s_and_not1_b32 vcc_lo, exec_lo, s3
	s_cbranch_vccnz .LBB21_481
; %bb.480:
	v_mov_b32_e32 v1, 0
	global_store_b64 v[2:3], v[0:1], off
.LBB21_481:
	s_mov_b32 s3, 0
.LBB21_482:
	s_delay_alu instid0(SALU_CYCLE_1)
	s_and_not1_b32 vcc_lo, exec_lo, s3
	s_cbranch_vccnz .LBB21_484
; %bb.483:
	s_wait_xcnt 0x0
	v_cvt_f16_f32_e32 v1, v0
	s_delay_alu instid0(VALU_DEP_1)
	v_and_b32_e32 v1, 0xffff, v1
	global_store_b32 v[2:3], v1, off
.LBB21_484:
	s_mov_b32 s3, 0
.LBB21_485:
	s_delay_alu instid0(SALU_CYCLE_1)
	s_and_not1_b32 vcc_lo, exec_lo, s3
	s_cbranch_vccnz .LBB21_494
; %bb.486:
	s_sext_i32_i16 s4, s1
	s_mov_b32 s3, -1
	s_cmp_lt_i32 s4, 6
	s_cbranch_scc1 .LBB21_492
; %bb.487:
	s_cmp_gt_i32 s4, 6
	s_cbranch_scc0 .LBB21_489
; %bb.488:
	s_wait_xcnt 0x0
	v_cvt_f64_f32_e32 v[4:5], v0
	s_mov_b32 s3, 0
	global_store_b64 v[2:3], v[4:5], off
.LBB21_489:
	s_and_not1_b32 vcc_lo, exec_lo, s3
	s_cbranch_vccnz .LBB21_491
; %bb.490:
	global_store_b32 v[2:3], v0, off
.LBB21_491:
	s_mov_b32 s3, 0
.LBB21_492:
	s_delay_alu instid0(SALU_CYCLE_1)
	s_and_not1_b32 vcc_lo, exec_lo, s3
	s_cbranch_vccnz .LBB21_494
; %bb.493:
	s_wait_xcnt 0x0
	v_cvt_f16_f32_e32 v1, v0
	global_store_b16 v[2:3], v1, off
.LBB21_494:
	s_mov_b32 s3, 0
.LBB21_495:
	s_delay_alu instid0(SALU_CYCLE_1)
	s_and_not1_b32 vcc_lo, exec_lo, s3
	s_cbranch_vccnz .LBB21_511
; %bb.496:
	s_sext_i32_i16 s4, s1
	s_mov_b32 s3, -1
	s_cmp_lt_i32 s4, 2
	s_cbranch_scc1 .LBB21_506
; %bb.497:
	s_cmp_lt_i32 s4, 3
	s_cbranch_scc1 .LBB21_503
; %bb.498:
	s_cmp_gt_i32 s4, 3
	s_cbranch_scc0 .LBB21_500
; %bb.499:
	s_wait_xcnt 0x0
	v_trunc_f32_e32 v1, v0
	s_mov_b32 s3, 0
	s_delay_alu instid0(VALU_DEP_1) | instskip(NEXT) | instid1(VALU_DEP_1)
	v_mul_f32_e64 v4, 0x2f800000, |v1|
	v_floor_f32_e32 v5, v4
	v_ashrrev_i32_e32 v4, 31, v1
	s_delay_alu instid0(VALU_DEP_2) | instskip(SKIP_1) | instid1(VALU_DEP_3)
	v_fma_f32 v6, 0xcf800000, v5, |v1|
	v_cvt_u32_f32_e32 v1, v5
	v_mov_b32_e32 v5, v4
	s_delay_alu instid0(VALU_DEP_3) | instskip(NEXT) | instid1(VALU_DEP_3)
	v_cvt_u32_f32_e32 v6, v6
	v_xor_b32_e32 v7, v1, v4
	s_delay_alu instid0(VALU_DEP_2) | instskip(NEXT) | instid1(VALU_DEP_1)
	v_xor_b32_e32 v6, v6, v4
	v_sub_nc_u64_e32 v[4:5], v[6:7], v[4:5]
	global_store_b64 v[2:3], v[4:5], off
.LBB21_500:
	s_and_not1_b32 vcc_lo, exec_lo, s3
	s_cbranch_vccnz .LBB21_502
; %bb.501:
	s_wait_xcnt 0x0
	v_cvt_i32_f32_e32 v1, v0
	global_store_b32 v[2:3], v1, off
.LBB21_502:
	s_mov_b32 s3, 0
.LBB21_503:
	s_delay_alu instid0(SALU_CYCLE_1)
	s_and_not1_b32 vcc_lo, exec_lo, s3
	s_cbranch_vccnz .LBB21_505
; %bb.504:
	s_wait_xcnt 0x0
	v_cvt_i32_f32_e32 v1, v0
	global_store_b16 v[2:3], v1, off
.LBB21_505:
	s_mov_b32 s3, 0
.LBB21_506:
	s_delay_alu instid0(SALU_CYCLE_1)
	s_and_not1_b32 vcc_lo, exec_lo, s3
	s_cbranch_vccnz .LBB21_511
; %bb.507:
	s_sext_i32_i16 s1, s1
	s_delay_alu instid0(SALU_CYCLE_1)
	s_cmp_gt_i32 s1, 0
	s_mov_b32 s1, -1
	s_cbranch_scc0 .LBB21_509
; %bb.508:
	s_wait_xcnt 0x0
	v_cvt_i32_f32_e32 v1, v0
	s_mov_b32 s1, 0
	global_store_b8 v[2:3], v1, off
.LBB21_509:
	s_and_not1_b32 vcc_lo, exec_lo, s1
	s_cbranch_vccnz .LBB21_511
; %bb.510:
	s_wait_xcnt 0x0
	v_trunc_f32_e32 v0, v0
	s_delay_alu instid0(VALU_DEP_1) | instskip(NEXT) | instid1(VALU_DEP_1)
	v_mul_f32_e64 v1, 0x2f800000, |v0|
	v_floor_f32_e32 v1, v1
	s_delay_alu instid0(VALU_DEP_1) | instskip(SKIP_1) | instid1(VALU_DEP_2)
	v_fma_f32 v1, 0xcf800000, v1, |v0|
	v_ashrrev_i32_e32 v0, 31, v0
	v_cvt_u32_f32_e32 v1, v1
	s_delay_alu instid0(VALU_DEP_1) | instskip(NEXT) | instid1(VALU_DEP_1)
	v_xor_b32_e32 v1, v1, v0
	v_sub_nc_u32_e32 v0, v1, v0
	global_store_b8 v[2:3], v0, off
.LBB21_511:
	s_wait_xcnt 0x0
	s_or_b32 exec_lo, exec_lo, s2
	s_delay_alu instid0(SALU_CYCLE_1)
	s_and_b32 s20, s0, exec_lo
                                        ; implicit-def: $vgpr31
                                        ; implicit-def: $vgpr33
                                        ; implicit-def: $vgpr35
.LBB21_512:
	s_or_saveexec_b32 s19, s19
	s_mov_b32 s0, 0
                                        ; implicit-def: $sgpr1
                                        ; implicit-def: $vgpr2_vgpr3
                                        ; implicit-def: $vgpr0
	s_xor_b32 exec_lo, exec_lo, s19
	s_cbranch_execz .LBB21_945
; %bb.513:
	v_dual_mov_b32 v1, s15 :: v_dual_add_nc_u32 v32, 0x80, v31
	v_dual_mov_b32 v0, s14 :: v_dual_add_nc_u32 v37, 0x100, v31
	v_dual_mov_b32 v2, s17 :: v_dual_mov_b32 v3, v33
	v_mov_b32_e32 v4, v31
	s_get_pc_i64 s[22:23]
	s_add_nc_u64 s[22:23], s[22:23], _ZN2at6native6invokeIZZZNS0_12_GLOBAL__N_121bessel_y1_kernel_cudaERNS_18TensorIteratorBaseEENKUlvE_clEvENKUlvE0_clEvEUlfE_i15function_traitsIS7_EEENT1_11result_typeERKT_PrKPcPKT0_PKN3c1010ScalarTypeEi@rel64+4
	s_delay_alu instid0(SALU_CYCLE_1) | instskip(SKIP_4) | instid1(VALU_DEP_3)
	s_swap_pc_i64 s[30:31], s[22:23]
	v_dual_mov_b32 v36, v0 :: v_dual_mov_b32 v0, s14
	v_dual_mov_b32 v1, s15 :: v_dual_mov_b32 v2, s17
	;; [unrolled: 1-line block ×3, first 2 shown]
	s_swap_pc_i64 s[30:31], s[22:23]
	v_dual_mov_b32 v34, v0 :: v_dual_mov_b32 v0, s14
	v_dual_mov_b32 v1, s15 :: v_dual_mov_b32 v2, s17
	;; [unrolled: 1-line block ×3, first 2 shown]
	s_swap_pc_i64 s[30:31], s[22:23]
	s_delay_alu instid0(VALU_DEP_3)
	v_dual_mov_b32 v32, v0 :: v_dual_mov_b32 v0, s14
	v_dual_mov_b32 v1, s15 :: v_dual_mov_b32 v2, s17
	;; [unrolled: 1-line block ×3, first 2 shown]
	s_swap_pc_i64 s[30:31], s[22:23]
	v_mul_lo_u32 v2, s16, v31
	s_and_b32 s1, s11, 0xff
	s_delay_alu instid0(SALU_CYCLE_1) | instskip(NEXT) | instid1(VALU_DEP_1)
	s_cmp_lt_i32 s1, 11
	v_ashrrev_i32_e32 v3, 31, v2
	s_delay_alu instid0(VALU_DEP_1)
	v_add_nc_u64_e32 v[4:5], s[12:13], v[2:3]
	s_cbranch_scc1 .LBB21_592
; %bb.514:
	s_and_b32 s2, 0xffff, s1
	s_mov_b32 s5, -1
	s_mov_b32 s3, 0
	s_cmp_gt_i32 s2, 25
	s_mov_b32 s4, 0
	s_mov_b32 s0, 0
	s_cbranch_scc0 .LBB21_547
; %bb.515:
	s_cmp_gt_i32 s2, 28
	s_cbranch_scc0 .LBB21_530
; %bb.516:
	s_cmp_gt_i32 s2, 43
	;; [unrolled: 3-line block ×3, first 2 shown]
	s_cbranch_scc0 .LBB21_520
; %bb.518:
	s_mov_b32 s0, -1
	s_mov_b32 s5, 0
	s_cmp_eq_u32 s2, 46
	s_cbranch_scc0 .LBB21_520
; %bb.519:
	v_bfe_u32 v1, v36, 16, 1
	v_cmp_o_f32_e32 vcc_lo, v36, v36
	s_mov_b32 s0, 0
	s_mov_b32 s4, -1
	s_delay_alu instid0(VALU_DEP_2) | instskip(NEXT) | instid1(VALU_DEP_1)
	v_add3_u32 v1, v36, v1, 0x7fff
	v_lshrrev_b32_e32 v1, 16, v1
	s_delay_alu instid0(VALU_DEP_1)
	v_cndmask_b32_e32 v1, 0x7fc0, v1, vcc_lo
	global_store_b32 v[4:5], v1, off
.LBB21_520:
	s_and_b32 vcc_lo, exec_lo, s5
	s_cbranch_vccz .LBB21_525
; %bb.521:
	s_cmp_eq_u32 s2, 44
	s_mov_b32 s0, -1
	s_cbranch_scc0 .LBB21_525
; %bb.522:
	v_bfe_u32 v3, v36, 23, 8
	s_wait_xcnt 0x0
	v_mov_b32_e32 v1, 0xff
	s_mov_b32 s4, exec_lo
	s_delay_alu instid0(VALU_DEP_2)
	v_cmpx_ne_u32_e32 0xff, v3
	s_cbranch_execz .LBB21_524
; %bb.523:
	v_and_b32_e32 v1, 0x400000, v36
	v_and_or_b32 v3, 0x3fffff, v36, v3
	s_delay_alu instid0(VALU_DEP_2) | instskip(NEXT) | instid1(VALU_DEP_2)
	v_cmp_ne_u32_e32 vcc_lo, 0, v1
	v_cmp_ne_u32_e64 s0, 0, v3
	v_lshrrev_b32_e32 v1, 23, v36
	s_and_b32 s0, vcc_lo, s0
	s_delay_alu instid0(SALU_CYCLE_1) | instskip(NEXT) | instid1(VALU_DEP_1)
	v_cndmask_b32_e64 v3, 0, 1, s0
	v_add_nc_u32_e32 v1, v1, v3
.LBB21_524:
	s_or_b32 exec_lo, exec_lo, s4
	s_mov_b32 s0, 0
	s_mov_b32 s4, -1
	global_store_b8 v[4:5], v1, off
.LBB21_525:
	s_mov_b32 s5, 0
.LBB21_526:
	s_delay_alu instid0(SALU_CYCLE_1)
	s_and_b32 vcc_lo, exec_lo, s5
	s_cbranch_vccz .LBB21_529
; %bb.527:
	s_cmp_eq_u32 s2, 29
	s_mov_b32 s0, -1
	s_cbranch_scc0 .LBB21_529
; %bb.528:
	s_wait_xcnt 0x0
	v_trunc_f32_e32 v1, v36
	s_mov_b32 s0, 0
	s_mov_b32 s4, -1
	s_delay_alu instid0(VALU_DEP_1) | instskip(NEXT) | instid1(VALU_DEP_1)
	v_mul_f32_e32 v3, 0x2f800000, v1
	v_floor_f32_e32 v3, v3
	s_delay_alu instid0(VALU_DEP_1) | instskip(SKIP_1) | instid1(VALU_DEP_2)
	v_fmamk_f32 v1, v3, 0xcf800000, v1
	v_cvt_u32_f32_e32 v7, v3
	v_cvt_u32_f32_e32 v6, v1
	global_store_b64 v[4:5], v[6:7], off
.LBB21_529:
	s_mov_b32 s5, 0
.LBB21_530:
	s_delay_alu instid0(SALU_CYCLE_1)
	s_and_b32 vcc_lo, exec_lo, s5
	s_cbranch_vccz .LBB21_546
; %bb.531:
	s_cmp_lt_i32 s2, 27
	s_mov_b32 s4, -1
	s_cbranch_scc1 .LBB21_537
; %bb.532:
	s_wait_xcnt 0x0
	v_cvt_u32_f32_e32 v1, v36
	s_cmp_gt_i32 s2, 27
	s_cbranch_scc0 .LBB21_534
; %bb.533:
	s_mov_b32 s4, 0
	global_store_b32 v[4:5], v1, off
.LBB21_534:
	s_and_not1_b32 vcc_lo, exec_lo, s4
	s_cbranch_vccnz .LBB21_536
; %bb.535:
	global_store_b16 v[4:5], v1, off
.LBB21_536:
	s_mov_b32 s4, 0
.LBB21_537:
	s_delay_alu instid0(SALU_CYCLE_1)
	s_and_not1_b32 vcc_lo, exec_lo, s4
	s_cbranch_vccnz .LBB21_545
; %bb.538:
	s_wait_xcnt 0x0
	v_and_b32_e32 v1, 0x7fffffff, v36
	v_mov_b32_e32 v3, 0x80
	s_mov_b32 s4, exec_lo
	s_delay_alu instid0(VALU_DEP_2)
	v_cmpx_gt_u32_e32 0x43800000, v1
	s_cbranch_execz .LBB21_544
; %bb.539:
	v_cmp_lt_u32_e32 vcc_lo, 0x3bffffff, v1
	s_mov_b32 s5, 0
                                        ; implicit-def: $vgpr1
	s_and_saveexec_b32 s6, vcc_lo
	s_delay_alu instid0(SALU_CYCLE_1)
	s_xor_b32 s6, exec_lo, s6
	s_cbranch_execz .LBB21_989
; %bb.540:
	v_bfe_u32 v1, v36, 20, 1
	s_mov_b32 s5, exec_lo
	s_delay_alu instid0(VALU_DEP_1) | instskip(NEXT) | instid1(VALU_DEP_1)
	v_add3_u32 v1, v36, v1, 0x487ffff
	v_lshrrev_b32_e32 v1, 20, v1
	s_and_not1_saveexec_b32 s6, s6
	s_cbranch_execnz .LBB21_990
.LBB21_541:
	s_or_b32 exec_lo, exec_lo, s6
	v_mov_b32_e32 v3, 0
	s_and_saveexec_b32 s6, s5
.LBB21_542:
	v_lshrrev_b32_e32 v3, 24, v36
	s_delay_alu instid0(VALU_DEP_1)
	v_and_or_b32 v3, 0x80, v3, v1
.LBB21_543:
	s_or_b32 exec_lo, exec_lo, s6
.LBB21_544:
	s_delay_alu instid0(SALU_CYCLE_1)
	s_or_b32 exec_lo, exec_lo, s4
	global_store_b8 v[4:5], v3, off
.LBB21_545:
	s_mov_b32 s4, -1
.LBB21_546:
	s_mov_b32 s5, 0
.LBB21_547:
	s_delay_alu instid0(SALU_CYCLE_1)
	s_and_b32 vcc_lo, exec_lo, s5
	s_cbranch_vccz .LBB21_587
; %bb.548:
	s_cmp_gt_i32 s2, 22
	s_mov_b32 s3, -1
	s_cbranch_scc0 .LBB21_580
; %bb.549:
	s_cmp_lt_i32 s2, 24
	s_cbranch_scc1 .LBB21_569
; %bb.550:
	s_cmp_gt_i32 s2, 24
	s_cbranch_scc0 .LBB21_558
; %bb.551:
	s_wait_xcnt 0x0
	v_and_b32_e32 v1, 0x7fffffff, v36
	v_mov_b32_e32 v3, 0x80
	s_mov_b32 s3, exec_lo
	s_delay_alu instid0(VALU_DEP_2)
	v_cmpx_gt_u32_e32 0x47800000, v1
	s_cbranch_execz .LBB21_557
; %bb.552:
	v_cmp_lt_u32_e32 vcc_lo, 0x37ffffff, v1
	s_mov_b32 s4, 0
                                        ; implicit-def: $vgpr1
	s_and_saveexec_b32 s5, vcc_lo
	s_delay_alu instid0(SALU_CYCLE_1)
	s_xor_b32 s5, exec_lo, s5
	s_cbranch_execz .LBB21_992
; %bb.553:
	v_bfe_u32 v1, v36, 21, 1
	s_mov_b32 s4, exec_lo
	s_delay_alu instid0(VALU_DEP_1) | instskip(NEXT) | instid1(VALU_DEP_1)
	v_add3_u32 v1, v36, v1, 0x88fffff
	v_lshrrev_b32_e32 v1, 21, v1
	s_and_not1_saveexec_b32 s5, s5
	s_cbranch_execnz .LBB21_993
.LBB21_554:
	s_or_b32 exec_lo, exec_lo, s5
	v_mov_b32_e32 v3, 0
	s_and_saveexec_b32 s5, s4
.LBB21_555:
	v_lshrrev_b32_e32 v3, 24, v36
	s_delay_alu instid0(VALU_DEP_1)
	v_and_or_b32 v3, 0x80, v3, v1
.LBB21_556:
	s_or_b32 exec_lo, exec_lo, s5
.LBB21_557:
	s_delay_alu instid0(SALU_CYCLE_1)
	s_or_b32 exec_lo, exec_lo, s3
	s_mov_b32 s3, 0
	global_store_b8 v[4:5], v3, off
.LBB21_558:
	s_and_b32 vcc_lo, exec_lo, s3
	s_cbranch_vccz .LBB21_568
; %bb.559:
	s_wait_xcnt 0x0
	v_and_b32_e32 v3, 0x7fffffff, v36
	s_mov_b32 s3, exec_lo
                                        ; implicit-def: $vgpr1
	s_delay_alu instid0(VALU_DEP_1)
	v_cmpx_gt_u32_e32 0x43f00000, v3
	s_xor_b32 s3, exec_lo, s3
	s_cbranch_execz .LBB21_565
; %bb.560:
	s_mov_b32 s4, exec_lo
                                        ; implicit-def: $vgpr1
	v_cmpx_lt_u32_e32 0x3c7fffff, v3
	s_xor_b32 s4, exec_lo, s4
; %bb.561:
	v_bfe_u32 v1, v36, 20, 1
	s_delay_alu instid0(VALU_DEP_1) | instskip(NEXT) | instid1(VALU_DEP_1)
	v_add3_u32 v1, v36, v1, 0x407ffff
	v_and_b32_e32 v3, 0xff00000, v1
	v_lshrrev_b32_e32 v1, 20, v1
	s_delay_alu instid0(VALU_DEP_2) | instskip(NEXT) | instid1(VALU_DEP_2)
	v_cmp_ne_u32_e32 vcc_lo, 0x7f00000, v3
	v_cndmask_b32_e32 v1, 0x7e, v1, vcc_lo
; %bb.562:
	s_and_not1_saveexec_b32 s4, s4
; %bb.563:
	v_add_f32_e64 v1, 0x46800000, |v36|
; %bb.564:
	s_or_b32 exec_lo, exec_lo, s4
                                        ; implicit-def: $vgpr3
.LBB21_565:
	s_and_not1_saveexec_b32 s3, s3
; %bb.566:
	v_mov_b32_e32 v1, 0x7f
	v_cmp_lt_u32_e32 vcc_lo, 0x7f800000, v3
	s_delay_alu instid0(VALU_DEP_2)
	v_cndmask_b32_e32 v1, 0x7e, v1, vcc_lo
; %bb.567:
	s_or_b32 exec_lo, exec_lo, s3
	v_lshrrev_b32_e32 v3, 24, v36
	s_delay_alu instid0(VALU_DEP_1)
	v_and_or_b32 v1, 0x80, v3, v1
	global_store_b8 v[4:5], v1, off
.LBB21_568:
	s_mov_b32 s3, 0
.LBB21_569:
	s_delay_alu instid0(SALU_CYCLE_1)
	s_and_not1_b32 vcc_lo, exec_lo, s3
	s_cbranch_vccnz .LBB21_579
; %bb.570:
	s_wait_xcnt 0x0
	v_and_b32_e32 v3, 0x7fffffff, v36
	s_mov_b32 s3, exec_lo
                                        ; implicit-def: $vgpr1
	s_delay_alu instid0(VALU_DEP_1)
	v_cmpx_gt_u32_e32 0x47800000, v3
	s_xor_b32 s3, exec_lo, s3
	s_cbranch_execz .LBB21_576
; %bb.571:
	s_mov_b32 s4, exec_lo
                                        ; implicit-def: $vgpr1
	v_cmpx_lt_u32_e32 0x387fffff, v3
	s_xor_b32 s4, exec_lo, s4
; %bb.572:
	v_bfe_u32 v1, v36, 21, 1
	s_delay_alu instid0(VALU_DEP_1) | instskip(NEXT) | instid1(VALU_DEP_1)
	v_add3_u32 v1, v36, v1, 0x80fffff
	v_lshrrev_b32_e32 v1, 21, v1
; %bb.573:
	s_and_not1_saveexec_b32 s4, s4
; %bb.574:
	v_add_f32_e64 v1, 0x43000000, |v36|
; %bb.575:
	s_or_b32 exec_lo, exec_lo, s4
                                        ; implicit-def: $vgpr3
.LBB21_576:
	s_and_not1_saveexec_b32 s3, s3
; %bb.577:
	v_mov_b32_e32 v1, 0x7f
	v_cmp_lt_u32_e32 vcc_lo, 0x7f800000, v3
	s_delay_alu instid0(VALU_DEP_2)
	v_cndmask_b32_e32 v1, 0x7c, v1, vcc_lo
; %bb.578:
	s_or_b32 exec_lo, exec_lo, s3
	v_lshrrev_b32_e32 v3, 24, v36
	s_delay_alu instid0(VALU_DEP_1)
	v_and_or_b32 v1, 0x80, v3, v1
	global_store_b8 v[4:5], v1, off
.LBB21_579:
	s_mov_b32 s3, 0
	s_mov_b32 s4, -1
.LBB21_580:
	s_and_not1_b32 vcc_lo, exec_lo, s3
	s_mov_b32 s3, 0
	s_cbranch_vccnz .LBB21_587
; %bb.581:
	s_cmp_gt_i32 s2, 14
	s_mov_b32 s3, -1
	s_cbranch_scc0 .LBB21_585
; %bb.582:
	s_cmp_eq_u32 s2, 15
	s_mov_b32 s0, -1
	s_cbranch_scc0 .LBB21_584
; %bb.583:
	s_wait_xcnt 0x0
	v_bfe_u32 v1, v36, 16, 1
	v_cmp_o_f32_e32 vcc_lo, v36, v36
	s_mov_b32 s0, 0
	s_mov_b32 s4, -1
	s_delay_alu instid0(VALU_DEP_2) | instskip(NEXT) | instid1(VALU_DEP_1)
	v_add3_u32 v1, v36, v1, 0x7fff
	v_lshrrev_b32_e32 v1, 16, v1
	s_delay_alu instid0(VALU_DEP_1)
	v_cndmask_b32_e32 v1, 0x7fc0, v1, vcc_lo
	global_store_b16 v[4:5], v1, off
.LBB21_584:
	s_mov_b32 s3, 0
.LBB21_585:
	s_delay_alu instid0(SALU_CYCLE_1)
	s_and_b32 vcc_lo, exec_lo, s3
	s_mov_b32 s3, 0
	s_cbranch_vccz .LBB21_587
; %bb.586:
	s_cmp_lg_u32 s2, 11
	s_mov_b32 s3, -1
	s_cselect_b32 s0, -1, 0
.LBB21_587:
	s_delay_alu instid0(SALU_CYCLE_1)
	s_and_b32 vcc_lo, exec_lo, s0
	s_mov_b32 s2, s20
	s_cbranch_vccnz .LBB21_991
; %bb.588:
	s_and_not1_b32 vcc_lo, exec_lo, s3
	s_cbranch_vccnz .LBB21_590
.LBB21_589:
	v_cmp_neq_f32_e32 vcc_lo, 0, v36
	s_mov_b32 s4, -1
	s_wait_xcnt 0x0
	v_cndmask_b32_e64 v1, 0, 1, vcc_lo
	global_store_b8 v[4:5], v1, off
.LBB21_590:
.LBB21_591:
	s_and_not1_b32 vcc_lo, exec_lo, s4
	s_cbranch_vccz .LBB21_631
	s_branch .LBB21_943
.LBB21_592:
	s_mov_b32 s4, 0
	s_mov_b32 s2, s20
	s_cbranch_execz .LBB21_591
; %bb.593:
	s_and_b32 s0, 0xffff, s1
	s_mov_b32 s3, -1
	s_cmp_lt_i32 s0, 5
	s_cbranch_scc1 .LBB21_614
; %bb.594:
	s_cmp_lt_i32 s0, 8
	s_cbranch_scc1 .LBB21_604
; %bb.595:
	;; [unrolled: 3-line block ×3, first 2 shown]
	s_cmp_gt_i32 s0, 9
	s_cbranch_scc0 .LBB21_598
; %bb.597:
	s_wait_xcnt 0x0
	v_cvt_f64_f32_e32 v[6:7], v36
	v_mov_b32_e32 v8, 0
	s_mov_b32 s3, 0
	s_delay_alu instid0(VALU_DEP_1)
	v_mov_b32_e32 v9, v8
	global_store_b128 v[4:5], v[6:9], off
.LBB21_598:
	s_and_not1_b32 vcc_lo, exec_lo, s3
	s_cbranch_vccnz .LBB21_600
; %bb.599:
	v_mov_b32_e32 v37, 0
	global_store_b64 v[4:5], v[36:37], off
.LBB21_600:
	s_mov_b32 s3, 0
.LBB21_601:
	s_delay_alu instid0(SALU_CYCLE_1)
	s_and_not1_b32 vcc_lo, exec_lo, s3
	s_cbranch_vccnz .LBB21_603
; %bb.602:
	s_wait_xcnt 0x0
	v_cvt_f16_f32_e32 v1, v36
	s_delay_alu instid0(VALU_DEP_1)
	v_and_b32_e32 v1, 0xffff, v1
	global_store_b32 v[4:5], v1, off
.LBB21_603:
	s_mov_b32 s3, 0
.LBB21_604:
	s_delay_alu instid0(SALU_CYCLE_1)
	s_and_not1_b32 vcc_lo, exec_lo, s3
	s_cbranch_vccnz .LBB21_613
; %bb.605:
	s_cmp_lt_i32 s0, 6
	s_mov_b32 s3, -1
	s_cbranch_scc1 .LBB21_611
; %bb.606:
	s_cmp_gt_i32 s0, 6
	s_cbranch_scc0 .LBB21_608
; %bb.607:
	s_wait_xcnt 0x0
	v_cvt_f64_f32_e32 v[6:7], v36
	s_mov_b32 s3, 0
	global_store_b64 v[4:5], v[6:7], off
.LBB21_608:
	s_and_not1_b32 vcc_lo, exec_lo, s3
	s_cbranch_vccnz .LBB21_610
; %bb.609:
	global_store_b32 v[4:5], v36, off
.LBB21_610:
	s_mov_b32 s3, 0
.LBB21_611:
	s_delay_alu instid0(SALU_CYCLE_1)
	s_and_not1_b32 vcc_lo, exec_lo, s3
	s_cbranch_vccnz .LBB21_613
; %bb.612:
	s_wait_xcnt 0x0
	v_cvt_f16_f32_e32 v1, v36
	global_store_b16 v[4:5], v1, off
.LBB21_613:
	s_mov_b32 s3, 0
.LBB21_614:
	s_delay_alu instid0(SALU_CYCLE_1)
	s_and_not1_b32 vcc_lo, exec_lo, s3
	s_cbranch_vccnz .LBB21_630
; %bb.615:
	s_cmp_lt_i32 s0, 2
	s_mov_b32 s3, -1
	s_cbranch_scc1 .LBB21_625
; %bb.616:
	s_cmp_lt_i32 s0, 3
	s_cbranch_scc1 .LBB21_622
; %bb.617:
	s_cmp_gt_i32 s0, 3
	s_cbranch_scc0 .LBB21_619
; %bb.618:
	s_wait_xcnt 0x0
	v_trunc_f32_e32 v1, v36
	s_mov_b32 s3, 0
	s_delay_alu instid0(VALU_DEP_1) | instskip(SKIP_1) | instid1(VALU_DEP_2)
	v_mul_f32_e64 v3, 0x2f800000, |v1|
	v_ashrrev_i32_e32 v6, 31, v1
	v_floor_f32_e32 v3, v3
	s_delay_alu instid0(VALU_DEP_1) | instskip(SKIP_1) | instid1(VALU_DEP_2)
	v_fma_f32 v7, 0xcf800000, v3, |v1|
	v_cvt_u32_f32_e32 v1, v3
	v_cvt_u32_f32_e32 v3, v7
	s_delay_alu instid0(VALU_DEP_2) | instskip(NEXT) | instid1(VALU_DEP_2)
	v_dual_mov_b32 v7, v6 :: v_dual_bitop2_b32 v9, v1, v6 bitop3:0x14
	v_xor_b32_e32 v8, v3, v6
	s_delay_alu instid0(VALU_DEP_1)
	v_sub_nc_u64_e32 v[6:7], v[8:9], v[6:7]
	global_store_b64 v[4:5], v[6:7], off
.LBB21_619:
	s_and_not1_b32 vcc_lo, exec_lo, s3
	s_cbranch_vccnz .LBB21_621
; %bb.620:
	s_wait_xcnt 0x0
	v_cvt_i32_f32_e32 v1, v36
	global_store_b32 v[4:5], v1, off
.LBB21_621:
	s_mov_b32 s3, 0
.LBB21_622:
	s_delay_alu instid0(SALU_CYCLE_1)
	s_and_not1_b32 vcc_lo, exec_lo, s3
	s_cbranch_vccnz .LBB21_624
; %bb.623:
	s_wait_xcnt 0x0
	v_cvt_i32_f32_e32 v1, v36
	global_store_b16 v[4:5], v1, off
.LBB21_624:
	s_mov_b32 s3, 0
.LBB21_625:
	s_delay_alu instid0(SALU_CYCLE_1)
	s_and_not1_b32 vcc_lo, exec_lo, s3
	s_cbranch_vccnz .LBB21_630
; %bb.626:
	s_cmp_gt_i32 s0, 0
	s_mov_b32 s0, -1
	s_cbranch_scc0 .LBB21_628
; %bb.627:
	s_wait_xcnt 0x0
	v_cvt_i32_f32_e32 v1, v36
	s_mov_b32 s0, 0
	global_store_b8 v[4:5], v1, off
.LBB21_628:
	s_and_not1_b32 vcc_lo, exec_lo, s0
	s_cbranch_vccnz .LBB21_630
; %bb.629:
	s_wait_xcnt 0x0
	v_trunc_f32_e32 v1, v36
	s_delay_alu instid0(VALU_DEP_1) | instskip(NEXT) | instid1(VALU_DEP_1)
	v_mul_f32_e64 v3, 0x2f800000, |v1|
	v_floor_f32_e32 v3, v3
	s_delay_alu instid0(VALU_DEP_1) | instskip(SKIP_1) | instid1(VALU_DEP_2)
	v_fma_f32 v3, 0xcf800000, v3, |v1|
	v_ashrrev_i32_e32 v1, 31, v1
	v_cvt_u32_f32_e32 v3, v3
	s_delay_alu instid0(VALU_DEP_1) | instskip(NEXT) | instid1(VALU_DEP_1)
	v_xor_b32_e32 v3, v3, v1
	v_sub_nc_u32_e32 v1, v3, v1
	global_store_b8 v[4:5], v1, off
.LBB21_630:
.LBB21_631:
	s_lshl_b32 s3, s16, 7
	s_cmp_lt_i32 s1, 11
	v_add_nc_u32_e32 v2, s3, v2
	s_wait_xcnt 0x0
	s_delay_alu instid0(VALU_DEP_1) | instskip(NEXT) | instid1(VALU_DEP_1)
	v_ashrrev_i32_e32 v3, 31, v2
	v_add_nc_u64_e32 v[4:5], s[12:13], v[2:3]
	s_cbranch_scc1 .LBB21_710
; %bb.632:
	s_and_b32 s4, 0xffff, s1
	s_mov_b32 s7, -1
	s_mov_b32 s5, 0
	s_cmp_gt_i32 s4, 25
	s_mov_b32 s6, 0
	s_mov_b32 s0, 0
	s_cbranch_scc0 .LBB21_665
; %bb.633:
	s_cmp_gt_i32 s4, 28
	s_cbranch_scc0 .LBB21_648
; %bb.634:
	s_cmp_gt_i32 s4, 43
	;; [unrolled: 3-line block ×3, first 2 shown]
	s_cbranch_scc0 .LBB21_638
; %bb.636:
	s_mov_b32 s0, -1
	s_mov_b32 s7, 0
	s_cmp_eq_u32 s4, 46
	s_cbranch_scc0 .LBB21_638
; %bb.637:
	v_bfe_u32 v1, v34, 16, 1
	v_cmp_o_f32_e32 vcc_lo, v34, v34
	s_mov_b32 s0, 0
	s_mov_b32 s6, -1
	s_delay_alu instid0(VALU_DEP_2) | instskip(NEXT) | instid1(VALU_DEP_1)
	v_add3_u32 v1, v34, v1, 0x7fff
	v_lshrrev_b32_e32 v1, 16, v1
	s_delay_alu instid0(VALU_DEP_1)
	v_cndmask_b32_e32 v1, 0x7fc0, v1, vcc_lo
	global_store_b32 v[4:5], v1, off
.LBB21_638:
	s_and_b32 vcc_lo, exec_lo, s7
	s_cbranch_vccz .LBB21_643
; %bb.639:
	s_cmp_eq_u32 s4, 44
	s_mov_b32 s0, -1
	s_cbranch_scc0 .LBB21_643
; %bb.640:
	v_bfe_u32 v3, v34, 23, 8
	s_wait_xcnt 0x0
	v_mov_b32_e32 v1, 0xff
	s_mov_b32 s6, exec_lo
	s_delay_alu instid0(VALU_DEP_2)
	v_cmpx_ne_u32_e32 0xff, v3
	s_cbranch_execz .LBB21_642
; %bb.641:
	v_and_b32_e32 v1, 0x400000, v34
	v_and_or_b32 v3, 0x3fffff, v34, v3
	s_delay_alu instid0(VALU_DEP_2) | instskip(NEXT) | instid1(VALU_DEP_2)
	v_cmp_ne_u32_e32 vcc_lo, 0, v1
	v_cmp_ne_u32_e64 s0, 0, v3
	v_lshrrev_b32_e32 v1, 23, v34
	s_and_b32 s0, vcc_lo, s0
	s_delay_alu instid0(SALU_CYCLE_1) | instskip(NEXT) | instid1(VALU_DEP_1)
	v_cndmask_b32_e64 v3, 0, 1, s0
	v_add_nc_u32_e32 v1, v1, v3
.LBB21_642:
	s_or_b32 exec_lo, exec_lo, s6
	s_mov_b32 s0, 0
	s_mov_b32 s6, -1
	global_store_b8 v[4:5], v1, off
.LBB21_643:
	s_mov_b32 s7, 0
.LBB21_644:
	s_delay_alu instid0(SALU_CYCLE_1)
	s_and_b32 vcc_lo, exec_lo, s7
	s_cbranch_vccz .LBB21_647
; %bb.645:
	s_cmp_eq_u32 s4, 29
	s_mov_b32 s0, -1
	s_cbranch_scc0 .LBB21_647
; %bb.646:
	s_wait_xcnt 0x0
	v_trunc_f32_e32 v1, v34
	s_mov_b32 s0, 0
	s_mov_b32 s6, -1
	s_delay_alu instid0(VALU_DEP_1) | instskip(NEXT) | instid1(VALU_DEP_1)
	v_mul_f32_e32 v3, 0x2f800000, v1
	v_floor_f32_e32 v3, v3
	s_delay_alu instid0(VALU_DEP_1) | instskip(SKIP_1) | instid1(VALU_DEP_2)
	v_fmamk_f32 v1, v3, 0xcf800000, v1
	v_cvt_u32_f32_e32 v7, v3
	v_cvt_u32_f32_e32 v6, v1
	global_store_b64 v[4:5], v[6:7], off
.LBB21_647:
	s_mov_b32 s7, 0
.LBB21_648:
	s_delay_alu instid0(SALU_CYCLE_1)
	s_and_b32 vcc_lo, exec_lo, s7
	s_cbranch_vccz .LBB21_664
; %bb.649:
	s_cmp_lt_i32 s4, 27
	s_mov_b32 s6, -1
	s_cbranch_scc1 .LBB21_655
; %bb.650:
	s_wait_xcnt 0x0
	v_cvt_u32_f32_e32 v1, v34
	s_cmp_gt_i32 s4, 27
	s_cbranch_scc0 .LBB21_652
; %bb.651:
	s_mov_b32 s6, 0
	global_store_b32 v[4:5], v1, off
.LBB21_652:
	s_and_not1_b32 vcc_lo, exec_lo, s6
	s_cbranch_vccnz .LBB21_654
; %bb.653:
	global_store_b16 v[4:5], v1, off
.LBB21_654:
	s_mov_b32 s6, 0
.LBB21_655:
	s_delay_alu instid0(SALU_CYCLE_1)
	s_and_not1_b32 vcc_lo, exec_lo, s6
	s_cbranch_vccnz .LBB21_663
; %bb.656:
	s_wait_xcnt 0x0
	v_and_b32_e32 v1, 0x7fffffff, v34
	v_mov_b32_e32 v3, 0x80
	s_mov_b32 s6, exec_lo
	s_delay_alu instid0(VALU_DEP_2)
	v_cmpx_gt_u32_e32 0x43800000, v1
	s_cbranch_execz .LBB21_662
; %bb.657:
	v_cmp_lt_u32_e32 vcc_lo, 0x3bffffff, v1
	s_mov_b32 s7, 0
                                        ; implicit-def: $vgpr1
	s_and_saveexec_b32 s8, vcc_lo
	s_delay_alu instid0(SALU_CYCLE_1)
	s_xor_b32 s8, exec_lo, s8
	s_cbranch_execz .LBB21_994
; %bb.658:
	v_bfe_u32 v1, v34, 20, 1
	s_mov_b32 s7, exec_lo
	s_delay_alu instid0(VALU_DEP_1) | instskip(NEXT) | instid1(VALU_DEP_1)
	v_add3_u32 v1, v34, v1, 0x487ffff
	v_lshrrev_b32_e32 v1, 20, v1
	s_and_not1_saveexec_b32 s8, s8
	s_cbranch_execnz .LBB21_995
.LBB21_659:
	s_or_b32 exec_lo, exec_lo, s8
	v_mov_b32_e32 v3, 0
	s_and_saveexec_b32 s8, s7
.LBB21_660:
	v_lshrrev_b32_e32 v3, 24, v34
	s_delay_alu instid0(VALU_DEP_1)
	v_and_or_b32 v3, 0x80, v3, v1
.LBB21_661:
	s_or_b32 exec_lo, exec_lo, s8
.LBB21_662:
	s_delay_alu instid0(SALU_CYCLE_1)
	s_or_b32 exec_lo, exec_lo, s6
	global_store_b8 v[4:5], v3, off
.LBB21_663:
	s_mov_b32 s6, -1
.LBB21_664:
	s_mov_b32 s7, 0
.LBB21_665:
	s_delay_alu instid0(SALU_CYCLE_1)
	s_and_b32 vcc_lo, exec_lo, s7
	s_cbranch_vccz .LBB21_705
; %bb.666:
	s_cmp_gt_i32 s4, 22
	s_mov_b32 s5, -1
	s_cbranch_scc0 .LBB21_698
; %bb.667:
	s_cmp_lt_i32 s4, 24
	s_cbranch_scc1 .LBB21_687
; %bb.668:
	s_cmp_gt_i32 s4, 24
	s_cbranch_scc0 .LBB21_676
; %bb.669:
	s_wait_xcnt 0x0
	v_and_b32_e32 v1, 0x7fffffff, v34
	v_mov_b32_e32 v3, 0x80
	s_mov_b32 s5, exec_lo
	s_delay_alu instid0(VALU_DEP_2)
	v_cmpx_gt_u32_e32 0x47800000, v1
	s_cbranch_execz .LBB21_675
; %bb.670:
	v_cmp_lt_u32_e32 vcc_lo, 0x37ffffff, v1
	s_mov_b32 s6, 0
                                        ; implicit-def: $vgpr1
	s_and_saveexec_b32 s7, vcc_lo
	s_delay_alu instid0(SALU_CYCLE_1)
	s_xor_b32 s7, exec_lo, s7
	s_cbranch_execz .LBB21_997
; %bb.671:
	v_bfe_u32 v1, v34, 21, 1
	s_mov_b32 s6, exec_lo
	s_delay_alu instid0(VALU_DEP_1) | instskip(NEXT) | instid1(VALU_DEP_1)
	v_add3_u32 v1, v34, v1, 0x88fffff
	v_lshrrev_b32_e32 v1, 21, v1
	s_and_not1_saveexec_b32 s7, s7
	s_cbranch_execnz .LBB21_998
.LBB21_672:
	s_or_b32 exec_lo, exec_lo, s7
	v_mov_b32_e32 v3, 0
	s_and_saveexec_b32 s7, s6
.LBB21_673:
	v_lshrrev_b32_e32 v3, 24, v34
	s_delay_alu instid0(VALU_DEP_1)
	v_and_or_b32 v3, 0x80, v3, v1
.LBB21_674:
	s_or_b32 exec_lo, exec_lo, s7
.LBB21_675:
	s_delay_alu instid0(SALU_CYCLE_1)
	s_or_b32 exec_lo, exec_lo, s5
	s_mov_b32 s5, 0
	global_store_b8 v[4:5], v3, off
.LBB21_676:
	s_and_b32 vcc_lo, exec_lo, s5
	s_cbranch_vccz .LBB21_686
; %bb.677:
	s_wait_xcnt 0x0
	v_and_b32_e32 v3, 0x7fffffff, v34
	s_mov_b32 s5, exec_lo
                                        ; implicit-def: $vgpr1
	s_delay_alu instid0(VALU_DEP_1)
	v_cmpx_gt_u32_e32 0x43f00000, v3
	s_xor_b32 s5, exec_lo, s5
	s_cbranch_execz .LBB21_683
; %bb.678:
	s_mov_b32 s6, exec_lo
                                        ; implicit-def: $vgpr1
	v_cmpx_lt_u32_e32 0x3c7fffff, v3
	s_xor_b32 s6, exec_lo, s6
; %bb.679:
	v_bfe_u32 v1, v34, 20, 1
	s_delay_alu instid0(VALU_DEP_1) | instskip(NEXT) | instid1(VALU_DEP_1)
	v_add3_u32 v1, v34, v1, 0x407ffff
	v_and_b32_e32 v3, 0xff00000, v1
	v_lshrrev_b32_e32 v1, 20, v1
	s_delay_alu instid0(VALU_DEP_2) | instskip(NEXT) | instid1(VALU_DEP_2)
	v_cmp_ne_u32_e32 vcc_lo, 0x7f00000, v3
	v_cndmask_b32_e32 v1, 0x7e, v1, vcc_lo
; %bb.680:
	s_and_not1_saveexec_b32 s6, s6
; %bb.681:
	v_add_f32_e64 v1, 0x46800000, |v34|
; %bb.682:
	s_or_b32 exec_lo, exec_lo, s6
                                        ; implicit-def: $vgpr3
.LBB21_683:
	s_and_not1_saveexec_b32 s5, s5
; %bb.684:
	v_mov_b32_e32 v1, 0x7f
	v_cmp_lt_u32_e32 vcc_lo, 0x7f800000, v3
	s_delay_alu instid0(VALU_DEP_2)
	v_cndmask_b32_e32 v1, 0x7e, v1, vcc_lo
; %bb.685:
	s_or_b32 exec_lo, exec_lo, s5
	v_lshrrev_b32_e32 v3, 24, v34
	s_delay_alu instid0(VALU_DEP_1)
	v_and_or_b32 v1, 0x80, v3, v1
	global_store_b8 v[4:5], v1, off
.LBB21_686:
	s_mov_b32 s5, 0
.LBB21_687:
	s_delay_alu instid0(SALU_CYCLE_1)
	s_and_not1_b32 vcc_lo, exec_lo, s5
	s_cbranch_vccnz .LBB21_697
; %bb.688:
	s_wait_xcnt 0x0
	v_and_b32_e32 v3, 0x7fffffff, v34
	s_mov_b32 s5, exec_lo
                                        ; implicit-def: $vgpr1
	s_delay_alu instid0(VALU_DEP_1)
	v_cmpx_gt_u32_e32 0x47800000, v3
	s_xor_b32 s5, exec_lo, s5
	s_cbranch_execz .LBB21_694
; %bb.689:
	s_mov_b32 s6, exec_lo
                                        ; implicit-def: $vgpr1
	v_cmpx_lt_u32_e32 0x387fffff, v3
	s_xor_b32 s6, exec_lo, s6
; %bb.690:
	v_bfe_u32 v1, v34, 21, 1
	s_delay_alu instid0(VALU_DEP_1) | instskip(NEXT) | instid1(VALU_DEP_1)
	v_add3_u32 v1, v34, v1, 0x80fffff
	v_lshrrev_b32_e32 v1, 21, v1
; %bb.691:
	s_and_not1_saveexec_b32 s6, s6
; %bb.692:
	v_add_f32_e64 v1, 0x43000000, |v34|
; %bb.693:
	s_or_b32 exec_lo, exec_lo, s6
                                        ; implicit-def: $vgpr3
.LBB21_694:
	s_and_not1_saveexec_b32 s5, s5
; %bb.695:
	v_mov_b32_e32 v1, 0x7f
	v_cmp_lt_u32_e32 vcc_lo, 0x7f800000, v3
	s_delay_alu instid0(VALU_DEP_2)
	v_cndmask_b32_e32 v1, 0x7c, v1, vcc_lo
; %bb.696:
	s_or_b32 exec_lo, exec_lo, s5
	v_lshrrev_b32_e32 v3, 24, v34
	s_delay_alu instid0(VALU_DEP_1)
	v_and_or_b32 v1, 0x80, v3, v1
	global_store_b8 v[4:5], v1, off
.LBB21_697:
	s_mov_b32 s5, 0
	s_mov_b32 s6, -1
.LBB21_698:
	s_and_not1_b32 vcc_lo, exec_lo, s5
	s_mov_b32 s5, 0
	s_cbranch_vccnz .LBB21_705
; %bb.699:
	s_cmp_gt_i32 s4, 14
	s_mov_b32 s5, -1
	s_cbranch_scc0 .LBB21_703
; %bb.700:
	s_cmp_eq_u32 s4, 15
	s_mov_b32 s0, -1
	s_cbranch_scc0 .LBB21_702
; %bb.701:
	s_wait_xcnt 0x0
	v_bfe_u32 v1, v34, 16, 1
	v_cmp_o_f32_e32 vcc_lo, v34, v34
	s_mov_b32 s0, 0
	s_mov_b32 s6, -1
	s_delay_alu instid0(VALU_DEP_2) | instskip(NEXT) | instid1(VALU_DEP_1)
	v_add3_u32 v1, v34, v1, 0x7fff
	v_lshrrev_b32_e32 v1, 16, v1
	s_delay_alu instid0(VALU_DEP_1)
	v_cndmask_b32_e32 v1, 0x7fc0, v1, vcc_lo
	global_store_b16 v[4:5], v1, off
.LBB21_702:
	s_mov_b32 s5, 0
.LBB21_703:
	s_delay_alu instid0(SALU_CYCLE_1)
	s_and_b32 vcc_lo, exec_lo, s5
	s_mov_b32 s5, 0
	s_cbranch_vccz .LBB21_705
; %bb.704:
	s_cmp_lg_u32 s4, 11
	s_mov_b32 s5, -1
	s_cselect_b32 s0, -1, 0
.LBB21_705:
	s_delay_alu instid0(SALU_CYCLE_1)
	s_and_b32 vcc_lo, exec_lo, s0
	s_cbranch_vccnz .LBB21_996
; %bb.706:
	s_and_not1_b32 vcc_lo, exec_lo, s5
	s_cbranch_vccnz .LBB21_708
.LBB21_707:
	v_cmp_neq_f32_e32 vcc_lo, 0, v34
	s_mov_b32 s6, -1
	s_wait_xcnt 0x0
	v_cndmask_b32_e64 v1, 0, 1, vcc_lo
	global_store_b8 v[4:5], v1, off
.LBB21_708:
.LBB21_709:
	s_and_not1_b32 vcc_lo, exec_lo, s6
	s_cbranch_vccz .LBB21_749
	s_branch .LBB21_943
.LBB21_710:
	s_mov_b32 s6, 0
	s_cbranch_execz .LBB21_709
; %bb.711:
	s_and_b32 s0, 0xffff, s1
	s_mov_b32 s4, -1
	s_cmp_lt_i32 s0, 5
	s_cbranch_scc1 .LBB21_732
; %bb.712:
	s_cmp_lt_i32 s0, 8
	s_cbranch_scc1 .LBB21_722
; %bb.713:
	;; [unrolled: 3-line block ×3, first 2 shown]
	s_cmp_gt_i32 s0, 9
	s_cbranch_scc0 .LBB21_716
; %bb.715:
	s_wait_xcnt 0x0
	v_cvt_f64_f32_e32 v[6:7], v34
	v_mov_b32_e32 v8, 0
	s_mov_b32 s4, 0
	s_delay_alu instid0(VALU_DEP_1)
	v_mov_b32_e32 v9, v8
	global_store_b128 v[4:5], v[6:9], off
.LBB21_716:
	s_and_not1_b32 vcc_lo, exec_lo, s4
	s_cbranch_vccnz .LBB21_718
; %bb.717:
	v_mov_b32_e32 v35, 0
	global_store_b64 v[4:5], v[34:35], off
.LBB21_718:
	s_mov_b32 s4, 0
.LBB21_719:
	s_delay_alu instid0(SALU_CYCLE_1)
	s_and_not1_b32 vcc_lo, exec_lo, s4
	s_cbranch_vccnz .LBB21_721
; %bb.720:
	s_wait_xcnt 0x0
	v_cvt_f16_f32_e32 v1, v34
	s_delay_alu instid0(VALU_DEP_1)
	v_and_b32_e32 v1, 0xffff, v1
	global_store_b32 v[4:5], v1, off
.LBB21_721:
	s_mov_b32 s4, 0
.LBB21_722:
	s_delay_alu instid0(SALU_CYCLE_1)
	s_and_not1_b32 vcc_lo, exec_lo, s4
	s_cbranch_vccnz .LBB21_731
; %bb.723:
	s_cmp_lt_i32 s0, 6
	s_mov_b32 s4, -1
	s_cbranch_scc1 .LBB21_729
; %bb.724:
	s_cmp_gt_i32 s0, 6
	s_cbranch_scc0 .LBB21_726
; %bb.725:
	s_wait_xcnt 0x0
	v_cvt_f64_f32_e32 v[6:7], v34
	s_mov_b32 s4, 0
	global_store_b64 v[4:5], v[6:7], off
.LBB21_726:
	s_and_not1_b32 vcc_lo, exec_lo, s4
	s_cbranch_vccnz .LBB21_728
; %bb.727:
	global_store_b32 v[4:5], v34, off
.LBB21_728:
	s_mov_b32 s4, 0
.LBB21_729:
	s_delay_alu instid0(SALU_CYCLE_1)
	s_and_not1_b32 vcc_lo, exec_lo, s4
	s_cbranch_vccnz .LBB21_731
; %bb.730:
	s_wait_xcnt 0x0
	v_cvt_f16_f32_e32 v1, v34
	global_store_b16 v[4:5], v1, off
.LBB21_731:
	s_mov_b32 s4, 0
.LBB21_732:
	s_delay_alu instid0(SALU_CYCLE_1)
	s_and_not1_b32 vcc_lo, exec_lo, s4
	s_cbranch_vccnz .LBB21_748
; %bb.733:
	s_cmp_lt_i32 s0, 2
	s_mov_b32 s4, -1
	s_cbranch_scc1 .LBB21_743
; %bb.734:
	s_cmp_lt_i32 s0, 3
	s_cbranch_scc1 .LBB21_740
; %bb.735:
	s_cmp_gt_i32 s0, 3
	s_cbranch_scc0 .LBB21_737
; %bb.736:
	s_wait_xcnt 0x0
	v_trunc_f32_e32 v1, v34
	s_mov_b32 s4, 0
	s_delay_alu instid0(VALU_DEP_1) | instskip(SKIP_1) | instid1(VALU_DEP_2)
	v_mul_f32_e64 v3, 0x2f800000, |v1|
	v_ashrrev_i32_e32 v6, 31, v1
	v_floor_f32_e32 v3, v3
	s_delay_alu instid0(VALU_DEP_1) | instskip(SKIP_1) | instid1(VALU_DEP_2)
	v_fma_f32 v7, 0xcf800000, v3, |v1|
	v_cvt_u32_f32_e32 v1, v3
	v_cvt_u32_f32_e32 v3, v7
	s_delay_alu instid0(VALU_DEP_2) | instskip(NEXT) | instid1(VALU_DEP_2)
	v_dual_mov_b32 v7, v6 :: v_dual_bitop2_b32 v9, v1, v6 bitop3:0x14
	v_xor_b32_e32 v8, v3, v6
	s_delay_alu instid0(VALU_DEP_1)
	v_sub_nc_u64_e32 v[6:7], v[8:9], v[6:7]
	global_store_b64 v[4:5], v[6:7], off
.LBB21_737:
	s_and_not1_b32 vcc_lo, exec_lo, s4
	s_cbranch_vccnz .LBB21_739
; %bb.738:
	s_wait_xcnt 0x0
	v_cvt_i32_f32_e32 v1, v34
	global_store_b32 v[4:5], v1, off
.LBB21_739:
	s_mov_b32 s4, 0
.LBB21_740:
	s_delay_alu instid0(SALU_CYCLE_1)
	s_and_not1_b32 vcc_lo, exec_lo, s4
	s_cbranch_vccnz .LBB21_742
; %bb.741:
	s_wait_xcnt 0x0
	v_cvt_i32_f32_e32 v1, v34
	global_store_b16 v[4:5], v1, off
.LBB21_742:
	s_mov_b32 s4, 0
.LBB21_743:
	s_delay_alu instid0(SALU_CYCLE_1)
	s_and_not1_b32 vcc_lo, exec_lo, s4
	s_cbranch_vccnz .LBB21_748
; %bb.744:
	s_cmp_gt_i32 s0, 0
	s_mov_b32 s0, -1
	s_cbranch_scc0 .LBB21_746
; %bb.745:
	s_wait_xcnt 0x0
	v_cvt_i32_f32_e32 v1, v34
	s_mov_b32 s0, 0
	global_store_b8 v[4:5], v1, off
.LBB21_746:
	s_and_not1_b32 vcc_lo, exec_lo, s0
	s_cbranch_vccnz .LBB21_748
; %bb.747:
	s_wait_xcnt 0x0
	v_trunc_f32_e32 v1, v34
	s_delay_alu instid0(VALU_DEP_1) | instskip(NEXT) | instid1(VALU_DEP_1)
	v_mul_f32_e64 v3, 0x2f800000, |v1|
	v_floor_f32_e32 v3, v3
	s_delay_alu instid0(VALU_DEP_1) | instskip(SKIP_1) | instid1(VALU_DEP_2)
	v_fma_f32 v3, 0xcf800000, v3, |v1|
	v_ashrrev_i32_e32 v1, 31, v1
	v_cvt_u32_f32_e32 v3, v3
	s_delay_alu instid0(VALU_DEP_1) | instskip(NEXT) | instid1(VALU_DEP_1)
	v_xor_b32_e32 v3, v3, v1
	v_sub_nc_u32_e32 v1, v3, v1
	global_store_b8 v[4:5], v1, off
.LBB21_748:
.LBB21_749:
	v_add_nc_u32_e32 v2, s3, v2
	s_cmp_lt_i32 s1, 11
	s_wait_xcnt 0x0
	s_delay_alu instid0(VALU_DEP_1) | instskip(NEXT) | instid1(VALU_DEP_1)
	v_ashrrev_i32_e32 v3, 31, v2
	v_add_nc_u64_e32 v[4:5], s[12:13], v[2:3]
	s_cbranch_scc1 .LBB21_904
; %bb.750:
	s_and_b32 s4, 0xffff, s1
	s_mov_b32 s7, -1
	s_mov_b32 s5, 0
	s_cmp_gt_i32 s4, 25
	s_mov_b32 s6, 0
	s_mov_b32 s0, 0
	s_cbranch_scc0 .LBB21_783
; %bb.751:
	s_cmp_gt_i32 s4, 28
	s_cbranch_scc0 .LBB21_766
; %bb.752:
	s_cmp_gt_i32 s4, 43
	;; [unrolled: 3-line block ×3, first 2 shown]
	s_cbranch_scc0 .LBB21_756
; %bb.754:
	s_mov_b32 s0, -1
	s_mov_b32 s7, 0
	s_cmp_eq_u32 s4, 46
	s_cbranch_scc0 .LBB21_756
; %bb.755:
	v_bfe_u32 v1, v32, 16, 1
	v_cmp_o_f32_e32 vcc_lo, v32, v32
	s_mov_b32 s0, 0
	s_mov_b32 s6, -1
	s_delay_alu instid0(VALU_DEP_2) | instskip(NEXT) | instid1(VALU_DEP_1)
	v_add3_u32 v1, v32, v1, 0x7fff
	v_lshrrev_b32_e32 v1, 16, v1
	s_delay_alu instid0(VALU_DEP_1)
	v_cndmask_b32_e32 v1, 0x7fc0, v1, vcc_lo
	global_store_b32 v[4:5], v1, off
.LBB21_756:
	s_and_b32 vcc_lo, exec_lo, s7
	s_cbranch_vccz .LBB21_761
; %bb.757:
	s_cmp_eq_u32 s4, 44
	s_mov_b32 s0, -1
	s_cbranch_scc0 .LBB21_761
; %bb.758:
	v_bfe_u32 v3, v32, 23, 8
	s_wait_xcnt 0x0
	v_mov_b32_e32 v1, 0xff
	s_mov_b32 s6, exec_lo
	s_delay_alu instid0(VALU_DEP_2)
	v_cmpx_ne_u32_e32 0xff, v3
	s_cbranch_execz .LBB21_760
; %bb.759:
	v_and_b32_e32 v1, 0x400000, v32
	v_and_or_b32 v3, 0x3fffff, v32, v3
	s_delay_alu instid0(VALU_DEP_2) | instskip(NEXT) | instid1(VALU_DEP_2)
	v_cmp_ne_u32_e32 vcc_lo, 0, v1
	v_cmp_ne_u32_e64 s0, 0, v3
	v_lshrrev_b32_e32 v1, 23, v32
	s_and_b32 s0, vcc_lo, s0
	s_delay_alu instid0(SALU_CYCLE_1) | instskip(NEXT) | instid1(VALU_DEP_1)
	v_cndmask_b32_e64 v3, 0, 1, s0
	v_add_nc_u32_e32 v1, v1, v3
.LBB21_760:
	s_or_b32 exec_lo, exec_lo, s6
	s_mov_b32 s0, 0
	s_mov_b32 s6, -1
	global_store_b8 v[4:5], v1, off
.LBB21_761:
	s_mov_b32 s7, 0
.LBB21_762:
	s_delay_alu instid0(SALU_CYCLE_1)
	s_and_b32 vcc_lo, exec_lo, s7
	s_cbranch_vccz .LBB21_765
; %bb.763:
	s_cmp_eq_u32 s4, 29
	s_mov_b32 s0, -1
	s_cbranch_scc0 .LBB21_765
; %bb.764:
	s_wait_xcnt 0x0
	v_trunc_f32_e32 v1, v32
	s_mov_b32 s0, 0
	s_mov_b32 s6, -1
	s_delay_alu instid0(VALU_DEP_1) | instskip(NEXT) | instid1(VALU_DEP_1)
	v_mul_f32_e32 v3, 0x2f800000, v1
	v_floor_f32_e32 v3, v3
	s_delay_alu instid0(VALU_DEP_1) | instskip(SKIP_1) | instid1(VALU_DEP_2)
	v_fmamk_f32 v1, v3, 0xcf800000, v1
	v_cvt_u32_f32_e32 v7, v3
	v_cvt_u32_f32_e32 v6, v1
	global_store_b64 v[4:5], v[6:7], off
.LBB21_765:
	s_mov_b32 s7, 0
.LBB21_766:
	s_delay_alu instid0(SALU_CYCLE_1)
	s_and_b32 vcc_lo, exec_lo, s7
	s_cbranch_vccz .LBB21_782
; %bb.767:
	s_cmp_lt_i32 s4, 27
	s_mov_b32 s6, -1
	s_cbranch_scc1 .LBB21_773
; %bb.768:
	s_wait_xcnt 0x0
	v_cvt_u32_f32_e32 v1, v32
	s_cmp_gt_i32 s4, 27
	s_cbranch_scc0 .LBB21_770
; %bb.769:
	s_mov_b32 s6, 0
	global_store_b32 v[4:5], v1, off
.LBB21_770:
	s_and_not1_b32 vcc_lo, exec_lo, s6
	s_cbranch_vccnz .LBB21_772
; %bb.771:
	global_store_b16 v[4:5], v1, off
.LBB21_772:
	s_mov_b32 s6, 0
.LBB21_773:
	s_delay_alu instid0(SALU_CYCLE_1)
	s_and_not1_b32 vcc_lo, exec_lo, s6
	s_cbranch_vccnz .LBB21_781
; %bb.774:
	s_wait_xcnt 0x0
	v_and_b32_e32 v1, 0x7fffffff, v32
	v_mov_b32_e32 v3, 0x80
	s_mov_b32 s6, exec_lo
	s_delay_alu instid0(VALU_DEP_2)
	v_cmpx_gt_u32_e32 0x43800000, v1
	s_cbranch_execz .LBB21_780
; %bb.775:
	v_cmp_lt_u32_e32 vcc_lo, 0x3bffffff, v1
	s_mov_b32 s7, 0
                                        ; implicit-def: $vgpr1
	s_and_saveexec_b32 s8, vcc_lo
	s_delay_alu instid0(SALU_CYCLE_1)
	s_xor_b32 s8, exec_lo, s8
	s_cbranch_execz .LBB21_999
; %bb.776:
	v_bfe_u32 v1, v32, 20, 1
	s_mov_b32 s7, exec_lo
	s_delay_alu instid0(VALU_DEP_1) | instskip(NEXT) | instid1(VALU_DEP_1)
	v_add3_u32 v1, v32, v1, 0x487ffff
	v_lshrrev_b32_e32 v1, 20, v1
	s_and_not1_saveexec_b32 s8, s8
	s_cbranch_execnz .LBB21_1000
.LBB21_777:
	s_or_b32 exec_lo, exec_lo, s8
	v_mov_b32_e32 v3, 0
	s_and_saveexec_b32 s8, s7
.LBB21_778:
	v_lshrrev_b32_e32 v3, 24, v32
	s_delay_alu instid0(VALU_DEP_1)
	v_and_or_b32 v3, 0x80, v3, v1
.LBB21_779:
	s_or_b32 exec_lo, exec_lo, s8
.LBB21_780:
	s_delay_alu instid0(SALU_CYCLE_1)
	s_or_b32 exec_lo, exec_lo, s6
	global_store_b8 v[4:5], v3, off
.LBB21_781:
	s_mov_b32 s6, -1
.LBB21_782:
	s_mov_b32 s7, 0
.LBB21_783:
	s_delay_alu instid0(SALU_CYCLE_1)
	s_and_b32 vcc_lo, exec_lo, s7
	s_cbranch_vccz .LBB21_823
; %bb.784:
	s_cmp_gt_i32 s4, 22
	s_mov_b32 s5, -1
	s_cbranch_scc0 .LBB21_816
; %bb.785:
	s_cmp_lt_i32 s4, 24
	s_cbranch_scc1 .LBB21_805
; %bb.786:
	s_cmp_gt_i32 s4, 24
	s_cbranch_scc0 .LBB21_794
; %bb.787:
	s_wait_xcnt 0x0
	v_and_b32_e32 v1, 0x7fffffff, v32
	v_mov_b32_e32 v3, 0x80
	s_mov_b32 s5, exec_lo
	s_delay_alu instid0(VALU_DEP_2)
	v_cmpx_gt_u32_e32 0x47800000, v1
	s_cbranch_execz .LBB21_793
; %bb.788:
	v_cmp_lt_u32_e32 vcc_lo, 0x37ffffff, v1
	s_mov_b32 s6, 0
                                        ; implicit-def: $vgpr1
	s_and_saveexec_b32 s7, vcc_lo
	s_delay_alu instid0(SALU_CYCLE_1)
	s_xor_b32 s7, exec_lo, s7
	s_cbranch_execz .LBB21_1002
; %bb.789:
	v_bfe_u32 v1, v32, 21, 1
	s_mov_b32 s6, exec_lo
	s_delay_alu instid0(VALU_DEP_1) | instskip(NEXT) | instid1(VALU_DEP_1)
	v_add3_u32 v1, v32, v1, 0x88fffff
	v_lshrrev_b32_e32 v1, 21, v1
	s_and_not1_saveexec_b32 s7, s7
	s_cbranch_execnz .LBB21_1003
.LBB21_790:
	s_or_b32 exec_lo, exec_lo, s7
	v_mov_b32_e32 v3, 0
	s_and_saveexec_b32 s7, s6
.LBB21_791:
	v_lshrrev_b32_e32 v3, 24, v32
	s_delay_alu instid0(VALU_DEP_1)
	v_and_or_b32 v3, 0x80, v3, v1
.LBB21_792:
	s_or_b32 exec_lo, exec_lo, s7
.LBB21_793:
	s_delay_alu instid0(SALU_CYCLE_1)
	s_or_b32 exec_lo, exec_lo, s5
	s_mov_b32 s5, 0
	global_store_b8 v[4:5], v3, off
.LBB21_794:
	s_and_b32 vcc_lo, exec_lo, s5
	s_cbranch_vccz .LBB21_804
; %bb.795:
	s_wait_xcnt 0x0
	v_and_b32_e32 v3, 0x7fffffff, v32
	s_mov_b32 s5, exec_lo
                                        ; implicit-def: $vgpr1
	s_delay_alu instid0(VALU_DEP_1)
	v_cmpx_gt_u32_e32 0x43f00000, v3
	s_xor_b32 s5, exec_lo, s5
	s_cbranch_execz .LBB21_801
; %bb.796:
	s_mov_b32 s6, exec_lo
                                        ; implicit-def: $vgpr1
	v_cmpx_lt_u32_e32 0x3c7fffff, v3
	s_xor_b32 s6, exec_lo, s6
; %bb.797:
	v_bfe_u32 v1, v32, 20, 1
	s_delay_alu instid0(VALU_DEP_1) | instskip(NEXT) | instid1(VALU_DEP_1)
	v_add3_u32 v1, v32, v1, 0x407ffff
	v_and_b32_e32 v3, 0xff00000, v1
	v_lshrrev_b32_e32 v1, 20, v1
	s_delay_alu instid0(VALU_DEP_2) | instskip(NEXT) | instid1(VALU_DEP_2)
	v_cmp_ne_u32_e32 vcc_lo, 0x7f00000, v3
	v_cndmask_b32_e32 v1, 0x7e, v1, vcc_lo
; %bb.798:
	s_and_not1_saveexec_b32 s6, s6
; %bb.799:
	v_add_f32_e64 v1, 0x46800000, |v32|
; %bb.800:
	s_or_b32 exec_lo, exec_lo, s6
                                        ; implicit-def: $vgpr3
.LBB21_801:
	s_and_not1_saveexec_b32 s5, s5
; %bb.802:
	v_mov_b32_e32 v1, 0x7f
	v_cmp_lt_u32_e32 vcc_lo, 0x7f800000, v3
	s_delay_alu instid0(VALU_DEP_2)
	v_cndmask_b32_e32 v1, 0x7e, v1, vcc_lo
; %bb.803:
	s_or_b32 exec_lo, exec_lo, s5
	v_lshrrev_b32_e32 v3, 24, v32
	s_delay_alu instid0(VALU_DEP_1)
	v_and_or_b32 v1, 0x80, v3, v1
	global_store_b8 v[4:5], v1, off
.LBB21_804:
	s_mov_b32 s5, 0
.LBB21_805:
	s_delay_alu instid0(SALU_CYCLE_1)
	s_and_not1_b32 vcc_lo, exec_lo, s5
	s_cbranch_vccnz .LBB21_815
; %bb.806:
	s_wait_xcnt 0x0
	v_and_b32_e32 v3, 0x7fffffff, v32
	s_mov_b32 s5, exec_lo
                                        ; implicit-def: $vgpr1
	s_delay_alu instid0(VALU_DEP_1)
	v_cmpx_gt_u32_e32 0x47800000, v3
	s_xor_b32 s5, exec_lo, s5
	s_cbranch_execz .LBB21_812
; %bb.807:
	s_mov_b32 s6, exec_lo
                                        ; implicit-def: $vgpr1
	v_cmpx_lt_u32_e32 0x387fffff, v3
	s_xor_b32 s6, exec_lo, s6
; %bb.808:
	v_bfe_u32 v1, v32, 21, 1
	s_delay_alu instid0(VALU_DEP_1) | instskip(NEXT) | instid1(VALU_DEP_1)
	v_add3_u32 v1, v32, v1, 0x80fffff
	v_lshrrev_b32_e32 v1, 21, v1
; %bb.809:
	s_and_not1_saveexec_b32 s6, s6
; %bb.810:
	v_add_f32_e64 v1, 0x43000000, |v32|
; %bb.811:
	s_or_b32 exec_lo, exec_lo, s6
                                        ; implicit-def: $vgpr3
.LBB21_812:
	s_and_not1_saveexec_b32 s5, s5
; %bb.813:
	v_mov_b32_e32 v1, 0x7f
	v_cmp_lt_u32_e32 vcc_lo, 0x7f800000, v3
	s_delay_alu instid0(VALU_DEP_2)
	v_cndmask_b32_e32 v1, 0x7c, v1, vcc_lo
; %bb.814:
	s_or_b32 exec_lo, exec_lo, s5
	v_lshrrev_b32_e32 v3, 24, v32
	s_delay_alu instid0(VALU_DEP_1)
	v_and_or_b32 v1, 0x80, v3, v1
	global_store_b8 v[4:5], v1, off
.LBB21_815:
	s_mov_b32 s5, 0
	s_mov_b32 s6, -1
.LBB21_816:
	s_and_not1_b32 vcc_lo, exec_lo, s5
	s_mov_b32 s5, 0
	s_cbranch_vccnz .LBB21_823
; %bb.817:
	s_cmp_gt_i32 s4, 14
	s_mov_b32 s5, -1
	s_cbranch_scc0 .LBB21_821
; %bb.818:
	s_cmp_eq_u32 s4, 15
	s_mov_b32 s0, -1
	s_cbranch_scc0 .LBB21_820
; %bb.819:
	s_wait_xcnt 0x0
	v_bfe_u32 v1, v32, 16, 1
	v_cmp_o_f32_e32 vcc_lo, v32, v32
	s_mov_b32 s0, 0
	s_mov_b32 s6, -1
	s_delay_alu instid0(VALU_DEP_2) | instskip(NEXT) | instid1(VALU_DEP_1)
	v_add3_u32 v1, v32, v1, 0x7fff
	v_lshrrev_b32_e32 v1, 16, v1
	s_delay_alu instid0(VALU_DEP_1)
	v_cndmask_b32_e32 v1, 0x7fc0, v1, vcc_lo
	global_store_b16 v[4:5], v1, off
.LBB21_820:
	s_mov_b32 s5, 0
.LBB21_821:
	s_delay_alu instid0(SALU_CYCLE_1)
	s_and_b32 vcc_lo, exec_lo, s5
	s_mov_b32 s5, 0
	s_cbranch_vccz .LBB21_823
; %bb.822:
	s_cmp_lg_u32 s4, 11
	s_mov_b32 s5, -1
	s_cselect_b32 s0, -1, 0
.LBB21_823:
	s_delay_alu instid0(SALU_CYCLE_1)
	s_and_b32 vcc_lo, exec_lo, s0
	s_cbranch_vccnz .LBB21_1001
; %bb.824:
	s_and_not1_b32 vcc_lo, exec_lo, s5
	s_cbranch_vccnz .LBB21_826
.LBB21_825:
	v_cmp_neq_f32_e32 vcc_lo, 0, v32
	s_mov_b32 s6, -1
	s_wait_xcnt 0x0
	v_cndmask_b32_e64 v1, 0, 1, vcc_lo
	global_store_b8 v[4:5], v1, off
.LBB21_826:
.LBB21_827:
	s_and_not1_b32 vcc_lo, exec_lo, s6
	s_cbranch_vccnz .LBB21_943
.LBB21_828:
	v_add_nc_u32_e32 v2, s3, v2
	s_cmp_lt_i32 s1, 11
	s_wait_xcnt 0x0
	s_delay_alu instid0(VALU_DEP_1) | instskip(NEXT) | instid1(VALU_DEP_1)
	v_ashrrev_i32_e32 v3, 31, v2
	v_add_nc_u64_e32 v[2:3], s[12:13], v[2:3]
	s_cbranch_scc1 .LBB21_988
; %bb.829:
	s_and_b32 s3, 0xffff, s1
	s_mov_b32 s5, -1
	s_mov_b32 s4, 0
	s_cmp_gt_i32 s3, 25
	s_mov_b32 s0, 0
	s_cbranch_scc0 .LBB21_862
; %bb.830:
	s_cmp_gt_i32 s3, 28
	s_cbranch_scc0 .LBB21_846
; %bb.831:
	s_cmp_gt_i32 s3, 43
	;; [unrolled: 3-line block ×3, first 2 shown]
	s_cbranch_scc0 .LBB21_836
; %bb.833:
	s_cmp_eq_u32 s3, 46
	s_mov_b32 s0, -1
	s_cbranch_scc0 .LBB21_835
; %bb.834:
	v_bfe_u32 v1, v0, 16, 1
	v_cmp_o_f32_e32 vcc_lo, v0, v0
	s_mov_b32 s0, 0
	s_delay_alu instid0(VALU_DEP_2) | instskip(NEXT) | instid1(VALU_DEP_1)
	v_add3_u32 v1, v0, v1, 0x7fff
	v_lshrrev_b32_e32 v1, 16, v1
	s_delay_alu instid0(VALU_DEP_1)
	v_cndmask_b32_e32 v1, 0x7fc0, v1, vcc_lo
	global_store_b32 v[2:3], v1, off
.LBB21_835:
	s_mov_b32 s5, 0
.LBB21_836:
	s_delay_alu instid0(SALU_CYCLE_1)
	s_and_b32 vcc_lo, exec_lo, s5
	s_cbranch_vccz .LBB21_841
; %bb.837:
	s_cmp_eq_u32 s3, 44
	s_mov_b32 s0, -1
	s_cbranch_scc0 .LBB21_841
; %bb.838:
	v_bfe_u32 v4, v0, 23, 8
	s_wait_xcnt 0x0
	v_mov_b32_e32 v1, 0xff
	s_mov_b32 s5, exec_lo
	s_delay_alu instid0(VALU_DEP_2)
	v_cmpx_ne_u32_e32 0xff, v4
	s_cbranch_execz .LBB21_840
; %bb.839:
	v_and_b32_e32 v1, 0x400000, v0
	v_and_or_b32 v4, 0x3fffff, v0, v4
	s_delay_alu instid0(VALU_DEP_2) | instskip(NEXT) | instid1(VALU_DEP_2)
	v_cmp_ne_u32_e32 vcc_lo, 0, v1
	v_cmp_ne_u32_e64 s0, 0, v4
	v_lshrrev_b32_e32 v1, 23, v0
	s_and_b32 s0, vcc_lo, s0
	s_delay_alu instid0(SALU_CYCLE_1) | instskip(NEXT) | instid1(VALU_DEP_1)
	v_cndmask_b32_e64 v4, 0, 1, s0
	v_add_nc_u32_e32 v1, v1, v4
.LBB21_840:
	s_or_b32 exec_lo, exec_lo, s5
	s_mov_b32 s0, 0
	global_store_b8 v[2:3], v1, off
.LBB21_841:
	s_mov_b32 s5, 0
.LBB21_842:
	s_delay_alu instid0(SALU_CYCLE_1)
	s_and_b32 vcc_lo, exec_lo, s5
	s_cbranch_vccz .LBB21_845
; %bb.843:
	s_cmp_eq_u32 s3, 29
	s_mov_b32 s0, -1
	s_cbranch_scc0 .LBB21_845
; %bb.844:
	s_wait_xcnt 0x0
	v_trunc_f32_e32 v1, v0
	s_mov_b32 s0, 0
	s_delay_alu instid0(VALU_DEP_1) | instskip(NEXT) | instid1(VALU_DEP_1)
	v_mul_f32_e32 v4, 0x2f800000, v1
	v_floor_f32_e32 v4, v4
	s_delay_alu instid0(VALU_DEP_1) | instskip(SKIP_1) | instid1(VALU_DEP_2)
	v_fmamk_f32 v1, v4, 0xcf800000, v1
	v_cvt_u32_f32_e32 v5, v4
	v_cvt_u32_f32_e32 v4, v1
	global_store_b64 v[2:3], v[4:5], off
.LBB21_845:
	s_mov_b32 s5, 0
.LBB21_846:
	s_delay_alu instid0(SALU_CYCLE_1)
	s_and_b32 vcc_lo, exec_lo, s5
	s_cbranch_vccz .LBB21_861
; %bb.847:
	s_cmp_lt_i32 s3, 27
	s_mov_b32 s5, -1
	s_cbranch_scc1 .LBB21_853
; %bb.848:
	s_wait_xcnt 0x0
	v_cvt_u32_f32_e32 v1, v0
	s_cmp_gt_i32 s3, 27
	s_cbranch_scc0 .LBB21_850
; %bb.849:
	s_mov_b32 s5, 0
	global_store_b32 v[2:3], v1, off
.LBB21_850:
	s_and_not1_b32 vcc_lo, exec_lo, s5
	s_cbranch_vccnz .LBB21_852
; %bb.851:
	global_store_b16 v[2:3], v1, off
.LBB21_852:
	s_mov_b32 s5, 0
.LBB21_853:
	s_delay_alu instid0(SALU_CYCLE_1)
	s_and_not1_b32 vcc_lo, exec_lo, s5
	s_cbranch_vccnz .LBB21_861
; %bb.854:
	s_wait_xcnt 0x0
	v_and_b32_e32 v1, 0x7fffffff, v0
	v_mov_b32_e32 v4, 0x80
	s_mov_b32 s5, exec_lo
	s_delay_alu instid0(VALU_DEP_2)
	v_cmpx_gt_u32_e32 0x43800000, v1
	s_cbranch_execz .LBB21_860
; %bb.855:
	v_cmp_lt_u32_e32 vcc_lo, 0x3bffffff, v1
	s_mov_b32 s6, 0
                                        ; implicit-def: $vgpr1
	s_and_saveexec_b32 s7, vcc_lo
	s_delay_alu instid0(SALU_CYCLE_1)
	s_xor_b32 s7, exec_lo, s7
	s_cbranch_execz .LBB21_1004
; %bb.856:
	v_bfe_u32 v1, v0, 20, 1
	s_mov_b32 s6, exec_lo
	s_delay_alu instid0(VALU_DEP_1) | instskip(NEXT) | instid1(VALU_DEP_1)
	v_add3_u32 v1, v0, v1, 0x487ffff
	v_lshrrev_b32_e32 v1, 20, v1
	s_and_not1_saveexec_b32 s7, s7
	s_cbranch_execnz .LBB21_1005
.LBB21_857:
	s_or_b32 exec_lo, exec_lo, s7
	v_mov_b32_e32 v4, 0
	s_and_saveexec_b32 s7, s6
.LBB21_858:
	v_lshrrev_b32_e32 v4, 24, v0
	s_delay_alu instid0(VALU_DEP_1)
	v_and_or_b32 v4, 0x80, v4, v1
.LBB21_859:
	s_or_b32 exec_lo, exec_lo, s7
.LBB21_860:
	s_delay_alu instid0(SALU_CYCLE_1)
	s_or_b32 exec_lo, exec_lo, s5
	global_store_b8 v[2:3], v4, off
.LBB21_861:
	s_mov_b32 s5, 0
.LBB21_862:
	s_delay_alu instid0(SALU_CYCLE_1)
	s_and_b32 vcc_lo, exec_lo, s5
	s_cbranch_vccz .LBB21_902
; %bb.863:
	s_cmp_gt_i32 s3, 22
	s_mov_b32 s4, -1
	s_cbranch_scc0 .LBB21_895
; %bb.864:
	s_cmp_lt_i32 s3, 24
	s_cbranch_scc1 .LBB21_884
; %bb.865:
	s_cmp_gt_i32 s3, 24
	s_cbranch_scc0 .LBB21_873
; %bb.866:
	s_wait_xcnt 0x0
	v_and_b32_e32 v1, 0x7fffffff, v0
	v_mov_b32_e32 v4, 0x80
	s_mov_b32 s4, exec_lo
	s_delay_alu instid0(VALU_DEP_2)
	v_cmpx_gt_u32_e32 0x47800000, v1
	s_cbranch_execz .LBB21_872
; %bb.867:
	v_cmp_lt_u32_e32 vcc_lo, 0x37ffffff, v1
	s_mov_b32 s5, 0
                                        ; implicit-def: $vgpr1
	s_and_saveexec_b32 s6, vcc_lo
	s_delay_alu instid0(SALU_CYCLE_1)
	s_xor_b32 s6, exec_lo, s6
	s_cbranch_execz .LBB21_1009
; %bb.868:
	v_bfe_u32 v1, v0, 21, 1
	s_mov_b32 s5, exec_lo
	s_delay_alu instid0(VALU_DEP_1) | instskip(NEXT) | instid1(VALU_DEP_1)
	v_add3_u32 v1, v0, v1, 0x88fffff
	v_lshrrev_b32_e32 v1, 21, v1
	s_and_not1_saveexec_b32 s6, s6
	s_cbranch_execnz .LBB21_1010
.LBB21_869:
	s_or_b32 exec_lo, exec_lo, s6
	v_mov_b32_e32 v4, 0
	s_and_saveexec_b32 s6, s5
.LBB21_870:
	v_lshrrev_b32_e32 v4, 24, v0
	s_delay_alu instid0(VALU_DEP_1)
	v_and_or_b32 v4, 0x80, v4, v1
.LBB21_871:
	s_or_b32 exec_lo, exec_lo, s6
.LBB21_872:
	s_delay_alu instid0(SALU_CYCLE_1)
	s_or_b32 exec_lo, exec_lo, s4
	s_mov_b32 s4, 0
	global_store_b8 v[2:3], v4, off
.LBB21_873:
	s_and_b32 vcc_lo, exec_lo, s4
	s_cbranch_vccz .LBB21_883
; %bb.874:
	s_wait_xcnt 0x0
	v_and_b32_e32 v4, 0x7fffffff, v0
	s_mov_b32 s4, exec_lo
                                        ; implicit-def: $vgpr1
	s_delay_alu instid0(VALU_DEP_1)
	v_cmpx_gt_u32_e32 0x43f00000, v4
	s_xor_b32 s4, exec_lo, s4
	s_cbranch_execz .LBB21_880
; %bb.875:
	s_mov_b32 s5, exec_lo
                                        ; implicit-def: $vgpr1
	v_cmpx_lt_u32_e32 0x3c7fffff, v4
	s_xor_b32 s5, exec_lo, s5
; %bb.876:
	v_bfe_u32 v1, v0, 20, 1
	s_delay_alu instid0(VALU_DEP_1) | instskip(NEXT) | instid1(VALU_DEP_1)
	v_add3_u32 v1, v0, v1, 0x407ffff
	v_and_b32_e32 v4, 0xff00000, v1
	v_lshrrev_b32_e32 v1, 20, v1
	s_delay_alu instid0(VALU_DEP_2) | instskip(NEXT) | instid1(VALU_DEP_2)
	v_cmp_ne_u32_e32 vcc_lo, 0x7f00000, v4
	v_cndmask_b32_e32 v1, 0x7e, v1, vcc_lo
; %bb.877:
	s_and_not1_saveexec_b32 s5, s5
; %bb.878:
	v_add_f32_e64 v1, 0x46800000, |v0|
; %bb.879:
	s_or_b32 exec_lo, exec_lo, s5
                                        ; implicit-def: $vgpr4
.LBB21_880:
	s_and_not1_saveexec_b32 s4, s4
; %bb.881:
	v_mov_b32_e32 v1, 0x7f
	v_cmp_lt_u32_e32 vcc_lo, 0x7f800000, v4
	s_delay_alu instid0(VALU_DEP_2)
	v_cndmask_b32_e32 v1, 0x7e, v1, vcc_lo
; %bb.882:
	s_or_b32 exec_lo, exec_lo, s4
	v_lshrrev_b32_e32 v4, 24, v0
	s_delay_alu instid0(VALU_DEP_1)
	v_and_or_b32 v1, 0x80, v4, v1
	global_store_b8 v[2:3], v1, off
.LBB21_883:
	s_mov_b32 s4, 0
.LBB21_884:
	s_delay_alu instid0(SALU_CYCLE_1)
	s_and_not1_b32 vcc_lo, exec_lo, s4
	s_cbranch_vccnz .LBB21_894
; %bb.885:
	s_wait_xcnt 0x0
	v_and_b32_e32 v4, 0x7fffffff, v0
	s_mov_b32 s4, exec_lo
                                        ; implicit-def: $vgpr1
	s_delay_alu instid0(VALU_DEP_1)
	v_cmpx_gt_u32_e32 0x47800000, v4
	s_xor_b32 s4, exec_lo, s4
	s_cbranch_execz .LBB21_891
; %bb.886:
	s_mov_b32 s5, exec_lo
                                        ; implicit-def: $vgpr1
	v_cmpx_lt_u32_e32 0x387fffff, v4
	s_xor_b32 s5, exec_lo, s5
; %bb.887:
	v_bfe_u32 v1, v0, 21, 1
	s_delay_alu instid0(VALU_DEP_1) | instskip(NEXT) | instid1(VALU_DEP_1)
	v_add3_u32 v1, v0, v1, 0x80fffff
	v_lshrrev_b32_e32 v1, 21, v1
; %bb.888:
	s_and_not1_saveexec_b32 s5, s5
; %bb.889:
	v_add_f32_e64 v1, 0x43000000, |v0|
; %bb.890:
	s_or_b32 exec_lo, exec_lo, s5
                                        ; implicit-def: $vgpr4
.LBB21_891:
	s_and_not1_saveexec_b32 s4, s4
; %bb.892:
	v_mov_b32_e32 v1, 0x7f
	v_cmp_lt_u32_e32 vcc_lo, 0x7f800000, v4
	s_delay_alu instid0(VALU_DEP_2)
	v_cndmask_b32_e32 v1, 0x7c, v1, vcc_lo
; %bb.893:
	s_or_b32 exec_lo, exec_lo, s4
	v_lshrrev_b32_e32 v4, 24, v0
	s_delay_alu instid0(VALU_DEP_1)
	v_and_or_b32 v1, 0x80, v4, v1
	global_store_b8 v[2:3], v1, off
.LBB21_894:
	s_mov_b32 s4, 0
.LBB21_895:
	s_delay_alu instid0(SALU_CYCLE_1)
	s_and_not1_b32 vcc_lo, exec_lo, s4
	s_mov_b32 s4, 0
	s_cbranch_vccnz .LBB21_902
; %bb.896:
	s_cmp_gt_i32 s3, 14
	s_mov_b32 s4, -1
	s_cbranch_scc0 .LBB21_900
; %bb.897:
	s_cmp_eq_u32 s3, 15
	s_mov_b32 s0, -1
	s_cbranch_scc0 .LBB21_899
; %bb.898:
	s_wait_xcnt 0x0
	v_bfe_u32 v1, v0, 16, 1
	v_cmp_o_f32_e32 vcc_lo, v0, v0
	s_mov_b32 s0, 0
	s_delay_alu instid0(VALU_DEP_2) | instskip(NEXT) | instid1(VALU_DEP_1)
	v_add3_u32 v1, v0, v1, 0x7fff
	v_lshrrev_b32_e32 v1, 16, v1
	s_delay_alu instid0(VALU_DEP_1)
	v_cndmask_b32_e32 v1, 0x7fc0, v1, vcc_lo
	global_store_b16 v[2:3], v1, off
.LBB21_899:
	s_mov_b32 s4, 0
.LBB21_900:
	s_delay_alu instid0(SALU_CYCLE_1)
	s_and_b32 vcc_lo, exec_lo, s4
	s_mov_b32 s4, 0
	s_cbranch_vccz .LBB21_902
; %bb.901:
	s_cmp_lg_u32 s3, 11
	s_mov_b32 s4, -1
	s_cselect_b32 s0, -1, 0
.LBB21_902:
	s_delay_alu instid0(SALU_CYCLE_1)
	s_and_b32 vcc_lo, exec_lo, s0
	s_cbranch_vccnz .LBB21_1006
.LBB21_903:
	s_mov_b32 s0, 0
	s_branch .LBB21_944
.LBB21_904:
	s_mov_b32 s6, 0
	s_cbranch_execz .LBB21_827
; %bb.905:
	s_and_b32 s0, 0xffff, s1
	s_mov_b32 s4, -1
	s_cmp_lt_i32 s0, 5
	s_cbranch_scc1 .LBB21_926
; %bb.906:
	s_cmp_lt_i32 s0, 8
	s_cbranch_scc1 .LBB21_916
; %bb.907:
	;; [unrolled: 3-line block ×3, first 2 shown]
	s_cmp_gt_i32 s0, 9
	s_cbranch_scc0 .LBB21_910
; %bb.909:
	s_wait_xcnt 0x0
	v_cvt_f64_f32_e32 v[6:7], v32
	v_mov_b32_e32 v8, 0
	s_mov_b32 s4, 0
	s_delay_alu instid0(VALU_DEP_1)
	v_mov_b32_e32 v9, v8
	global_store_b128 v[4:5], v[6:9], off
.LBB21_910:
	s_and_not1_b32 vcc_lo, exec_lo, s4
	s_cbranch_vccnz .LBB21_912
; %bb.911:
	v_mov_b32_e32 v33, 0
	global_store_b64 v[4:5], v[32:33], off
.LBB21_912:
	s_mov_b32 s4, 0
.LBB21_913:
	s_delay_alu instid0(SALU_CYCLE_1)
	s_and_not1_b32 vcc_lo, exec_lo, s4
	s_cbranch_vccnz .LBB21_915
; %bb.914:
	s_wait_xcnt 0x0
	v_cvt_f16_f32_e32 v1, v32
	s_delay_alu instid0(VALU_DEP_1)
	v_and_b32_e32 v1, 0xffff, v1
	global_store_b32 v[4:5], v1, off
.LBB21_915:
	s_mov_b32 s4, 0
.LBB21_916:
	s_delay_alu instid0(SALU_CYCLE_1)
	s_and_not1_b32 vcc_lo, exec_lo, s4
	s_cbranch_vccnz .LBB21_925
; %bb.917:
	s_cmp_lt_i32 s0, 6
	s_mov_b32 s4, -1
	s_cbranch_scc1 .LBB21_923
; %bb.918:
	s_cmp_gt_i32 s0, 6
	s_cbranch_scc0 .LBB21_920
; %bb.919:
	s_wait_xcnt 0x0
	v_cvt_f64_f32_e32 v[6:7], v32
	s_mov_b32 s4, 0
	global_store_b64 v[4:5], v[6:7], off
.LBB21_920:
	s_and_not1_b32 vcc_lo, exec_lo, s4
	s_cbranch_vccnz .LBB21_922
; %bb.921:
	global_store_b32 v[4:5], v32, off
.LBB21_922:
	s_mov_b32 s4, 0
.LBB21_923:
	s_delay_alu instid0(SALU_CYCLE_1)
	s_and_not1_b32 vcc_lo, exec_lo, s4
	s_cbranch_vccnz .LBB21_925
; %bb.924:
	s_wait_xcnt 0x0
	v_cvt_f16_f32_e32 v1, v32
	global_store_b16 v[4:5], v1, off
.LBB21_925:
	s_mov_b32 s4, 0
.LBB21_926:
	s_delay_alu instid0(SALU_CYCLE_1)
	s_and_not1_b32 vcc_lo, exec_lo, s4
	s_cbranch_vccnz .LBB21_942
; %bb.927:
	s_cmp_lt_i32 s0, 2
	s_mov_b32 s4, -1
	s_cbranch_scc1 .LBB21_937
; %bb.928:
	s_cmp_lt_i32 s0, 3
	s_cbranch_scc1 .LBB21_934
; %bb.929:
	s_cmp_gt_i32 s0, 3
	s_cbranch_scc0 .LBB21_931
; %bb.930:
	s_wait_xcnt 0x0
	v_trunc_f32_e32 v1, v32
	s_mov_b32 s4, 0
	s_delay_alu instid0(VALU_DEP_1) | instskip(SKIP_1) | instid1(VALU_DEP_2)
	v_mul_f32_e64 v3, 0x2f800000, |v1|
	v_ashrrev_i32_e32 v6, 31, v1
	v_floor_f32_e32 v3, v3
	s_delay_alu instid0(VALU_DEP_1) | instskip(SKIP_1) | instid1(VALU_DEP_2)
	v_fma_f32 v7, 0xcf800000, v3, |v1|
	v_cvt_u32_f32_e32 v1, v3
	v_cvt_u32_f32_e32 v3, v7
	s_delay_alu instid0(VALU_DEP_2) | instskip(NEXT) | instid1(VALU_DEP_2)
	v_dual_mov_b32 v7, v6 :: v_dual_bitop2_b32 v9, v1, v6 bitop3:0x14
	v_xor_b32_e32 v8, v3, v6
	s_delay_alu instid0(VALU_DEP_1)
	v_sub_nc_u64_e32 v[6:7], v[8:9], v[6:7]
	global_store_b64 v[4:5], v[6:7], off
.LBB21_931:
	s_and_not1_b32 vcc_lo, exec_lo, s4
	s_cbranch_vccnz .LBB21_933
; %bb.932:
	s_wait_xcnt 0x0
	v_cvt_i32_f32_e32 v1, v32
	global_store_b32 v[4:5], v1, off
.LBB21_933:
	s_mov_b32 s4, 0
.LBB21_934:
	s_delay_alu instid0(SALU_CYCLE_1)
	s_and_not1_b32 vcc_lo, exec_lo, s4
	s_cbranch_vccnz .LBB21_936
; %bb.935:
	s_wait_xcnt 0x0
	v_cvt_i32_f32_e32 v1, v32
	global_store_b16 v[4:5], v1, off
.LBB21_936:
	s_mov_b32 s4, 0
.LBB21_937:
	s_delay_alu instid0(SALU_CYCLE_1)
	s_and_not1_b32 vcc_lo, exec_lo, s4
	s_cbranch_vccnz .LBB21_942
; %bb.938:
	s_cmp_gt_i32 s0, 0
	s_mov_b32 s0, -1
	s_cbranch_scc0 .LBB21_940
; %bb.939:
	s_wait_xcnt 0x0
	v_cvt_i32_f32_e32 v1, v32
	s_mov_b32 s0, 0
	global_store_b8 v[4:5], v1, off
.LBB21_940:
	s_and_not1_b32 vcc_lo, exec_lo, s0
	s_cbranch_vccnz .LBB21_942
; %bb.941:
	s_wait_xcnt 0x0
	v_trunc_f32_e32 v1, v32
	s_delay_alu instid0(VALU_DEP_1) | instskip(NEXT) | instid1(VALU_DEP_1)
	v_mul_f32_e64 v3, 0x2f800000, |v1|
	v_floor_f32_e32 v3, v3
	s_delay_alu instid0(VALU_DEP_1) | instskip(SKIP_1) | instid1(VALU_DEP_2)
	v_fma_f32 v3, 0xcf800000, v3, |v1|
	v_ashrrev_i32_e32 v1, 31, v1
	v_cvt_u32_f32_e32 v3, v3
	s_delay_alu instid0(VALU_DEP_1) | instskip(NEXT) | instid1(VALU_DEP_1)
	v_xor_b32_e32 v3, v3, v1
	v_sub_nc_u32_e32 v1, v3, v1
	global_store_b8 v[4:5], v1, off
.LBB21_942:
	s_branch .LBB21_828
.LBB21_943:
	s_mov_b32 s0, 0
	s_mov_b32 s4, 0
                                        ; implicit-def: $sgpr1
                                        ; implicit-def: $vgpr2_vgpr3
.LBB21_944:
	s_and_not1_b32 s3, s20, exec_lo
	s_and_b32 s2, s2, exec_lo
	s_and_b32 s0, s0, exec_lo
	;; [unrolled: 1-line block ×3, first 2 shown]
	s_or_b32 s20, s3, s2
.LBB21_945:
	s_wait_xcnt 0x0
	s_or_b32 exec_lo, exec_lo, s19
	s_and_saveexec_b32 s2, s20
	s_cbranch_execz .LBB21_948
; %bb.946:
	; divergent unreachable
	s_or_b32 exec_lo, exec_lo, s2
	s_and_saveexec_b32 s2, s18
	s_delay_alu instid0(SALU_CYCLE_1)
	s_xor_b32 s2, exec_lo, s2
	s_cbranch_execnz .LBB21_949
.LBB21_947:
	s_or_b32 exec_lo, exec_lo, s2
	s_and_saveexec_b32 s2, s0
	s_cbranch_execnz .LBB21_950
	s_branch .LBB21_987
.LBB21_948:
	s_or_b32 exec_lo, exec_lo, s2
	s_and_saveexec_b32 s2, s18
	s_delay_alu instid0(SALU_CYCLE_1)
	s_xor_b32 s2, exec_lo, s2
	s_cbranch_execz .LBB21_947
.LBB21_949:
	v_cmp_neq_f32_e32 vcc_lo, 0, v0
	v_cndmask_b32_e64 v1, 0, 1, vcc_lo
	global_store_b8 v[2:3], v1, off
	s_wait_xcnt 0x0
	s_or_b32 exec_lo, exec_lo, s2
	s_and_saveexec_b32 s2, s0
	s_cbranch_execz .LBB21_987
.LBB21_950:
	s_sext_i32_i16 s2, s1
	s_mov_b32 s0, -1
	s_cmp_lt_i32 s2, 5
	s_cbranch_scc1 .LBB21_971
; %bb.951:
	s_cmp_lt_i32 s2, 8
	s_cbranch_scc1 .LBB21_961
; %bb.952:
	;; [unrolled: 3-line block ×3, first 2 shown]
	s_cmp_gt_i32 s2, 9
	s_cbranch_scc0 .LBB21_955
; %bb.954:
	v_cvt_f64_f32_e32 v[4:5], v0
	v_mov_b32_e32 v6, 0
	s_mov_b32 s0, 0
	s_delay_alu instid0(VALU_DEP_1)
	v_mov_b32_e32 v7, v6
	global_store_b128 v[2:3], v[4:7], off
.LBB21_955:
	s_and_not1_b32 vcc_lo, exec_lo, s0
	s_cbranch_vccnz .LBB21_957
; %bb.956:
	v_mov_b32_e32 v1, 0
	global_store_b64 v[2:3], v[0:1], off
.LBB21_957:
	s_mov_b32 s0, 0
.LBB21_958:
	s_delay_alu instid0(SALU_CYCLE_1)
	s_and_not1_b32 vcc_lo, exec_lo, s0
	s_cbranch_vccnz .LBB21_960
; %bb.959:
	s_wait_xcnt 0x0
	v_cvt_f16_f32_e32 v1, v0
	s_delay_alu instid0(VALU_DEP_1)
	v_and_b32_e32 v1, 0xffff, v1
	global_store_b32 v[2:3], v1, off
.LBB21_960:
	s_mov_b32 s0, 0
.LBB21_961:
	s_delay_alu instid0(SALU_CYCLE_1)
	s_and_not1_b32 vcc_lo, exec_lo, s0
	s_cbranch_vccnz .LBB21_970
; %bb.962:
	s_sext_i32_i16 s2, s1
	s_mov_b32 s0, -1
	s_cmp_lt_i32 s2, 6
	s_cbranch_scc1 .LBB21_968
; %bb.963:
	s_cmp_gt_i32 s2, 6
	s_cbranch_scc0 .LBB21_965
; %bb.964:
	s_wait_xcnt 0x0
	v_cvt_f64_f32_e32 v[4:5], v0
	s_mov_b32 s0, 0
	global_store_b64 v[2:3], v[4:5], off
.LBB21_965:
	s_and_not1_b32 vcc_lo, exec_lo, s0
	s_cbranch_vccnz .LBB21_967
; %bb.966:
	global_store_b32 v[2:3], v0, off
.LBB21_967:
	s_mov_b32 s0, 0
.LBB21_968:
	s_delay_alu instid0(SALU_CYCLE_1)
	s_and_not1_b32 vcc_lo, exec_lo, s0
	s_cbranch_vccnz .LBB21_970
; %bb.969:
	s_wait_xcnt 0x0
	v_cvt_f16_f32_e32 v1, v0
	global_store_b16 v[2:3], v1, off
.LBB21_970:
	s_mov_b32 s0, 0
.LBB21_971:
	s_delay_alu instid0(SALU_CYCLE_1)
	s_and_not1_b32 vcc_lo, exec_lo, s0
	s_cbranch_vccnz .LBB21_987
; %bb.972:
	s_sext_i32_i16 s2, s1
	s_mov_b32 s0, -1
	s_cmp_lt_i32 s2, 2
	s_cbranch_scc1 .LBB21_982
; %bb.973:
	s_cmp_lt_i32 s2, 3
	s_cbranch_scc1 .LBB21_979
; %bb.974:
	s_cmp_gt_i32 s2, 3
	s_cbranch_scc0 .LBB21_976
; %bb.975:
	s_wait_xcnt 0x0
	v_trunc_f32_e32 v1, v0
	s_mov_b32 s0, 0
	s_delay_alu instid0(VALU_DEP_1) | instskip(NEXT) | instid1(VALU_DEP_1)
	v_mul_f32_e64 v4, 0x2f800000, |v1|
	v_floor_f32_e32 v5, v4
	v_ashrrev_i32_e32 v4, 31, v1
	s_delay_alu instid0(VALU_DEP_2) | instskip(SKIP_1) | instid1(VALU_DEP_3)
	v_fma_f32 v6, 0xcf800000, v5, |v1|
	v_cvt_u32_f32_e32 v1, v5
	v_mov_b32_e32 v5, v4
	s_delay_alu instid0(VALU_DEP_3) | instskip(NEXT) | instid1(VALU_DEP_3)
	v_cvt_u32_f32_e32 v6, v6
	v_xor_b32_e32 v7, v1, v4
	s_delay_alu instid0(VALU_DEP_2) | instskip(NEXT) | instid1(VALU_DEP_1)
	v_xor_b32_e32 v6, v6, v4
	v_sub_nc_u64_e32 v[4:5], v[6:7], v[4:5]
	global_store_b64 v[2:3], v[4:5], off
.LBB21_976:
	s_and_not1_b32 vcc_lo, exec_lo, s0
	s_cbranch_vccnz .LBB21_978
; %bb.977:
	s_wait_xcnt 0x0
	v_cvt_i32_f32_e32 v1, v0
	global_store_b32 v[2:3], v1, off
.LBB21_978:
	s_mov_b32 s0, 0
.LBB21_979:
	s_delay_alu instid0(SALU_CYCLE_1)
	s_and_not1_b32 vcc_lo, exec_lo, s0
	s_cbranch_vccnz .LBB21_981
; %bb.980:
	s_wait_xcnt 0x0
	v_cvt_i32_f32_e32 v1, v0
	global_store_b16 v[2:3], v1, off
.LBB21_981:
	s_mov_b32 s0, 0
.LBB21_982:
	s_delay_alu instid0(SALU_CYCLE_1)
	s_and_not1_b32 vcc_lo, exec_lo, s0
	s_cbranch_vccnz .LBB21_987
; %bb.983:
	s_sext_i32_i16 s0, s1
	s_delay_alu instid0(SALU_CYCLE_1)
	s_cmp_gt_i32 s0, 0
	s_mov_b32 s0, -1
	s_cbranch_scc0 .LBB21_985
; %bb.984:
	s_wait_xcnt 0x0
	v_cvt_i32_f32_e32 v1, v0
	s_mov_b32 s0, 0
	global_store_b8 v[2:3], v1, off
.LBB21_985:
	s_and_not1_b32 vcc_lo, exec_lo, s0
	s_cbranch_vccnz .LBB21_987
; %bb.986:
	s_wait_xcnt 0x0
	v_trunc_f32_e32 v0, v0
	s_delay_alu instid0(VALU_DEP_1) | instskip(NEXT) | instid1(VALU_DEP_1)
	v_mul_f32_e64 v1, 0x2f800000, |v0|
	v_floor_f32_e32 v1, v1
	s_delay_alu instid0(VALU_DEP_1) | instskip(SKIP_1) | instid1(VALU_DEP_2)
	v_fma_f32 v1, 0xcf800000, v1, |v0|
	v_ashrrev_i32_e32 v0, 31, v0
	v_cvt_u32_f32_e32 v1, v1
	s_delay_alu instid0(VALU_DEP_1) | instskip(NEXT) | instid1(VALU_DEP_1)
	v_xor_b32_e32 v1, v1, v0
	v_sub_nc_u32_e32 v0, v1, v0
	global_store_b8 v[2:3], v0, off
	s_endpgm
.LBB21_987:
	s_endpgm
.LBB21_988:
	s_mov_b32 s4, 0
	s_mov_b32 s0, -1
	s_branch .LBB21_944
.LBB21_989:
	s_and_not1_saveexec_b32 s6, s6
	s_cbranch_execz .LBB21_541
.LBB21_990:
	v_add_f32_e64 v1, 0x46000000, |v36|
	s_and_not1_b32 s5, s5, exec_lo
	s_delay_alu instid0(VALU_DEP_1) | instskip(NEXT) | instid1(VALU_DEP_1)
	v_and_b32_e32 v1, 0xff, v1
	v_cmp_ne_u32_e32 vcc_lo, 0, v1
	s_and_b32 s7, vcc_lo, exec_lo
	s_delay_alu instid0(SALU_CYCLE_1)
	s_or_b32 s5, s5, s7
	s_or_b32 exec_lo, exec_lo, s6
	v_mov_b32_e32 v3, 0
	s_and_saveexec_b32 s6, s5
	s_cbranch_execnz .LBB21_542
	s_branch .LBB21_543
.LBB21_991:
	s_or_b32 s2, s20, exec_lo
	s_trap 2
	s_cbranch_execz .LBB21_589
	s_branch .LBB21_590
.LBB21_992:
	s_and_not1_saveexec_b32 s5, s5
	s_cbranch_execz .LBB21_554
.LBB21_993:
	v_add_f32_e64 v1, 0x42800000, |v36|
	s_and_not1_b32 s4, s4, exec_lo
	s_delay_alu instid0(VALU_DEP_1) | instskip(NEXT) | instid1(VALU_DEP_1)
	v_and_b32_e32 v1, 0xff, v1
	v_cmp_ne_u32_e32 vcc_lo, 0, v1
	s_and_b32 s6, vcc_lo, exec_lo
	s_delay_alu instid0(SALU_CYCLE_1)
	s_or_b32 s4, s4, s6
	s_or_b32 exec_lo, exec_lo, s5
	v_mov_b32_e32 v3, 0
	s_and_saveexec_b32 s5, s4
	s_cbranch_execnz .LBB21_555
	s_branch .LBB21_556
.LBB21_994:
	s_and_not1_saveexec_b32 s8, s8
	s_cbranch_execz .LBB21_659
.LBB21_995:
	v_add_f32_e64 v1, 0x46000000, |v34|
	s_and_not1_b32 s7, s7, exec_lo
	s_delay_alu instid0(VALU_DEP_1) | instskip(NEXT) | instid1(VALU_DEP_1)
	v_and_b32_e32 v1, 0xff, v1
	v_cmp_ne_u32_e32 vcc_lo, 0, v1
	s_and_b32 s9, vcc_lo, exec_lo
	s_delay_alu instid0(SALU_CYCLE_1)
	s_or_b32 s7, s7, s9
	s_or_b32 exec_lo, exec_lo, s8
	v_mov_b32_e32 v3, 0
	s_and_saveexec_b32 s8, s7
	s_cbranch_execnz .LBB21_660
	s_branch .LBB21_661
.LBB21_996:
	s_or_b32 s2, s2, exec_lo
	s_trap 2
	s_cbranch_execz .LBB21_707
	s_branch .LBB21_708
.LBB21_997:
	s_and_not1_saveexec_b32 s7, s7
	s_cbranch_execz .LBB21_672
.LBB21_998:
	v_add_f32_e64 v1, 0x42800000, |v34|
	s_and_not1_b32 s6, s6, exec_lo
	s_delay_alu instid0(VALU_DEP_1) | instskip(NEXT) | instid1(VALU_DEP_1)
	v_and_b32_e32 v1, 0xff, v1
	v_cmp_ne_u32_e32 vcc_lo, 0, v1
	s_and_b32 s8, vcc_lo, exec_lo
	s_delay_alu instid0(SALU_CYCLE_1)
	s_or_b32 s6, s6, s8
	s_or_b32 exec_lo, exec_lo, s7
	v_mov_b32_e32 v3, 0
	s_and_saveexec_b32 s7, s6
	s_cbranch_execnz .LBB21_673
	s_branch .LBB21_674
.LBB21_999:
	s_and_not1_saveexec_b32 s8, s8
	s_cbranch_execz .LBB21_777
.LBB21_1000:
	v_add_f32_e64 v1, 0x46000000, |v32|
	s_and_not1_b32 s7, s7, exec_lo
	s_delay_alu instid0(VALU_DEP_1) | instskip(NEXT) | instid1(VALU_DEP_1)
	v_and_b32_e32 v1, 0xff, v1
	v_cmp_ne_u32_e32 vcc_lo, 0, v1
	s_and_b32 s9, vcc_lo, exec_lo
	s_delay_alu instid0(SALU_CYCLE_1)
	s_or_b32 s7, s7, s9
	s_or_b32 exec_lo, exec_lo, s8
	v_mov_b32_e32 v3, 0
	s_and_saveexec_b32 s8, s7
	s_cbranch_execnz .LBB21_778
	s_branch .LBB21_779
.LBB21_1001:
	s_or_b32 s2, s2, exec_lo
	s_trap 2
	s_cbranch_execz .LBB21_825
	s_branch .LBB21_826
.LBB21_1002:
	s_and_not1_saveexec_b32 s7, s7
	s_cbranch_execz .LBB21_790
.LBB21_1003:
	v_add_f32_e64 v1, 0x42800000, |v32|
	s_and_not1_b32 s6, s6, exec_lo
	s_delay_alu instid0(VALU_DEP_1) | instskip(NEXT) | instid1(VALU_DEP_1)
	v_and_b32_e32 v1, 0xff, v1
	v_cmp_ne_u32_e32 vcc_lo, 0, v1
	s_and_b32 s8, vcc_lo, exec_lo
	s_delay_alu instid0(SALU_CYCLE_1)
	s_or_b32 s6, s6, s8
	s_or_b32 exec_lo, exec_lo, s7
	v_mov_b32_e32 v3, 0
	s_and_saveexec_b32 s7, s6
	s_cbranch_execnz .LBB21_791
	s_branch .LBB21_792
.LBB21_1004:
	s_and_not1_saveexec_b32 s7, s7
	s_cbranch_execz .LBB21_857
.LBB21_1005:
	v_add_f32_e64 v1, 0x46000000, |v0|
	s_and_not1_b32 s6, s6, exec_lo
	s_delay_alu instid0(VALU_DEP_1) | instskip(NEXT) | instid1(VALU_DEP_1)
	v_and_b32_e32 v1, 0xff, v1
	v_cmp_ne_u32_e32 vcc_lo, 0, v1
	s_and_b32 s8, vcc_lo, exec_lo
	s_delay_alu instid0(SALU_CYCLE_1)
	s_or_b32 s6, s6, s8
	s_or_b32 exec_lo, exec_lo, s7
	v_mov_b32_e32 v4, 0
	s_and_saveexec_b32 s7, s6
	s_cbranch_execnz .LBB21_858
	s_branch .LBB21_859
.LBB21_1006:
	s_mov_b32 s4, 0
	s_or_b32 s2, s2, exec_lo
	s_trap 2
	s_branch .LBB21_903
.LBB21_1007:
	s_and_not1_saveexec_b32 s5, s5
	s_cbranch_execz .LBB21_422
.LBB21_1008:
	v_add_f32_e64 v1, 0x46000000, |v0|
	s_and_not1_b32 s4, s4, exec_lo
	s_delay_alu instid0(VALU_DEP_1) | instskip(NEXT) | instid1(VALU_DEP_1)
	v_and_b32_e32 v1, 0xff, v1
	v_cmp_ne_u32_e32 vcc_lo, 0, v1
	s_and_b32 s6, vcc_lo, exec_lo
	s_delay_alu instid0(SALU_CYCLE_1)
	s_or_b32 s4, s4, s6
	s_or_b32 exec_lo, exec_lo, s5
	v_mov_b32_e32 v4, 0
	s_and_saveexec_b32 s5, s4
	s_cbranch_execnz .LBB21_423
	s_branch .LBB21_424
.LBB21_1009:
	s_and_not1_saveexec_b32 s6, s6
	s_cbranch_execz .LBB21_869
.LBB21_1010:
	v_add_f32_e64 v1, 0x42800000, |v0|
	s_and_not1_b32 s5, s5, exec_lo
	s_delay_alu instid0(VALU_DEP_1) | instskip(NEXT) | instid1(VALU_DEP_1)
	v_and_b32_e32 v1, 0xff, v1
	v_cmp_ne_u32_e32 vcc_lo, 0, v1
	s_and_b32 s7, vcc_lo, exec_lo
	s_delay_alu instid0(SALU_CYCLE_1)
	s_or_b32 s5, s5, s7
	s_or_b32 exec_lo, exec_lo, s6
	v_mov_b32_e32 v4, 0
	s_and_saveexec_b32 s6, s5
	s_cbranch_execnz .LBB21_870
	s_branch .LBB21_871
.LBB21_1011:
	s_and_not1_saveexec_b32 s6, s6
	s_cbranch_execz .LBB21_434
.LBB21_1012:
	v_add_f32_e64 v1, 0x42800000, |v0|
	s_and_not1_b32 s5, s5, exec_lo
	s_delay_alu instid0(VALU_DEP_1) | instskip(NEXT) | instid1(VALU_DEP_1)
	v_and_b32_e32 v1, 0xff, v1
	v_cmp_ne_u32_e32 vcc_lo, 0, v1
	s_and_b32 s7, vcc_lo, exec_lo
	s_delay_alu instid0(SALU_CYCLE_1)
	s_or_b32 s5, s5, s7
	s_or_b32 exec_lo, exec_lo, s6
	v_mov_b32_e32 v4, 0
	s_and_saveexec_b32 s6, s5
	s_cbranch_execnz .LBB21_435
	s_branch .LBB21_436
	.section	.rodata,"a",@progbits
	.p2align	6, 0x0
	.amdhsa_kernel _ZN2at6native32elementwise_kernel_manual_unrollILi128ELi4EZNS0_15gpu_kernel_implIZZZNS0_12_GLOBAL__N_121bessel_y1_kernel_cudaERNS_18TensorIteratorBaseEENKUlvE_clEvENKUlvE0_clEvEUlfE_EEvS5_RKT_EUlibE_EEviT1_
		.amdhsa_group_segment_fixed_size 0
		.amdhsa_private_segment_fixed_size 0
		.amdhsa_kernarg_size 40
		.amdhsa_user_sgpr_count 2
		.amdhsa_user_sgpr_dispatch_ptr 0
		.amdhsa_user_sgpr_queue_ptr 0
		.amdhsa_user_sgpr_kernarg_segment_ptr 1
		.amdhsa_user_sgpr_dispatch_id 0
		.amdhsa_user_sgpr_kernarg_preload_length 0
		.amdhsa_user_sgpr_kernarg_preload_offset 0
		.amdhsa_user_sgpr_private_segment_size 0
		.amdhsa_wavefront_size32 1
		.amdhsa_uses_dynamic_stack 0
		.amdhsa_enable_private_segment 0
		.amdhsa_system_sgpr_workgroup_id_x 1
		.amdhsa_system_sgpr_workgroup_id_y 0
		.amdhsa_system_sgpr_workgroup_id_z 0
		.amdhsa_system_sgpr_workgroup_info 0
		.amdhsa_system_vgpr_workitem_id 0
		.amdhsa_next_free_vgpr 38
		.amdhsa_next_free_sgpr 33
		.amdhsa_named_barrier_count 0
		.amdhsa_reserve_vcc 1
		.amdhsa_float_round_mode_32 0
		.amdhsa_float_round_mode_16_64 0
		.amdhsa_float_denorm_mode_32 3
		.amdhsa_float_denorm_mode_16_64 3
		.amdhsa_fp16_overflow 0
		.amdhsa_memory_ordered 1
		.amdhsa_forward_progress 1
		.amdhsa_inst_pref_size 151
		.amdhsa_round_robin_scheduling 0
		.amdhsa_exception_fp_ieee_invalid_op 0
		.amdhsa_exception_fp_denorm_src 0
		.amdhsa_exception_fp_ieee_div_zero 0
		.amdhsa_exception_fp_ieee_overflow 0
		.amdhsa_exception_fp_ieee_underflow 0
		.amdhsa_exception_fp_ieee_inexact 0
		.amdhsa_exception_int_div_zero 0
	.end_amdhsa_kernel
	.section	.text._ZN2at6native32elementwise_kernel_manual_unrollILi128ELi4EZNS0_15gpu_kernel_implIZZZNS0_12_GLOBAL__N_121bessel_y1_kernel_cudaERNS_18TensorIteratorBaseEENKUlvE_clEvENKUlvE0_clEvEUlfE_EEvS5_RKT_EUlibE_EEviT1_,"axG",@progbits,_ZN2at6native32elementwise_kernel_manual_unrollILi128ELi4EZNS0_15gpu_kernel_implIZZZNS0_12_GLOBAL__N_121bessel_y1_kernel_cudaERNS_18TensorIteratorBaseEENKUlvE_clEvENKUlvE0_clEvEUlfE_EEvS5_RKT_EUlibE_EEviT1_,comdat
.Lfunc_end21:
	.size	_ZN2at6native32elementwise_kernel_manual_unrollILi128ELi4EZNS0_15gpu_kernel_implIZZZNS0_12_GLOBAL__N_121bessel_y1_kernel_cudaERNS_18TensorIteratorBaseEENKUlvE_clEvENKUlvE0_clEvEUlfE_EEvS5_RKT_EUlibE_EEviT1_, .Lfunc_end21-_ZN2at6native32elementwise_kernel_manual_unrollILi128ELi4EZNS0_15gpu_kernel_implIZZZNS0_12_GLOBAL__N_121bessel_y1_kernel_cudaERNS_18TensorIteratorBaseEENKUlvE_clEvENKUlvE0_clEvEUlfE_EEvS5_RKT_EUlibE_EEviT1_
                                        ; -- End function
	.set _ZN2at6native32elementwise_kernel_manual_unrollILi128ELi4EZNS0_15gpu_kernel_implIZZZNS0_12_GLOBAL__N_121bessel_y1_kernel_cudaERNS_18TensorIteratorBaseEENKUlvE_clEvENKUlvE0_clEvEUlfE_EEvS5_RKT_EUlibE_EEviT1_.num_vgpr, max(38, .L_ZN2at6native6invokeIZZZNS0_12_GLOBAL__N_121bessel_y1_kernel_cudaERNS_18TensorIteratorBaseEENKUlvE_clEvENKUlvE0_clEvEUlfE_i15function_traitsIS7_EEENT1_11result_typeERKT_PrKPcPKT0_PKN3c1010ScalarTypeEi.num_vgpr)
	.set _ZN2at6native32elementwise_kernel_manual_unrollILi128ELi4EZNS0_15gpu_kernel_implIZZZNS0_12_GLOBAL__N_121bessel_y1_kernel_cudaERNS_18TensorIteratorBaseEENKUlvE_clEvENKUlvE0_clEvEUlfE_EEvS5_RKT_EUlibE_EEviT1_.num_agpr, max(0, .L_ZN2at6native6invokeIZZZNS0_12_GLOBAL__N_121bessel_y1_kernel_cudaERNS_18TensorIteratorBaseEENKUlvE_clEvENKUlvE0_clEvEUlfE_i15function_traitsIS7_EEENT1_11result_typeERKT_PrKPcPKT0_PKN3c1010ScalarTypeEi.num_agpr)
	.set _ZN2at6native32elementwise_kernel_manual_unrollILi128ELi4EZNS0_15gpu_kernel_implIZZZNS0_12_GLOBAL__N_121bessel_y1_kernel_cudaERNS_18TensorIteratorBaseEENKUlvE_clEvENKUlvE0_clEvEUlfE_EEvS5_RKT_EUlibE_EEviT1_.numbered_sgpr, max(33, .L_ZN2at6native6invokeIZZZNS0_12_GLOBAL__N_121bessel_y1_kernel_cudaERNS_18TensorIteratorBaseEENKUlvE_clEvENKUlvE0_clEvEUlfE_i15function_traitsIS7_EEENT1_11result_typeERKT_PrKPcPKT0_PKN3c1010ScalarTypeEi.numbered_sgpr)
	.set _ZN2at6native32elementwise_kernel_manual_unrollILi128ELi4EZNS0_15gpu_kernel_implIZZZNS0_12_GLOBAL__N_121bessel_y1_kernel_cudaERNS_18TensorIteratorBaseEENKUlvE_clEvENKUlvE0_clEvEUlfE_EEvS5_RKT_EUlibE_EEviT1_.num_named_barrier, max(0, .L_ZN2at6native6invokeIZZZNS0_12_GLOBAL__N_121bessel_y1_kernel_cudaERNS_18TensorIteratorBaseEENKUlvE_clEvENKUlvE0_clEvEUlfE_i15function_traitsIS7_EEENT1_11result_typeERKT_PrKPcPKT0_PKN3c1010ScalarTypeEi.num_named_barrier)
	.set _ZN2at6native32elementwise_kernel_manual_unrollILi128ELi4EZNS0_15gpu_kernel_implIZZZNS0_12_GLOBAL__N_121bessel_y1_kernel_cudaERNS_18TensorIteratorBaseEENKUlvE_clEvENKUlvE0_clEvEUlfE_EEvS5_RKT_EUlibE_EEviT1_.private_seg_size, 0+max(.L_ZN2at6native6invokeIZZZNS0_12_GLOBAL__N_121bessel_y1_kernel_cudaERNS_18TensorIteratorBaseEENKUlvE_clEvENKUlvE0_clEvEUlfE_i15function_traitsIS7_EEENT1_11result_typeERKT_PrKPcPKT0_PKN3c1010ScalarTypeEi.private_seg_size)
	.set _ZN2at6native32elementwise_kernel_manual_unrollILi128ELi4EZNS0_15gpu_kernel_implIZZZNS0_12_GLOBAL__N_121bessel_y1_kernel_cudaERNS_18TensorIteratorBaseEENKUlvE_clEvENKUlvE0_clEvEUlfE_EEvS5_RKT_EUlibE_EEviT1_.uses_vcc, or(1, .L_ZN2at6native6invokeIZZZNS0_12_GLOBAL__N_121bessel_y1_kernel_cudaERNS_18TensorIteratorBaseEENKUlvE_clEvENKUlvE0_clEvEUlfE_i15function_traitsIS7_EEENT1_11result_typeERKT_PrKPcPKT0_PKN3c1010ScalarTypeEi.uses_vcc)
	.set _ZN2at6native32elementwise_kernel_manual_unrollILi128ELi4EZNS0_15gpu_kernel_implIZZZNS0_12_GLOBAL__N_121bessel_y1_kernel_cudaERNS_18TensorIteratorBaseEENKUlvE_clEvENKUlvE0_clEvEUlfE_EEvS5_RKT_EUlibE_EEviT1_.uses_flat_scratch, or(0, .L_ZN2at6native6invokeIZZZNS0_12_GLOBAL__N_121bessel_y1_kernel_cudaERNS_18TensorIteratorBaseEENKUlvE_clEvENKUlvE0_clEvEUlfE_i15function_traitsIS7_EEENT1_11result_typeERKT_PrKPcPKT0_PKN3c1010ScalarTypeEi.uses_flat_scratch)
	.set _ZN2at6native32elementwise_kernel_manual_unrollILi128ELi4EZNS0_15gpu_kernel_implIZZZNS0_12_GLOBAL__N_121bessel_y1_kernel_cudaERNS_18TensorIteratorBaseEENKUlvE_clEvENKUlvE0_clEvEUlfE_EEvS5_RKT_EUlibE_EEviT1_.has_dyn_sized_stack, or(0, .L_ZN2at6native6invokeIZZZNS0_12_GLOBAL__N_121bessel_y1_kernel_cudaERNS_18TensorIteratorBaseEENKUlvE_clEvENKUlvE0_clEvEUlfE_i15function_traitsIS7_EEENT1_11result_typeERKT_PrKPcPKT0_PKN3c1010ScalarTypeEi.has_dyn_sized_stack)
	.set _ZN2at6native32elementwise_kernel_manual_unrollILi128ELi4EZNS0_15gpu_kernel_implIZZZNS0_12_GLOBAL__N_121bessel_y1_kernel_cudaERNS_18TensorIteratorBaseEENKUlvE_clEvENKUlvE0_clEvEUlfE_EEvS5_RKT_EUlibE_EEviT1_.has_recursion, or(0, .L_ZN2at6native6invokeIZZZNS0_12_GLOBAL__N_121bessel_y1_kernel_cudaERNS_18TensorIteratorBaseEENKUlvE_clEvENKUlvE0_clEvEUlfE_i15function_traitsIS7_EEENT1_11result_typeERKT_PrKPcPKT0_PKN3c1010ScalarTypeEi.has_recursion)
	.set _ZN2at6native32elementwise_kernel_manual_unrollILi128ELi4EZNS0_15gpu_kernel_implIZZZNS0_12_GLOBAL__N_121bessel_y1_kernel_cudaERNS_18TensorIteratorBaseEENKUlvE_clEvENKUlvE0_clEvEUlfE_EEvS5_RKT_EUlibE_EEviT1_.has_indirect_call, or(0, .L_ZN2at6native6invokeIZZZNS0_12_GLOBAL__N_121bessel_y1_kernel_cudaERNS_18TensorIteratorBaseEENKUlvE_clEvENKUlvE0_clEvEUlfE_i15function_traitsIS7_EEENT1_11result_typeERKT_PrKPcPKT0_PKN3c1010ScalarTypeEi.has_indirect_call)
	.section	.AMDGPU.csdata,"",@progbits
; Kernel info:
; codeLenInByte = 19292
; TotalNumSgprs: 35
; NumVgprs: 38
; ScratchSize: 0
; MemoryBound: 0
; FloatMode: 240
; IeeeMode: 1
; LDSByteSize: 0 bytes/workgroup (compile time only)
; SGPRBlocks: 0
; VGPRBlocks: 2
; NumSGPRsForWavesPerEU: 35
; NumVGPRsForWavesPerEU: 38
; NamedBarCnt: 0
; Occupancy: 16
; WaveLimiterHint : 0
; COMPUTE_PGM_RSRC2:SCRATCH_EN: 0
; COMPUTE_PGM_RSRC2:USER_SGPR: 2
; COMPUTE_PGM_RSRC2:TRAP_HANDLER: 0
; COMPUTE_PGM_RSRC2:TGID_X_EN: 1
; COMPUTE_PGM_RSRC2:TGID_Y_EN: 0
; COMPUTE_PGM_RSRC2:TGID_Z_EN: 0
; COMPUTE_PGM_RSRC2:TIDIG_COMP_CNT: 0
	.section	.text._ZN2at6native32elementwise_kernel_manual_unrollILi128ELi4EZNS0_15gpu_kernel_implIZZZNS0_12_GLOBAL__N_121bessel_y1_kernel_cudaERNS_18TensorIteratorBaseEENKUlvE_clEvENKUlvE0_clEvEUlfE_EEvS5_RKT_EUlibE0_EEviT1_,"axG",@progbits,_ZN2at6native32elementwise_kernel_manual_unrollILi128ELi4EZNS0_15gpu_kernel_implIZZZNS0_12_GLOBAL__N_121bessel_y1_kernel_cudaERNS_18TensorIteratorBaseEENKUlvE_clEvENKUlvE0_clEvEUlfE_EEvS5_RKT_EUlibE0_EEviT1_,comdat
	.globl	_ZN2at6native32elementwise_kernel_manual_unrollILi128ELi4EZNS0_15gpu_kernel_implIZZZNS0_12_GLOBAL__N_121bessel_y1_kernel_cudaERNS_18TensorIteratorBaseEENKUlvE_clEvENKUlvE0_clEvEUlfE_EEvS5_RKT_EUlibE0_EEviT1_ ; -- Begin function _ZN2at6native32elementwise_kernel_manual_unrollILi128ELi4EZNS0_15gpu_kernel_implIZZZNS0_12_GLOBAL__N_121bessel_y1_kernel_cudaERNS_18TensorIteratorBaseEENKUlvE_clEvENKUlvE0_clEvEUlfE_EEvS5_RKT_EUlibE0_EEviT1_
	.p2align	8
	.type	_ZN2at6native32elementwise_kernel_manual_unrollILi128ELi4EZNS0_15gpu_kernel_implIZZZNS0_12_GLOBAL__N_121bessel_y1_kernel_cudaERNS_18TensorIteratorBaseEENKUlvE_clEvENKUlvE0_clEvEUlfE_EEvS5_RKT_EUlibE0_EEviT1_,@function
_ZN2at6native32elementwise_kernel_manual_unrollILi128ELi4EZNS0_15gpu_kernel_implIZZZNS0_12_GLOBAL__N_121bessel_y1_kernel_cudaERNS_18TensorIteratorBaseEENKUlvE_clEvENKUlvE0_clEvEUlfE_EEvS5_RKT_EUlibE0_EEviT1_: ; @_ZN2at6native32elementwise_kernel_manual_unrollILi128ELi4EZNS0_15gpu_kernel_implIZZZNS0_12_GLOBAL__N_121bessel_y1_kernel_cudaERNS_18TensorIteratorBaseEENKUlvE_clEvENKUlvE0_clEvEUlfE_EEvS5_RKT_EUlibE0_EEviT1_
; %bb.0:
	s_clause 0x1
	s_load_b32 s28, s[0:1], 0x8
	s_load_b32 s36, s[0:1], 0x0
	s_bfe_u32 s2, ttmp6, 0x4000c
	s_and_b32 s3, ttmp6, 15
	s_add_co_i32 s2, s2, 1
	s_getreg_b32 s4, hwreg(HW_REG_IB_STS2, 6, 4)
	s_mul_i32 s2, ttmp9, s2
	s_mov_b32 s30, 0
	s_add_co_i32 s3, s3, s2
	s_cmp_eq_u32 s4, 0
	s_mov_b32 s24, -1
	s_cselect_b32 s2, ttmp9, s3
	s_add_nc_u64 s[16:17], s[0:1], 8
	v_lshl_or_b32 v0, s2, 9, v0
	s_mov_b32 s8, 0
	s_wait_xcnt 0x0
	s_mov_b32 s0, exec_lo
	s_delay_alu instid0(VALU_DEP_1) | instskip(SKIP_2) | instid1(SALU_CYCLE_1)
	v_or_b32_e32 v9, 0x180, v0
	s_wait_kmcnt 0x0
	s_add_co_i32 s29, s28, -1
	s_cmp_gt_u32 s29, 1
	s_cselect_b32 s31, -1, 0
	v_cmpx_le_i32_e64 s36, v9
	s_xor_b32 s33, exec_lo, s0
	s_cbranch_execz .LBB22_1160
; %bb.1:
	v_mov_b32_e32 v1, 0
	s_clause 0x3
	s_load_b128 s[12:15], s[16:17], 0x4
	s_load_b64 s[2:3], s[16:17], 0x14
	s_load_b128 s[8:11], s[16:17], 0xc4
	s_load_b128 s[4:7], s[16:17], 0x148
	s_cmp_lg_u32 s28, 0
	s_mov_b32 s19, 0
	s_cselect_b32 s38, -1, 0
	global_load_u16 v1, v1, s[16:17] offset:345
	s_min_u32 s37, s29, 15
	s_cmp_gt_u32 s28, 1
	s_add_nc_u64 s[22:23], s[16:17], 0xc4
	s_cselect_b32 s35, -1, 0
	s_mov_b32 s21, s19
	s_mov_b32 s40, s19
	s_mov_b32 s39, s19
	s_mov_b32 s41, exec_lo
	s_wait_kmcnt 0x0
	s_mov_b32 s18, s13
	s_mov_b32 s20, s2
	s_wait_loadcnt 0x0
	v_readfirstlane_b32 s34, v1
	s_and_b32 s0, 0xffff, s34
	s_delay_alu instid0(SALU_CYCLE_1)
	s_lshr_b32 s13, s0, 8
	v_cmpx_gt_i32_e64 s36, v0
	s_cbranch_execz .LBB22_283
; %bb.2:
	s_and_not1_b32 vcc_lo, exec_lo, s31
	s_cbranch_vccnz .LBB22_8
; %bb.3:
	s_and_not1_b32 vcc_lo, exec_lo, s38
	s_cbranch_vccnz .LBB22_9
; %bb.4:
	s_add_co_i32 s1, s37, 1
	s_cmp_eq_u32 s29, 2
	s_cbranch_scc1 .LBB22_10
; %bb.5:
	v_dual_mov_b32 v2, 0 :: v_dual_mov_b32 v4, 0
	v_mov_b32_e32 v1, v0
	s_and_b32 s0, s1, 28
	s_mov_b32 s2, 0
	s_mov_b64 s[24:25], s[16:17]
	s_mov_b64 s[26:27], s[22:23]
.LBB22_6:                               ; =>This Inner Loop Header: Depth=1
	s_clause 0x1
	s_load_b256 s[44:51], s[24:25], 0x4
	s_load_b128 s[60:63], s[24:25], 0x24
	s_load_b256 s[52:59], s[26:27], 0x0
	s_add_co_i32 s2, s2, 4
	s_wait_xcnt 0x0
	s_add_nc_u64 s[24:25], s[24:25], 48
	s_cmp_lg_u32 s0, s2
	s_add_nc_u64 s[26:27], s[26:27], 32
	s_wait_kmcnt 0x0
	v_mul_hi_u32 v3, s45, v1
	s_delay_alu instid0(VALU_DEP_1) | instskip(NEXT) | instid1(VALU_DEP_1)
	v_add_nc_u32_e32 v3, v1, v3
	v_lshrrev_b32_e32 v3, s46, v3
	s_delay_alu instid0(VALU_DEP_1) | instskip(NEXT) | instid1(VALU_DEP_1)
	v_mul_hi_u32 v5, s48, v3
	v_add_nc_u32_e32 v5, v3, v5
	s_delay_alu instid0(VALU_DEP_1) | instskip(NEXT) | instid1(VALU_DEP_1)
	v_lshrrev_b32_e32 v5, s49, v5
	v_mul_hi_u32 v6, s51, v5
	s_delay_alu instid0(VALU_DEP_1) | instskip(SKIP_1) | instid1(VALU_DEP_1)
	v_add_nc_u32_e32 v6, v5, v6
	v_mul_lo_u32 v7, v3, s44
	v_sub_nc_u32_e32 v1, v1, v7
	v_mul_lo_u32 v7, v5, s47
	s_delay_alu instid0(VALU_DEP_4) | instskip(NEXT) | instid1(VALU_DEP_3)
	v_lshrrev_b32_e32 v6, s60, v6
	v_mad_u32 v4, v1, s53, v4
	v_mad_u32 v1, v1, s52, v2
	s_delay_alu instid0(VALU_DEP_4) | instskip(NEXT) | instid1(VALU_DEP_4)
	v_sub_nc_u32_e32 v2, v3, v7
	v_mul_hi_u32 v8, s62, v6
	v_mul_lo_u32 v3, v6, s50
	s_delay_alu instid0(VALU_DEP_3) | instskip(SKIP_1) | instid1(VALU_DEP_3)
	v_mad_u32 v4, v2, s55, v4
	v_mad_u32 v2, v2, s54, v1
	v_dual_add_nc_u32 v7, v6, v8 :: v_dual_sub_nc_u32 v3, v5, v3
	s_delay_alu instid0(VALU_DEP_1) | instskip(NEXT) | instid1(VALU_DEP_2)
	v_lshrrev_b32_e32 v1, s63, v7
	v_mad_u32 v4, v3, s57, v4
	s_delay_alu instid0(VALU_DEP_4) | instskip(NEXT) | instid1(VALU_DEP_3)
	v_mad_u32 v2, v3, s56, v2
	v_mul_lo_u32 v5, v1, s61
	s_delay_alu instid0(VALU_DEP_1) | instskip(NEXT) | instid1(VALU_DEP_1)
	v_sub_nc_u32_e32 v3, v6, v5
	v_mad_u32 v4, v3, s59, v4
	s_delay_alu instid0(VALU_DEP_4)
	v_mad_u32 v2, v3, s58, v2
	s_cbranch_scc1 .LBB22_6
; %bb.7:
	s_delay_alu instid0(VALU_DEP_2)
	v_mov_b32_e32 v3, v4
	s_and_b32 s2, s1, 3
	s_mov_b32 s1, 0
	s_cmp_eq_u32 s2, 0
	s_cbranch_scc0 .LBB22_11
	s_branch .LBB22_14
.LBB22_8:
                                        ; implicit-def: $vgpr4
                                        ; implicit-def: $vgpr2
	s_branch .LBB22_15
.LBB22_9:
	v_dual_mov_b32 v4, 0 :: v_dual_mov_b32 v2, 0
	s_branch .LBB22_14
.LBB22_10:
	v_mov_b64_e32 v[2:3], 0
	v_mov_b32_e32 v1, v0
	s_mov_b32 s0, 0
                                        ; implicit-def: $vgpr4
	s_and_b32 s2, s1, 3
	s_mov_b32 s1, 0
	s_cmp_eq_u32 s2, 0
	s_cbranch_scc1 .LBB22_14
.LBB22_11:
	s_lshl_b32 s24, s0, 3
	s_mov_b32 s25, s1
	s_mul_u64 s[26:27], s[0:1], 12
	s_add_nc_u64 s[24:25], s[16:17], s[24:25]
	s_delay_alu instid0(SALU_CYCLE_1)
	s_add_nc_u64 s[0:1], s[24:25], 0xc4
	s_add_nc_u64 s[24:25], s[16:17], s[26:27]
.LBB22_12:                              ; =>This Inner Loop Header: Depth=1
	s_load_b96 s[44:46], s[24:25], 0x4
	s_load_b64 s[26:27], s[0:1], 0x0
	s_add_co_i32 s2, s2, -1
	s_wait_xcnt 0x0
	s_add_nc_u64 s[24:25], s[24:25], 12
	s_cmp_lg_u32 s2, 0
	s_add_nc_u64 s[0:1], s[0:1], 8
	s_wait_kmcnt 0x0
	v_mul_hi_u32 v4, s45, v1
	s_delay_alu instid0(VALU_DEP_1) | instskip(NEXT) | instid1(VALU_DEP_1)
	v_add_nc_u32_e32 v4, v1, v4
	v_lshrrev_b32_e32 v4, s46, v4
	s_delay_alu instid0(VALU_DEP_1) | instskip(NEXT) | instid1(VALU_DEP_1)
	v_mul_lo_u32 v5, v4, s44
	v_sub_nc_u32_e32 v1, v1, v5
	s_delay_alu instid0(VALU_DEP_1)
	v_mad_u32 v3, v1, s27, v3
	v_mad_u32 v2, v1, s26, v2
	v_mov_b32_e32 v1, v4
	s_cbranch_scc1 .LBB22_12
; %bb.13:
	s_delay_alu instid0(VALU_DEP_3)
	v_mov_b32_e32 v4, v3
.LBB22_14:
	s_cbranch_execnz .LBB22_17
.LBB22_15:
	v_mov_b32_e32 v1, 0
	s_and_not1_b32 vcc_lo, exec_lo, s35
	s_delay_alu instid0(VALU_DEP_1) | instskip(NEXT) | instid1(VALU_DEP_1)
	v_mul_u64_e32 v[2:3], s[18:19], v[0:1]
	v_add_nc_u32_e32 v2, v0, v3
	s_delay_alu instid0(VALU_DEP_1) | instskip(NEXT) | instid1(VALU_DEP_1)
	v_lshrrev_b32_e32 v6, s14, v2
	v_mul_lo_u32 v2, v6, s12
	s_delay_alu instid0(VALU_DEP_1) | instskip(NEXT) | instid1(VALU_DEP_1)
	v_sub_nc_u32_e32 v2, v0, v2
	v_mul_lo_u32 v4, v2, s9
	v_mul_lo_u32 v2, v2, s8
	s_cbranch_vccnz .LBB22_17
; %bb.16:
	v_mov_b32_e32 v7, v1
	s_delay_alu instid0(VALU_DEP_1) | instskip(NEXT) | instid1(VALU_DEP_1)
	v_mul_u64_e32 v[8:9], s[20:21], v[6:7]
	v_add_nc_u32_e32 v1, v6, v9
	s_delay_alu instid0(VALU_DEP_1) | instskip(NEXT) | instid1(VALU_DEP_1)
	v_lshrrev_b32_e32 v1, s3, v1
	v_mul_lo_u32 v1, v1, s15
	s_delay_alu instid0(VALU_DEP_1) | instskip(NEXT) | instid1(VALU_DEP_1)
	v_sub_nc_u32_e32 v1, v6, v1
	v_mad_u32 v2, v1, s10, v2
	v_mad_u32 v4, v1, s11, v4
.LBB22_17:
	v_mov_b32_e32 v5, 0
	s_and_b32 s0, 0xffff, s13
	s_delay_alu instid0(SALU_CYCLE_1) | instskip(NEXT) | instid1(VALU_DEP_1)
	s_cmp_lt_i32 s0, 11
	v_add_nc_u64_e32 v[4:5], s[6:7], v[4:5]
	s_cbranch_scc1 .LBB22_24
; %bb.18:
	s_cmp_gt_i32 s0, 25
	s_cbranch_scc0 .LBB22_35
; %bb.19:
	s_cmp_gt_i32 s0, 28
	s_cbranch_scc0 .LBB22_52
	;; [unrolled: 3-line block ×4, first 2 shown]
; %bb.22:
	s_cmp_eq_u32 s0, 46
	s_mov_b32 s2, 0
	s_cbranch_scc0 .LBB22_58
; %bb.23:
	global_load_b32 v1, v[4:5], off
	s_mov_b32 s1, -1
	s_mov_b32 s24, 0
	s_wait_loadcnt 0x0
	v_lshlrev_b32_e32 v1, 16, v1
	s_branch .LBB22_60
.LBB22_24:
	s_mov_b32 s24, 0
	s_mov_b32 s1, 0
                                        ; implicit-def: $vgpr1
	s_cbranch_execnz .LBB22_233
.LBB22_25:
	s_and_not1_b32 vcc_lo, exec_lo, s1
	s_cbranch_vccnz .LBB22_280
.LBB22_26:
                                        ; implicit-def: $vgpr4
	s_mov_b32 s0, exec_lo
	s_wait_loadcnt 0x0
	s_delay_alu instid0(VALU_DEP_1)
	v_cmpx_ge_f32_e32 0x40a00000, v1
	s_xor_b32 s25, exec_lo, s0
	s_cbranch_execz .LBB22_32
; %bb.27:
	v_mov_b32_e32 v4, 0xff800000
	s_mov_b32 s26, exec_lo
	v_cmpx_neq_f32_e32 0, v1
	s_cbranch_execz .LBB22_31
; %bb.28:
	v_mov_b32_e32 v4, 0x7fc00000
	s_mov_b32 s27, exec_lo
	v_cmpx_nge_f32_e32 0, v1
	s_cbranch_execz .LBB22_30
; %bb.29:
	v_mul_f32_e32 v4, v1, v1
	v_mov_b64_e32 v[6:7], 0x4c8c277d4e9695f3
	v_mov_b64_e32 v[10:11], 0x508bc61dd316b96b
	;; [unrolled: 1-line block ×3, first 2 shown]
	v_div_scale_f32 v22, s2, -1.0, v1, -1.0
	v_dual_fmaak_f32 v3, 0, v4, 0x4414934d :: v_dual_mul_f32 v8, 0, v4
	v_fmaak_f32 v5, 0, v4, 0x441b3589
	v_mov_b64_e32 v[14:15], 0x548a37dcce5691e2
	v_mov_b64_e32 v[16:17], 0x5832585252d295d0
	s_delay_alu instid0(VALU_DEP_4) | instskip(SKIP_2) | instid1(VALU_DEP_3)
	v_fmaak_f32 v3, v4, v3, 0x48660b06
	v_cmp_gt_f32_e64 s0, 0x800000, v1
	v_fmaak_f32 v5, v4, v5, 0x487af6d0
	v_mul_f32_e32 v9, v4, v3
	s_delay_alu instid0(VALU_DEP_2) | instskip(NEXT) | instid1(VALU_DEP_2)
	v_fmaak_f32 v3, v4, v5, 0x4c9f4aa7
	v_pk_add_f32 v[6:7], v[8:9], v[6:7]
	s_delay_alu instid0(VALU_DEP_2) | instskip(NEXT) | instid1(VALU_DEP_2)
	v_fmaak_f32 v3, v4, v3, 0x50a509fc
	v_pk_fma_f32 v[6:7], v[4:5], v[6:7], v[10:11] op_sel_hi:[0,1,1]
	v_mov_b64_e32 v[10:11], 0x580d1937d9e700d2
	s_delay_alu instid0(VALU_DEP_3) | instskip(NEXT) | instid1(VALU_DEP_3)
	v_mul_f32_e32 v9, v4, v3
	v_pk_fma_f32 v[6:7], v[4:5], v[6:7], v[12:13] op_sel_hi:[0,1,1]
	v_mov_b64_e32 v[12:13], 0x5b741f1e5c33cd68
	s_delay_alu instid0(VALU_DEP_3) | instskip(SKIP_1) | instid1(VALU_DEP_4)
	v_pk_add_f32 v[8:9], v[8:9], v[14:15]
	v_mov_b64_e32 v[14:15], 0x5b9f0600d6845497
	v_pk_fma_f32 v[6:7], v[4:5], v[6:7], v[10:11] op_sel_hi:[0,1,1]
	v_mov_b64_e32 v[10:11], 0x5e5c878ddd2cf20b
	s_delay_alu instid0(VALU_DEP_4) | instskip(SKIP_1) | instid1(VALU_DEP_4)
	v_pk_fma_f32 v[8:9], v[4:5], v[8:9], v[16:17] op_sel_hi:[0,1,1]
	v_mov_b64_e32 v[16:17], 0x5e93bcac59515a15
	v_pk_fma_f32 v[6:7], v[4:5], v[6:7], v[12:13] op_sel_hi:[0,1,1]
	v_div_scale_f32 v13, null, v1, v1, -1.0
	s_delay_alu instid0(VALU_DEP_4) | instskip(NEXT) | instid1(VALU_DEP_3)
	v_pk_fma_f32 v[8:9], v[4:5], v[8:9], v[14:15] op_sel_hi:[0,1,1]
	v_pk_fma_f32 v[6:7], v[4:5], v[6:7], v[10:11] op_sel_hi:[0,1,1]
	v_cndmask_b32_e64 v10, 0, 32, s0
	s_delay_alu instid0(VALU_DEP_2) | instskip(NEXT) | instid1(VALU_DEP_2)
	v_div_scale_f32 v3, null, v7, v7, v6
	v_ldexp_f32 v10, v1, v10
	s_delay_alu instid0(VALU_DEP_2) | instskip(NEXT) | instid1(VALU_DEP_1)
	v_rcp_f32_e32 v11, v3
	v_log_f32_e32 v19, v10
	s_delay_alu instid0(TRANS32_DEP_2) | instskip(NEXT) | instid1(VALU_DEP_1)
	v_fma_f32 v14, -v3, v11, 1.0
	v_fmac_f32_e32 v11, v14, v11
	v_pk_fma_f32 v[8:9], v[4:5], v[8:9], v[16:17] op_sel_hi:[0,1,1]
	v_div_scale_f32 v16, vcc_lo, v6, v7, v6
	v_rcp_f32_e32 v14, v13
	s_delay_alu instid0(VALU_DEP_2) | instskip(SKIP_1) | instid1(VALU_DEP_2)
	v_div_scale_f32 v5, null, v9, v9, v8
	v_div_scale_f32 v17, s1, v8, v9, v8
	v_rcp_f32_e32 v12, v5
	s_delay_alu instid0(TRANS32_DEP_2) | instskip(NEXT) | instid1(VALU_DEP_1)
	v_fma_f32 v10, -v13, v14, 1.0
	v_fmac_f32_e32 v14, v10, v14
	s_delay_alu instid0(TRANS32_DEP_1) | instskip(NEXT) | instid1(VALU_DEP_1)
	v_fma_f32 v15, -v5, v12, 1.0
	v_dual_fmac_f32 v12, v15, v12 :: v_dual_mul_f32 v15, v16, v11
	s_delay_alu instid0(VALU_DEP_1) | instskip(NEXT) | instid1(VALU_DEP_1)
	v_dual_mul_f32 v18, v17, v12 :: v_dual_fma_f32 v20, -v3, v15, v16
	v_dual_fma_f32 v21, -v5, v18, v17 :: v_dual_fmac_f32 v15, v20, v11
	s_delay_alu instid0(VALU_DEP_1) | instskip(SKIP_1) | instid1(VALU_DEP_2)
	v_dual_fmac_f32 v18, v21, v12 :: v_dual_fma_f32 v3, -v3, v15, v16
	v_mul_f32_e32 v16, v22, v14
	v_fma_f32 v5, -v5, v18, v17
	s_delay_alu instid0(VALU_DEP_3) | instskip(SKIP_2) | instid1(VALU_DEP_3)
	v_div_fmas_f32 v3, v3, v11, v15
	s_mov_b32 vcc_lo, s1
	v_mov_b64_e32 v[10:11], 0xc16ae95ac244dfb3
	v_div_fmas_f32 v5, v5, v12, v18
	v_fma_f32 v12, -v13, v16, v22
	v_mul_f32_e32 v23, 0x3f317217, v19
	v_cmp_gt_f32_e64 vcc_lo, 0x7f800000, |v19|
	v_div_fixup_f32 v3, v3, v7, v6
	v_div_fixup_f32 v8, v5, v9, v8
	v_fmac_f32_e32 v16, v12, v14
	v_fma_f32 v20, 0x3f317217, v19, -v23
	v_pk_add_f32 v[4:5], v[4:5], v[10:11] op_sel_hi:[0,1]
	v_cndmask_b32_e64 v9, 0, 0x41b17218, s0
	v_mul_f32_e32 v8, v1, v8
	s_delay_alu instid0(VALU_DEP_1) | instskip(NEXT) | instid1(VALU_DEP_1)
	v_mul_f32_e32 v5, v5, v8
	v_dual_fmamk_f32 v15, v19, 0x3377d1cf, v20 :: v_dual_mul_f32 v4, v4, v5
	s_delay_alu instid0(VALU_DEP_1) | instskip(NEXT) | instid1(VALU_DEP_1)
	v_fmac_f32_e32 v15, 0x3f317217, v19
	v_dual_fma_f32 v10, -v13, v16, v22 :: v_dual_cndmask_b32 v11, v19, v15, vcc_lo
	s_mov_b32 vcc_lo, s2
	s_delay_alu instid0(VALU_DEP_1) | instskip(NEXT) | instid1(VALU_DEP_2)
	v_div_fmas_f32 v8, v10, v14, v16
	v_sub_f32_e32 v9, v11, v9
	s_delay_alu instid0(VALU_DEP_2) | instskip(NEXT) | instid1(VALU_DEP_1)
	v_div_fixup_f32 v5, v8, v1, -1.0
	v_fmac_f32_e32 v5, v9, v4
	s_delay_alu instid0(VALU_DEP_1) | instskip(NEXT) | instid1(VALU_DEP_1)
	v_mul_f32_e32 v4, 0x3f22f983, v5
	v_fmac_f32_e32 v4, v1, v3
.LBB22_30:
	s_or_b32 exec_lo, exec_lo, s27
.LBB22_31:
	s_delay_alu instid0(SALU_CYCLE_1)
	s_or_b32 exec_lo, exec_lo, s26
                                        ; implicit-def: $vgpr1
.LBB22_32:
	s_and_not1_saveexec_b32 s25, s25
	s_cbranch_execz .LBB22_43
; %bb.33:
	v_add_f32_e32 v3, 0xc016cbe4, v1
                                        ; implicit-def: $vgpr6
                                        ; implicit-def: $vgpr5
	s_delay_alu instid0(VALU_DEP_1) | instskip(SKIP_2) | instid1(SALU_CYCLE_1)
	v_and_b32_e32 v4, 0x7fffffff, v3
	v_cmp_ngt_f32_e64 s2, 0x48000000, |v3|
	s_and_saveexec_b32 s0, s2
	s_xor_b32 s26, exec_lo, s0
	s_cbranch_execz .LBB22_36
; %bb.34:
	s_mov_b32 s0, 0x7fffff
	v_mov_b32_e32 v7, 0
	v_and_or_b32 v6, v4, s0, 0x800000
	s_mov_b64 s[0:1], 0xfe5163ab
	v_lshrrev_b32_e32 v5, 23, v4
	s_delay_alu instid0(VALU_DEP_2) | instskip(NEXT) | instid1(VALU_DEP_1)
	v_mul_u64_e32 v[8:9], s[0:1], v[6:7]
	v_dual_mov_b32 v10, v9 :: v_dual_mov_b32 v11, v7
	v_dual_mov_b32 v13, v7 :: v_dual_mov_b32 v15, v7
	;; [unrolled: 1-line block ×3, first 2 shown]
	s_delay_alu instid0(VALU_DEP_3) | instskip(NEXT) | instid1(VALU_DEP_1)
	v_mad_nc_u64_u32 v[10:11], 0x3c439041, v6, v[10:11]
	v_mov_b32_e32 v12, v11
	s_delay_alu instid0(VALU_DEP_1) | instskip(NEXT) | instid1(VALU_DEP_1)
	v_mad_nc_u64_u32 v[12:13], 0xdb629599, v6, v[12:13]
	v_mov_b32_e32 v14, v13
	s_delay_alu instid0(VALU_DEP_1) | instskip(NEXT) | instid1(VALU_DEP_1)
	;; [unrolled: 3-line block ×3, first 2 shown]
	v_mad_nc_u64_u32 v[16:17], 0xfc2757d1, v6, v[16:17]
	v_dual_mov_b32 v19, v7 :: v_dual_mov_b32 v18, v17
	s_delay_alu instid0(VALU_DEP_1) | instskip(NEXT) | instid1(VALU_DEP_1)
	v_mad_nc_u64_u32 v[18:19], 0x4e441529, v6, v[18:19]
	v_dual_mov_b32 v20, v19 :: v_dual_add_nc_u32 v5, 0xffffff88, v5
	s_delay_alu instid0(VALU_DEP_1) | instskip(NEXT) | instid1(VALU_DEP_2)
	v_cmp_lt_u32_e32 vcc_lo, 63, v5
	v_mad_nc_u64_u32 v[6:7], 0xa2f9836e, v6, v[20:21]
	v_cndmask_b32_e64 v9, 0, 0xffffffc0, vcc_lo
	v_dual_cndmask_b32 v11, v18, v14 :: v_dual_cndmask_b32 v8, v12, v8
	s_delay_alu instid0(VALU_DEP_2) | instskip(NEXT) | instid1(VALU_DEP_1)
	v_add_nc_u32_e32 v5, v9, v5
	v_cmp_lt_u32_e64 s0, 31, v5
	v_dual_cndmask_b32 v6, v6, v16 :: v_dual_cndmask_b32 v7, v7, v18
	s_delay_alu instid0(VALU_DEP_2) | instskip(NEXT) | instid1(VALU_DEP_1)
	v_cndmask_b32_e64 v9, 0, 0xffffffe0, s0
	v_add_nc_u32_e32 v5, v9, v5
	s_delay_alu instid0(VALU_DEP_1) | instskip(NEXT) | instid1(VALU_DEP_1)
	v_cmp_lt_u32_e64 s1, 31, v5
	v_cndmask_b32_e64 v9, 0, 0xffffffe0, s1
	s_delay_alu instid0(VALU_DEP_1) | instskip(SKIP_2) | instid1(VALU_DEP_3)
	v_dual_cndmask_b32 v13, v16, v12, vcc_lo :: v_dual_add_nc_u32 v5, v9, v5
	v_cndmask_b32_e32 v9, v14, v10, vcc_lo
	v_dual_cndmask_b32 v10, v6, v11, s0 :: v_dual_cndmask_b32 v6, v7, v6, s0
	v_cndmask_b32_e64 v7, v11, v13, s0
	s_delay_alu instid0(VALU_DEP_4) | instskip(NEXT) | instid1(VALU_DEP_4)
	v_sub_nc_u32_e32 v11, 32, v5
	v_cndmask_b32_e64 v13, v13, v9, s0
	v_cmp_eq_u32_e32 vcc_lo, 0, v5
	v_cndmask_b32_e64 v6, v6, v10, s1
	s_delay_alu instid0(VALU_DEP_3) | instskip(NEXT) | instid1(VALU_DEP_1)
	v_dual_cndmask_b32 v10, v10, v7, s1 :: v_dual_cndmask_b32 v7, v7, v13, s1
	v_alignbit_b32 v14, v6, v10, v11
	s_delay_alu instid0(VALU_DEP_2) | instskip(NEXT) | instid1(VALU_DEP_2)
	v_alignbit_b32 v12, v10, v7, v11
	v_dual_cndmask_b32 v5, v14, v6, vcc_lo :: v_dual_cndmask_b32 v6, v9, v8, s0
	s_delay_alu instid0(VALU_DEP_1) | instskip(NEXT) | instid1(VALU_DEP_1)
	v_bfe_u32 v9, v5, 29, 1
	v_dual_cndmask_b32 v8, v12, v10, vcc_lo :: v_dual_sub_nc_u32 v12, 0, v9
	s_delay_alu instid0(VALU_DEP_1) | instskip(NEXT) | instid1(VALU_DEP_1)
	v_alignbit_b32 v10, v5, v8, 30
	v_dual_cndmask_b32 v6, v13, v6, s1 :: v_dual_bitop2_b32 v10, v10, v12 bitop3:0x14
	s_delay_alu instid0(VALU_DEP_1) | instskip(NEXT) | instid1(VALU_DEP_1)
	v_alignbit_b32 v11, v7, v6, v11
	v_cndmask_b32_e32 v7, v11, v7, vcc_lo
	s_delay_alu instid0(VALU_DEP_3) | instskip(NEXT) | instid1(VALU_DEP_2)
	v_clz_i32_u32_e32 v11, v10
	v_alignbit_b32 v6, v7, v6, 30
	s_delay_alu instid0(VALU_DEP_2) | instskip(NEXT) | instid1(VALU_DEP_2)
	v_min_u32_e32 v11, 32, v11
	v_xor_b32_e32 v6, v6, v12
	v_alignbit_b32 v8, v8, v7, 30
	s_delay_alu instid0(VALU_DEP_1) | instskip(SKIP_1) | instid1(VALU_DEP_1)
	v_dual_lshlrev_b32 v13, 23, v11 :: v_dual_bitop2_b32 v7, v8, v12 bitop3:0x14
	v_dual_sub_nc_u32 v8, 31, v11 :: v_dual_lshrrev_b32 v12, 29, v5
	v_alignbit_b32 v10, v10, v7, v8
	v_alignbit_b32 v6, v7, v6, v8
	s_delay_alu instid0(VALU_DEP_3) | instskip(NEXT) | instid1(VALU_DEP_2)
	v_lshlrev_b32_e32 v7, 31, v12
	v_alignbit_b32 v8, v10, v6, 9
	s_delay_alu instid0(VALU_DEP_2) | instskip(NEXT) | instid1(VALU_DEP_2)
	v_dual_lshrrev_b32 v10, 9, v10 :: v_dual_bitop2_b32 v12, 0.5, v7 bitop3:0x54
	v_clz_i32_u32_e32 v14, v8
	s_delay_alu instid0(VALU_DEP_2) | instskip(SKIP_1) | instid1(VALU_DEP_3)
	v_sub_nc_u32_e32 v12, v12, v13
	v_or_b32_e32 v7, 0x33000000, v7
	v_min_u32_e32 v13, 32, v14
	s_delay_alu instid0(VALU_DEP_1) | instskip(NEXT) | instid1(VALU_DEP_4)
	v_add_lshl_u32 v11, v13, v11, 23
	v_or_b32_e32 v10, v10, v12
	v_not_b32_e32 v12, v13
	s_delay_alu instid0(VALU_DEP_2) | instskip(NEXT) | instid1(VALU_DEP_2)
	v_dual_mul_f32 v14, 0x3fc90fda, v10 :: v_dual_sub_nc_u32 v7, v7, v11
	v_alignbit_b32 v6, v8, v6, v12
	s_delay_alu instid0(VALU_DEP_2) | instskip(NEXT) | instid1(VALU_DEP_2)
	v_fma_f32 v8, 0x3fc90fda, v10, -v14
	v_lshrrev_b32_e32 v6, 9, v6
	s_delay_alu instid0(VALU_DEP_2) | instskip(NEXT) | instid1(VALU_DEP_2)
	v_fmamk_f32 v8, v10, 0x33a22168, v8
	v_or_b32_e32 v6, v7, v6
	s_delay_alu instid0(VALU_DEP_1) | instskip(NEXT) | instid1(VALU_DEP_1)
	v_fmac_f32_e32 v8, 0x3fc90fda, v6
	v_dual_add_f32 v5, v14, v8 :: v_dual_lshrrev_b32 v6, 30, v5
	s_delay_alu instid0(VALU_DEP_1)
	v_add_nc_u32_e32 v6, v9, v6
	s_and_not1_saveexec_b32 s0, s26
	s_branch .LBB22_37
.LBB22_35:
	s_mov_b32 s24, 0
	s_mov_b32 s1, 0
                                        ; implicit-def: $vgpr1
	s_cbranch_execnz .LBB22_198
	s_branch .LBB22_232
.LBB22_36:
	s_and_not1_saveexec_b32 s0, s26
.LBB22_37:
	v_mul_f32_e64 v5, 0x3f22f983, |v3|
	s_delay_alu instid0(VALU_DEP_1) | instskip(NEXT) | instid1(VALU_DEP_1)
	v_rndne_f32_e32 v6, v5
	v_fma_f32 v5, 0xbfc90fda, v6, |v3|
	s_delay_alu instid0(VALU_DEP_1) | instskip(NEXT) | instid1(VALU_DEP_1)
	v_fmamk_f32 v5, v6, 0xb3a22168, v5
	v_fmamk_f32 v5, v6, 0xa7c234c4, v5
	v_cvt_i32_f32_e32 v6, v6
; %bb.38:
	s_or_b32 exec_lo, exec_lo, s0
                                        ; implicit-def: $vgpr8
                                        ; implicit-def: $vgpr7
	s_and_saveexec_b32 s0, s2
	s_delay_alu instid0(SALU_CYCLE_1)
	s_xor_b32 s2, exec_lo, s0
	s_cbranch_execz .LBB22_40
; %bb.39:
	s_mov_b32 s0, 0x7fffff
	v_mov_b32_e32 v9, 0
	v_and_or_b32 v8, v4, s0, 0x800000
	s_mov_b64 s[0:1], 0xfe5163ab
	v_lshrrev_b32_e32 v7, 23, v4
	s_delay_alu instid0(VALU_DEP_2) | instskip(NEXT) | instid1(VALU_DEP_1)
	v_mul_u64_e32 v[10:11], s[0:1], v[8:9]
	v_dual_mov_b32 v12, v11 :: v_dual_mov_b32 v13, v9
	v_dual_mov_b32 v15, v9 :: v_dual_mov_b32 v17, v9
	;; [unrolled: 1-line block ×3, first 2 shown]
	s_delay_alu instid0(VALU_DEP_3) | instskip(NEXT) | instid1(VALU_DEP_1)
	v_mad_nc_u64_u32 v[12:13], 0x3c439041, v8, v[12:13]
	v_mov_b32_e32 v14, v13
	s_delay_alu instid0(VALU_DEP_1) | instskip(NEXT) | instid1(VALU_DEP_1)
	v_mad_nc_u64_u32 v[14:15], 0xdb629599, v8, v[14:15]
	v_mov_b32_e32 v16, v15
	s_delay_alu instid0(VALU_DEP_1) | instskip(NEXT) | instid1(VALU_DEP_1)
	;; [unrolled: 3-line block ×3, first 2 shown]
	v_mad_nc_u64_u32 v[18:19], 0xfc2757d1, v8, v[18:19]
	v_dual_mov_b32 v21, v9 :: v_dual_mov_b32 v20, v19
	s_delay_alu instid0(VALU_DEP_1) | instskip(NEXT) | instid1(VALU_DEP_1)
	v_mad_nc_u64_u32 v[20:21], 0x4e441529, v8, v[20:21]
	v_dual_mov_b32 v22, v21 :: v_dual_add_nc_u32 v7, 0xffffff88, v7
	s_delay_alu instid0(VALU_DEP_1) | instskip(NEXT) | instid1(VALU_DEP_2)
	v_cmp_lt_u32_e32 vcc_lo, 63, v7
	v_mad_nc_u64_u32 v[8:9], 0xa2f9836e, v8, v[22:23]
	v_cndmask_b32_e64 v11, 0, 0xffffffc0, vcc_lo
	v_dual_cndmask_b32 v13, v20, v16 :: v_dual_cndmask_b32 v10, v14, v10
	s_delay_alu instid0(VALU_DEP_2) | instskip(NEXT) | instid1(VALU_DEP_1)
	v_add_nc_u32_e32 v7, v11, v7
	v_cmp_lt_u32_e64 s0, 31, v7
	v_dual_cndmask_b32 v8, v8, v18 :: v_dual_cndmask_b32 v9, v9, v20
	s_delay_alu instid0(VALU_DEP_2) | instskip(NEXT) | instid1(VALU_DEP_1)
	v_cndmask_b32_e64 v11, 0, 0xffffffe0, s0
	v_add_nc_u32_e32 v7, v11, v7
	s_delay_alu instid0(VALU_DEP_1) | instskip(NEXT) | instid1(VALU_DEP_1)
	v_cmp_lt_u32_e64 s1, 31, v7
	v_cndmask_b32_e64 v11, 0, 0xffffffe0, s1
	s_delay_alu instid0(VALU_DEP_1) | instskip(SKIP_2) | instid1(VALU_DEP_3)
	v_dual_cndmask_b32 v15, v18, v14, vcc_lo :: v_dual_add_nc_u32 v7, v11, v7
	v_cndmask_b32_e32 v11, v16, v12, vcc_lo
	v_dual_cndmask_b32 v12, v8, v13, s0 :: v_dual_cndmask_b32 v8, v9, v8, s0
	v_cndmask_b32_e64 v9, v13, v15, s0
	s_delay_alu instid0(VALU_DEP_4) | instskip(NEXT) | instid1(VALU_DEP_4)
	v_sub_nc_u32_e32 v13, 32, v7
	v_cndmask_b32_e64 v15, v15, v11, s0
	v_cmp_eq_u32_e32 vcc_lo, 0, v7
	v_cndmask_b32_e64 v8, v8, v12, s1
	s_delay_alu instid0(VALU_DEP_3) | instskip(NEXT) | instid1(VALU_DEP_1)
	v_dual_cndmask_b32 v12, v12, v9, s1 :: v_dual_cndmask_b32 v9, v9, v15, s1
	v_alignbit_b32 v16, v8, v12, v13
	s_delay_alu instid0(VALU_DEP_2) | instskip(NEXT) | instid1(VALU_DEP_2)
	v_alignbit_b32 v14, v12, v9, v13
	v_dual_cndmask_b32 v7, v16, v8, vcc_lo :: v_dual_cndmask_b32 v8, v11, v10, s0
	s_delay_alu instid0(VALU_DEP_1) | instskip(NEXT) | instid1(VALU_DEP_1)
	v_bfe_u32 v11, v7, 29, 1
	v_dual_cndmask_b32 v10, v14, v12, vcc_lo :: v_dual_sub_nc_u32 v14, 0, v11
	s_delay_alu instid0(VALU_DEP_1) | instskip(NEXT) | instid1(VALU_DEP_1)
	v_alignbit_b32 v12, v7, v10, 30
	v_dual_cndmask_b32 v8, v15, v8, s1 :: v_dual_bitop2_b32 v12, v12, v14 bitop3:0x14
	s_delay_alu instid0(VALU_DEP_1) | instskip(NEXT) | instid1(VALU_DEP_1)
	v_alignbit_b32 v13, v9, v8, v13
	v_cndmask_b32_e32 v9, v13, v9, vcc_lo
	s_delay_alu instid0(VALU_DEP_3) | instskip(NEXT) | instid1(VALU_DEP_2)
	v_clz_i32_u32_e32 v13, v12
	v_alignbit_b32 v8, v9, v8, 30
	s_delay_alu instid0(VALU_DEP_2) | instskip(NEXT) | instid1(VALU_DEP_2)
	v_min_u32_e32 v13, 32, v13
	v_xor_b32_e32 v8, v8, v14
	v_alignbit_b32 v10, v10, v9, 30
	s_delay_alu instid0(VALU_DEP_1) | instskip(SKIP_1) | instid1(VALU_DEP_1)
	v_dual_lshlrev_b32 v15, 23, v13 :: v_dual_bitop2_b32 v9, v10, v14 bitop3:0x14
	v_dual_sub_nc_u32 v10, 31, v13 :: v_dual_lshrrev_b32 v14, 29, v7
	v_alignbit_b32 v12, v12, v9, v10
	v_alignbit_b32 v8, v9, v8, v10
	s_delay_alu instid0(VALU_DEP_3) | instskip(NEXT) | instid1(VALU_DEP_2)
	v_lshlrev_b32_e32 v9, 31, v14
	v_alignbit_b32 v10, v12, v8, 9
	s_delay_alu instid0(VALU_DEP_2) | instskip(NEXT) | instid1(VALU_DEP_2)
	v_dual_lshrrev_b32 v12, 9, v12 :: v_dual_bitop2_b32 v14, 0.5, v9 bitop3:0x54
	v_clz_i32_u32_e32 v16, v10
	s_delay_alu instid0(VALU_DEP_2) | instskip(SKIP_1) | instid1(VALU_DEP_3)
	v_sub_nc_u32_e32 v14, v14, v15
	v_or_b32_e32 v9, 0x33000000, v9
	v_min_u32_e32 v15, 32, v16
	s_delay_alu instid0(VALU_DEP_1) | instskip(NEXT) | instid1(VALU_DEP_4)
	v_add_lshl_u32 v13, v15, v13, 23
	v_or_b32_e32 v12, v12, v14
	v_not_b32_e32 v14, v15
	s_delay_alu instid0(VALU_DEP_2) | instskip(NEXT) | instid1(VALU_DEP_2)
	v_dual_mul_f32 v16, 0x3fc90fda, v12 :: v_dual_sub_nc_u32 v9, v9, v13
	v_alignbit_b32 v8, v10, v8, v14
	s_delay_alu instid0(VALU_DEP_2) | instskip(NEXT) | instid1(VALU_DEP_2)
	v_fma_f32 v10, 0x3fc90fda, v12, -v16
	v_lshrrev_b32_e32 v8, 9, v8
	s_delay_alu instid0(VALU_DEP_2) | instskip(NEXT) | instid1(VALU_DEP_2)
	v_fmamk_f32 v10, v12, 0x33a22168, v10
	v_or_b32_e32 v8, v9, v8
	s_delay_alu instid0(VALU_DEP_1) | instskip(NEXT) | instid1(VALU_DEP_1)
	v_fmac_f32_e32 v10, 0x3fc90fda, v8
	v_dual_add_f32 v7, v16, v10 :: v_dual_lshrrev_b32 v8, 30, v7
	s_delay_alu instid0(VALU_DEP_1)
	v_add_nc_u32_e32 v8, v11, v8
	s_and_not1_saveexec_b32 s0, s2
	s_cbranch_execnz .LBB22_41
	s_branch .LBB22_42
.LBB22_40:
	s_and_not1_saveexec_b32 s0, s2
.LBB22_41:
	v_mul_f32_e64 v7, 0x3f22f983, |v3|
	s_delay_alu instid0(VALU_DEP_1) | instskip(NEXT) | instid1(VALU_DEP_1)
	v_rndne_f32_e32 v8, v7
	v_fma_f32 v7, 0xbfc90fda, v8, |v3|
	s_delay_alu instid0(VALU_DEP_1) | instskip(NEXT) | instid1(VALU_DEP_1)
	v_fmamk_f32 v7, v8, 0xb3a22168, v7
	v_fmamk_f32 v7, v8, 0xa7c234c4, v7
	v_cvt_i32_f32_e32 v8, v8
.LBB22_42:
	s_or_b32 exec_lo, exec_lo, s0
	v_div_scale_f32 v9, null, v1, v1, 0x40a00000
	v_div_scale_f32 v12, vcc_lo, 0x40a00000, v1, 0x40a00000
	s_mov_b32 s0, 0xb94c1982
	v_rcp_f32_e32 v10, v9
	s_mov_b32 s1, 0x37d75334
	v_xor_b32_e32 v4, v4, v3
	v_and_b32_e32 v14, 1, v8
	s_delay_alu instid0(TRANS32_DEP_1) | instskip(NEXT) | instid1(VALU_DEP_1)
	v_fma_f32 v11, -v9, v10, 1.0
	v_fmac_f32_e32 v10, v11, v10
	s_delay_alu instid0(VALU_DEP_1) | instskip(NEXT) | instid1(VALU_DEP_1)
	v_mul_f32_e32 v11, v12, v10
	v_fma_f32 v13, -v9, v11, v12
	s_delay_alu instid0(VALU_DEP_1) | instskip(NEXT) | instid1(VALU_DEP_1)
	v_dual_fmac_f32 v11, v13, v10 :: v_dual_mul_f32 v13, v7, v7
	v_fma_f32 v9, -v9, v11, v12
	s_delay_alu instid0(VALU_DEP_2) | instskip(SKIP_1) | instid1(VALU_DEP_3)
	v_fmaak_f32 v22, s0, v13, 0x3c0881c4
	v_fmaak_f32 v23, s1, v13, 0xbab64f3b
	v_div_fmas_f32 v9, v9, v10, v11
	v_dual_mul_f32 v10, v5, v5 :: v_dual_bitop2_b32 v11, 1, v6 bitop3:0x40
	s_delay_alu instid0(VALU_DEP_4) | instskip(NEXT) | instid1(VALU_DEP_4)
	v_fmaak_f32 v22, v13, v22, 0xbe2aaa9d
	v_fmaak_f32 v23, v13, v23, 0x3d2aabf7
	s_delay_alu instid0(VALU_DEP_4) | instskip(NEXT) | instid1(VALU_DEP_4)
	v_div_fixup_f32 v9, v9, v1, 0x40a00000
	v_fmaak_f32 v20, s0, v10, 0x3c0881c4
	v_cmp_gt_f32_e64 s0, 0xf800000, v1
	v_cmp_eq_u32_e64 s2, 0, v11
	v_fmaak_f32 v23, v13, v23, 0xbf000004
	v_dual_mul_f32 v12, v9, v9 :: v_dual_lshlrev_b32 v6, 30, v6
	v_fmaak_f32 v20, v10, v20, 0xbe2aaa9d
	v_dual_mul_f32 v19, 0x4f800000, v1 :: v_dual_mul_f32 v22, v13, v22
	s_delay_alu instid0(VALU_DEP_3) | instskip(SKIP_1) | instid1(VALU_DEP_3)
	v_fmaak_f32 v15, 0, v12, 0x3d513fd3
	v_fmaak_f32 v16, 0, v12, 0x3a15c4d9
	v_dual_mul_f32 v20, v10, v20 :: v_dual_cndmask_b32 v1, v1, v19, s0
	s_delay_alu instid0(VALU_DEP_3) | instskip(NEXT) | instid1(VALU_DEP_3)
	v_dual_fmaak_f32 v15, v12, v15, 0x409f6dae :: v_dual_lshlrev_b32 v8, 30, v8
	v_dual_fmaak_f32 v16, v12, v16, 0x3d8cfeeb :: v_dual_fmac_f32 v7, v7, v22
	s_delay_alu instid0(VALU_DEP_3) | instskip(SKIP_2) | instid1(VALU_DEP_3)
	v_sqrt_f32_e32 v26, v1
	v_fmaak_f32 v18, 0, v12, 0x3a47c962
	v_fmaak_f32 v17, 0, v12, 0x42947983
	;; [unrolled: 1-line block ×3, first 2 shown]
	v_fmac_f32_e32 v5, v5, v20
	v_fma_f32 v13, v13, v23, 1.0
	v_and_b32_e32 v6, 0x80000000, v6
	v_add_nc_u32_e32 v31, 1, v26
	v_fmaak_f32 v18, v12, v18, 0x3d95ca45
	v_fmaak_f32 v16, v12, v16, 0x40a25d18
	;; [unrolled: 1-line block ×3, first 2 shown]
	s_delay_alu instid0(VALU_DEP_3) | instskip(NEXT) | instid1(VALU_DEP_3)
	v_fmaak_f32 v18, v12, v18, 0x3f9047f6
	v_fmaak_f32 v16, v12, v16, 0x410665cf
	s_delay_alu instid0(VALU_DEP_3) | instskip(NEXT) | instid1(VALU_DEP_3)
	v_fmaak_f32 v17, v12, v17, 0x459bd349
	v_fmaak_f32 v18, v12, v18, 0x40a39628
	;; [unrolled: 3-line block ×3, first 2 shown]
	s_delay_alu instid0(VALU_DEP_3) | instskip(NEXT) | instid1(VALU_DEP_3)
	v_fmaak_f32 v18, v12, v18, 0x4106c8e4
	v_fma_f32 v16, v12, v16, 1.0
	s_delay_alu instid0(VALU_DEP_3) | instskip(NEXT) | instid1(VALU_DEP_3)
	v_fmaak_f32 v17, v12, v17, 0x45f9e855
	v_fmaak_f32 v18, v12, v18, 0x40a6dd51
	s_delay_alu instid0(VALU_DEP_2) | instskip(NEXT) | instid1(VALU_DEP_2)
	v_fmaak_f32 v17, v12, v17, 0x4530a316
	v_fma_f32 v18, v12, v18, 1.0
	s_delay_alu instid0(VALU_DEP_2) | instskip(NEXT) | instid1(VALU_DEP_2)
	v_fmaak_f32 v17, v12, v17, 0x43a80bfb
	v_div_scale_f32 v29, vcc_lo, v18, v16, v18
	v_fmaak_f32 v15, v12, v15, 0x4297a5cd
	s_delay_alu instid0(VALU_DEP_1) | instskip(NEXT) | instid1(VALU_DEP_1)
	v_fmaak_f32 v15, v12, v15, 0x43b763ca
	v_fmaak_f32 v15, v12, v15, 0x4431b6ce
	s_delay_alu instid0(VALU_DEP_1) | instskip(NEXT) | instid1(VALU_DEP_1)
	v_fmaak_f32 v15, v12, v15, 0x44155f56
	v_fmaak_f32 v15, v12, v15, 0x4353b052
	s_delay_alu instid0(VALU_DEP_1) | instskip(SKIP_1) | instid1(VALU_DEP_2)
	v_fmaak_f32 v12, v12, v15, 0x41c9a7fa
	v_div_scale_f32 v15, null, v16, v16, v18
	v_div_scale_f32 v19, null, v17, v17, v12
	s_delay_alu instid0(VALU_DEP_2) | instskip(NEXT) | instid1(VALU_DEP_1)
	v_rcp_f32_e32 v24, v15
	v_rcp_f32_e32 v25, v19
	s_delay_alu instid0(TRANS32_DEP_2) | instskip(NEXT) | instid1(TRANS32_DEP_1)
	v_fma_f32 v27, -v15, v24, 1.0
	v_fma_f32 v28, -v19, v25, 1.0
	s_delay_alu instid0(VALU_DEP_1) | instskip(NEXT) | instid1(VALU_DEP_1)
	v_dual_fmac_f32 v24, v27, v24 :: v_dual_fmac_f32 v25, v28, v25
	v_dual_add_nc_u32 v28, -1, v26 :: v_dual_mul_f32 v30, v29, v24
	s_delay_alu instid0(VALU_DEP_1) | instskip(SKIP_2) | instid1(VALU_DEP_4)
	v_fma_f32 v20, -v15, v30, v29
	v_fmaak_f32 v21, s1, v10, 0xbab64f3b
	v_div_scale_f32 v27, s1, v12, v17, v12
	v_fma_f32 v22, -v28, v26, v1
	s_delay_alu instid0(VALU_DEP_3) | instskip(NEXT) | instid1(VALU_DEP_3)
	v_dual_fmac_f32 v30, v20, v24 :: v_dual_fmaak_f32 v21, v10, v21, 0x3d2aabf7
	v_mul_f32_e32 v32, v27, v25
	s_delay_alu instid0(VALU_DEP_2) | instskip(NEXT) | instid1(VALU_DEP_1)
	v_fmaak_f32 v21, v10, v21, 0xbf000004
	v_fma_f32 v10, v10, v21, 1.0
	s_delay_alu instid0(VALU_DEP_3) | instskip(NEXT) | instid1(VALU_DEP_2)
	v_fma_f32 v21, -v19, v32, v27
	v_dual_fma_f32 v20, -v31, v26, v1 :: v_dual_cndmask_b32 v5, v10, v5, s2
	s_delay_alu instid0(VALU_DEP_2) | instskip(SKIP_1) | instid1(VALU_DEP_3)
	v_dual_fmac_f32 v32, v21, v25 :: v_dual_fma_f32 v10, -v15, v30, v29
	v_cmp_eq_u32_e64 s2, 0, v14
	v_xor3_b32 v4, v4, v6, v5
	s_delay_alu instid0(VALU_DEP_3) | instskip(NEXT) | instid1(VALU_DEP_4)
	v_fma_f32 v11, -v19, v32, v27
	v_div_fmas_f32 v10, v10, v24, v30
	s_mov_b32 vcc_lo, s1
	v_cndmask_b32_e64 v7, -v7, v13, s2
	v_cmp_lt_f32_e64 s1, 0, v20
	v_div_fmas_f32 v11, v11, v25, v32
	v_cmp_ge_f32_e32 vcc_lo, 0, v22
	s_delay_alu instid0(VALU_DEP_2)
	v_div_fixup_f32 v5, v11, v17, v12
	v_cndmask_b32_e32 v13, v26, v28, vcc_lo
	v_cmp_class_f32_e64 vcc_lo, v3, 0x1f8
	v_bitop3_b32 v3, v8, v7, 0x80000000 bitop3:0x6c
	v_div_fixup_f32 v8, v10, v16, v18
	v_mul_f32_e32 v5, v9, v5
	v_cndmask_b32_e64 v6, v13, v31, s1
	v_cndmask_b32_e32 v4, 0x7fc00000, v4, vcc_lo
	v_cndmask_b32_e32 v3, 0x7fc00000, v3, vcc_lo
	v_cmp_class_f32_e64 vcc_lo, v1, 0x260
	s_delay_alu instid0(VALU_DEP_4) | instskip(NEXT) | instid1(VALU_DEP_3)
	v_mul_f32_e32 v7, 0x37800000, v6
	v_mul_f32_e32 v3, v5, v3
	s_delay_alu instid0(VALU_DEP_1) | instskip(NEXT) | instid1(VALU_DEP_1)
	v_dual_cndmask_b32 v5, v6, v7, s0 :: v_dual_fmac_f32 v3, v8, v4
	v_cndmask_b32_e32 v1, v5, v1, vcc_lo
	s_delay_alu instid0(VALU_DEP_2) | instskip(NEXT) | instid1(VALU_DEP_1)
	v_mul_f32_e32 v3, 0x3f4c422a, v3
	v_div_scale_f32 v4, null, v1, v1, v3
	s_delay_alu instid0(VALU_DEP_1) | instskip(SKIP_1) | instid1(TRANS32_DEP_1)
	v_rcp_f32_e32 v5, v4
	v_nop
	v_fma_f32 v6, -v4, v5, 1.0
	s_delay_alu instid0(VALU_DEP_1) | instskip(SKIP_1) | instid1(VALU_DEP_1)
	v_fmac_f32_e32 v5, v6, v5
	v_div_scale_f32 v6, vcc_lo, v3, v1, v3
	v_mul_f32_e32 v7, v6, v5
	s_delay_alu instid0(VALU_DEP_1) | instskip(NEXT) | instid1(VALU_DEP_1)
	v_fma_f32 v8, -v4, v7, v6
	v_fmac_f32_e32 v7, v8, v5
	s_delay_alu instid0(VALU_DEP_1) | instskip(NEXT) | instid1(VALU_DEP_1)
	v_fma_f32 v4, -v4, v7, v6
	v_div_fmas_f32 v4, v4, v5, v7
	s_delay_alu instid0(VALU_DEP_1)
	v_div_fixup_f32 v4, v4, v1, v3
.LBB22_43:
	s_or_b32 exec_lo, exec_lo, s25
	v_mov_b32_e32 v3, 0
	s_and_b32 s1, s34, 0xff
	s_delay_alu instid0(SALU_CYCLE_1) | instskip(NEXT) | instid1(VALU_DEP_1)
	s_cmp_lt_i32 s1, 11
	v_add_nc_u64_e32 v[2:3], s[4:5], v[2:3]
	s_cbranch_scc1 .LBB22_50
; %bb.44:
	s_and_b32 s2, 0xffff, s1
	s_delay_alu instid0(SALU_CYCLE_1)
	s_cmp_gt_i32 s2, 25
	s_cbranch_scc0 .LBB22_53
; %bb.45:
	s_cmp_gt_i32 s2, 28
	s_cbranch_scc0 .LBB22_55
; %bb.46:
	;; [unrolled: 3-line block ×4, first 2 shown]
	s_mov_b32 s26, 0
	s_mov_b32 s0, -1
	s_cmp_eq_u32 s2, 46
	s_mov_b32 s25, 0
	s_cbranch_scc0 .LBB22_64
; %bb.49:
	v_bfe_u32 v1, v4, 16, 1
	v_cmp_o_f32_e32 vcc_lo, v4, v4
	s_mov_b32 s25, -1
	s_mov_b32 s0, 0
	s_delay_alu instid0(VALU_DEP_2) | instskip(NEXT) | instid1(VALU_DEP_1)
	v_add3_u32 v1, v4, v1, 0x7fff
	v_lshrrev_b32_e32 v1, 16, v1
	s_delay_alu instid0(VALU_DEP_1)
	v_cndmask_b32_e32 v1, 0x7fc0, v1, vcc_lo
	global_store_b32 v[2:3], v1, off
	s_branch .LBB22_64
.LBB22_50:
	s_mov_b32 s0, 0
	s_mov_b32 s25, 0
	s_cbranch_execnz .LBB22_133
.LBB22_51:
	s_and_not1_b32 vcc_lo, exec_lo, s25
	s_cbranch_vccz .LBB22_171
	s_branch .LBB22_281
.LBB22_52:
	s_mov_b32 s2, -1
	s_mov_b32 s24, 0
	s_mov_b32 s1, 0
                                        ; implicit-def: $vgpr1
	s_branch .LBB22_179
.LBB22_53:
	s_mov_b32 s26, -1
	s_mov_b32 s0, 0
	s_mov_b32 s25, 0
	s_branch .LBB22_91
.LBB22_54:
	s_mov_b32 s2, -1
	s_mov_b32 s24, 0
	s_mov_b32 s1, 0
                                        ; implicit-def: $vgpr1
	s_branch .LBB22_174
.LBB22_55:
	s_mov_b32 s26, -1
	s_mov_b32 s0, 0
	s_mov_b32 s25, 0
	s_branch .LBB22_74
.LBB22_56:
	s_mov_b32 s2, -1
	s_mov_b32 s24, 0
	s_branch .LBB22_59
.LBB22_57:
	s_mov_b32 s26, -1
	s_mov_b32 s0, 0
	s_mov_b32 s25, 0
	s_branch .LBB22_70
.LBB22_58:
	s_mov_b32 s24, -1
.LBB22_59:
	s_mov_b32 s1, 0
                                        ; implicit-def: $vgpr1
.LBB22_60:
	s_and_b32 vcc_lo, exec_lo, s2
	s_cbranch_vccz .LBB22_173
; %bb.61:
	s_cmp_eq_u32 s0, 44
	s_cbranch_scc0 .LBB22_172
; %bb.62:
	global_load_u8 v1, v[4:5], off
	s_mov_b32 s24, 0
	s_mov_b32 s1, -1
	s_wait_loadcnt 0x0
	v_lshlrev_b32_e32 v3, 23, v1
	v_cmp_ne_u32_e32 vcc_lo, 0xff, v1
	s_delay_alu instid0(VALU_DEP_2) | instskip(SKIP_1) | instid1(VALU_DEP_2)
	v_cndmask_b32_e32 v3, 0x7f800001, v3, vcc_lo
	v_cmp_ne_u32_e32 vcc_lo, 0, v1
	v_cndmask_b32_e32 v1, 0x400000, v3, vcc_lo
	s_branch .LBB22_173
.LBB22_63:
	s_mov_b32 s26, -1
	s_mov_b32 s0, 0
	s_mov_b32 s25, 0
.LBB22_64:
	s_and_b32 vcc_lo, exec_lo, s26
	s_cbranch_vccz .LBB22_69
; %bb.65:
	s_cmp_eq_u32 s2, 44
	s_mov_b32 s0, -1
	s_cbranch_scc0 .LBB22_69
; %bb.66:
	v_bfe_u32 v5, v4, 23, 8
	s_wait_xcnt 0x0
	v_mov_b32_e32 v1, 0xff
	s_mov_b32 s25, exec_lo
	s_delay_alu instid0(VALU_DEP_2)
	v_cmpx_ne_u32_e32 0xff, v5
	s_cbranch_execz .LBB22_68
; %bb.67:
	v_and_b32_e32 v1, 0x400000, v4
	v_and_or_b32 v5, 0x3fffff, v4, v5
	s_delay_alu instid0(VALU_DEP_2) | instskip(NEXT) | instid1(VALU_DEP_2)
	v_cmp_ne_u32_e32 vcc_lo, 0, v1
	v_cmp_ne_u32_e64 s0, 0, v5
	v_lshrrev_b32_e32 v1, 23, v4
	s_and_b32 s0, vcc_lo, s0
	s_delay_alu instid0(SALU_CYCLE_1) | instskip(NEXT) | instid1(VALU_DEP_1)
	v_cndmask_b32_e64 v5, 0, 1, s0
	v_add_nc_u32_e32 v1, v1, v5
.LBB22_68:
	s_or_b32 exec_lo, exec_lo, s25
	s_mov_b32 s25, -1
	s_mov_b32 s0, 0
	global_store_b8 v[2:3], v1, off
.LBB22_69:
	s_mov_b32 s26, 0
.LBB22_70:
	s_delay_alu instid0(SALU_CYCLE_1)
	s_and_b32 vcc_lo, exec_lo, s26
	s_cbranch_vccz .LBB22_73
; %bb.71:
	s_cmp_eq_u32 s2, 29
	s_mov_b32 s0, -1
	s_cbranch_scc0 .LBB22_73
; %bb.72:
	s_wait_xcnt 0x0
	v_trunc_f32_e32 v1, v4
	s_mov_b32 s25, -1
	s_mov_b32 s0, 0
	s_mov_b32 s26, 0
	s_delay_alu instid0(VALU_DEP_1) | instskip(NEXT) | instid1(VALU_DEP_1)
	v_mul_f32_e32 v5, 0x2f800000, v1
	v_floor_f32_e32 v5, v5
	s_delay_alu instid0(VALU_DEP_1) | instskip(SKIP_1) | instid1(VALU_DEP_2)
	v_fmamk_f32 v1, v5, 0xcf800000, v1
	v_cvt_u32_f32_e32 v7, v5
	v_cvt_u32_f32_e32 v6, v1
	global_store_b64 v[2:3], v[6:7], off
	s_branch .LBB22_74
.LBB22_73:
	s_mov_b32 s26, 0
.LBB22_74:
	s_delay_alu instid0(SALU_CYCLE_1)
	s_and_b32 vcc_lo, exec_lo, s26
	s_cbranch_vccz .LBB22_90
; %bb.75:
	s_cmp_lt_i32 s2, 27
	s_mov_b32 s25, -1
	s_cbranch_scc1 .LBB22_81
; %bb.76:
	s_wait_xcnt 0x0
	v_cvt_u32_f32_e32 v1, v4
	s_cmp_gt_i32 s2, 27
	s_cbranch_scc0 .LBB22_78
; %bb.77:
	s_mov_b32 s25, 0
	global_store_b32 v[2:3], v1, off
.LBB22_78:
	s_and_not1_b32 vcc_lo, exec_lo, s25
	s_cbranch_vccnz .LBB22_80
; %bb.79:
	global_store_b16 v[2:3], v1, off
.LBB22_80:
	s_mov_b32 s25, 0
.LBB22_81:
	s_delay_alu instid0(SALU_CYCLE_1)
	s_and_not1_b32 vcc_lo, exec_lo, s25
	s_cbranch_vccnz .LBB22_89
; %bb.82:
	s_wait_xcnt 0x0
	v_and_b32_e32 v1, 0x7fffffff, v4
	v_mov_b32_e32 v5, 0x80
	s_mov_b32 s25, exec_lo
	s_delay_alu instid0(VALU_DEP_2)
	v_cmpx_gt_u32_e32 0x43800000, v1
	s_cbranch_execz .LBB22_88
; %bb.83:
	v_cmp_lt_u32_e32 vcc_lo, 0x3bffffff, v1
	s_mov_b32 s26, 0
                                        ; implicit-def: $vgpr1
	s_and_saveexec_b32 s27, vcc_lo
	s_delay_alu instid0(SALU_CYCLE_1)
	s_xor_b32 s27, exec_lo, s27
	s_cbranch_execz .LBB22_342
; %bb.84:
	v_bfe_u32 v1, v4, 20, 1
	s_mov_b32 s26, exec_lo
	s_delay_alu instid0(VALU_DEP_1) | instskip(NEXT) | instid1(VALU_DEP_1)
	v_add3_u32 v1, v4, v1, 0x487ffff
	v_lshrrev_b32_e32 v1, 20, v1
	s_and_not1_saveexec_b32 s27, s27
	s_cbranch_execnz .LBB22_343
.LBB22_85:
	s_or_b32 exec_lo, exec_lo, s27
	v_mov_b32_e32 v5, 0
	s_and_saveexec_b32 s27, s26
.LBB22_86:
	v_lshrrev_b32_e32 v5, 24, v4
	s_delay_alu instid0(VALU_DEP_1)
	v_and_or_b32 v5, 0x80, v5, v1
.LBB22_87:
	s_or_b32 exec_lo, exec_lo, s27
.LBB22_88:
	s_delay_alu instid0(SALU_CYCLE_1)
	s_or_b32 exec_lo, exec_lo, s25
	global_store_b8 v[2:3], v5, off
.LBB22_89:
	s_mov_b32 s25, -1
.LBB22_90:
	s_mov_b32 s26, 0
.LBB22_91:
	s_delay_alu instid0(SALU_CYCLE_1)
	s_and_b32 vcc_lo, exec_lo, s26
	s_cbranch_vccz .LBB22_132
; %bb.92:
	s_cmp_gt_i32 s2, 22
	s_mov_b32 s26, -1
	s_cbranch_scc0 .LBB22_124
; %bb.93:
	s_cmp_lt_i32 s2, 24
	s_mov_b32 s25, -1
	s_cbranch_scc1 .LBB22_113
; %bb.94:
	s_cmp_gt_i32 s2, 24
	s_cbranch_scc0 .LBB22_102
; %bb.95:
	s_wait_xcnt 0x0
	v_and_b32_e32 v1, 0x7fffffff, v4
	v_mov_b32_e32 v5, 0x80
	s_mov_b32 s25, exec_lo
	s_delay_alu instid0(VALU_DEP_2)
	v_cmpx_gt_u32_e32 0x47800000, v1
	s_cbranch_execz .LBB22_101
; %bb.96:
	v_cmp_lt_u32_e32 vcc_lo, 0x37ffffff, v1
	s_mov_b32 s26, 0
                                        ; implicit-def: $vgpr1
	s_and_saveexec_b32 s27, vcc_lo
	s_delay_alu instid0(SALU_CYCLE_1)
	s_xor_b32 s27, exec_lo, s27
	s_cbranch_execz .LBB22_346
; %bb.97:
	v_bfe_u32 v1, v4, 21, 1
	s_mov_b32 s26, exec_lo
	s_delay_alu instid0(VALU_DEP_1) | instskip(NEXT) | instid1(VALU_DEP_1)
	v_add3_u32 v1, v4, v1, 0x88fffff
	v_lshrrev_b32_e32 v1, 21, v1
	s_and_not1_saveexec_b32 s27, s27
	s_cbranch_execnz .LBB22_347
.LBB22_98:
	s_or_b32 exec_lo, exec_lo, s27
	v_mov_b32_e32 v5, 0
	s_and_saveexec_b32 s27, s26
.LBB22_99:
	v_lshrrev_b32_e32 v5, 24, v4
	s_delay_alu instid0(VALU_DEP_1)
	v_and_or_b32 v5, 0x80, v5, v1
.LBB22_100:
	s_or_b32 exec_lo, exec_lo, s27
.LBB22_101:
	s_delay_alu instid0(SALU_CYCLE_1)
	s_or_b32 exec_lo, exec_lo, s25
	s_mov_b32 s25, 0
	global_store_b8 v[2:3], v5, off
.LBB22_102:
	s_and_b32 vcc_lo, exec_lo, s25
	s_cbranch_vccz .LBB22_112
; %bb.103:
	s_wait_xcnt 0x0
	v_and_b32_e32 v5, 0x7fffffff, v4
	s_mov_b32 s25, exec_lo
                                        ; implicit-def: $vgpr1
	s_delay_alu instid0(VALU_DEP_1)
	v_cmpx_gt_u32_e32 0x43f00000, v5
	s_xor_b32 s25, exec_lo, s25
	s_cbranch_execz .LBB22_109
; %bb.104:
	s_mov_b32 s26, exec_lo
                                        ; implicit-def: $vgpr1
	v_cmpx_lt_u32_e32 0x3c7fffff, v5
	s_xor_b32 s26, exec_lo, s26
; %bb.105:
	v_bfe_u32 v1, v4, 20, 1
	s_delay_alu instid0(VALU_DEP_1) | instskip(NEXT) | instid1(VALU_DEP_1)
	v_add3_u32 v1, v4, v1, 0x407ffff
	v_and_b32_e32 v5, 0xff00000, v1
	v_lshrrev_b32_e32 v1, 20, v1
	s_delay_alu instid0(VALU_DEP_2) | instskip(NEXT) | instid1(VALU_DEP_2)
	v_cmp_ne_u32_e32 vcc_lo, 0x7f00000, v5
	v_cndmask_b32_e32 v1, 0x7e, v1, vcc_lo
; %bb.106:
	s_and_not1_saveexec_b32 s26, s26
; %bb.107:
	v_add_f32_e64 v1, 0x46800000, |v4|
; %bb.108:
	s_or_b32 exec_lo, exec_lo, s26
                                        ; implicit-def: $vgpr5
.LBB22_109:
	s_and_not1_saveexec_b32 s25, s25
; %bb.110:
	v_mov_b32_e32 v1, 0x7f
	v_cmp_lt_u32_e32 vcc_lo, 0x7f800000, v5
	s_delay_alu instid0(VALU_DEP_2)
	v_cndmask_b32_e32 v1, 0x7e, v1, vcc_lo
; %bb.111:
	s_or_b32 exec_lo, exec_lo, s25
	v_lshrrev_b32_e32 v5, 24, v4
	s_delay_alu instid0(VALU_DEP_1)
	v_and_or_b32 v1, 0x80, v5, v1
	global_store_b8 v[2:3], v1, off
.LBB22_112:
	s_mov_b32 s25, 0
.LBB22_113:
	s_delay_alu instid0(SALU_CYCLE_1)
	s_and_not1_b32 vcc_lo, exec_lo, s25
	s_cbranch_vccnz .LBB22_123
; %bb.114:
	s_wait_xcnt 0x0
	v_and_b32_e32 v5, 0x7fffffff, v4
	s_mov_b32 s25, exec_lo
                                        ; implicit-def: $vgpr1
	s_delay_alu instid0(VALU_DEP_1)
	v_cmpx_gt_u32_e32 0x47800000, v5
	s_xor_b32 s25, exec_lo, s25
	s_cbranch_execz .LBB22_120
; %bb.115:
	s_mov_b32 s26, exec_lo
                                        ; implicit-def: $vgpr1
	v_cmpx_lt_u32_e32 0x387fffff, v5
	s_xor_b32 s26, exec_lo, s26
; %bb.116:
	v_bfe_u32 v1, v4, 21, 1
	s_delay_alu instid0(VALU_DEP_1) | instskip(NEXT) | instid1(VALU_DEP_1)
	v_add3_u32 v1, v4, v1, 0x80fffff
	v_lshrrev_b32_e32 v1, 21, v1
; %bb.117:
	s_and_not1_saveexec_b32 s26, s26
; %bb.118:
	v_add_f32_e64 v1, 0x43000000, |v4|
; %bb.119:
	s_or_b32 exec_lo, exec_lo, s26
                                        ; implicit-def: $vgpr5
.LBB22_120:
	s_and_not1_saveexec_b32 s25, s25
; %bb.121:
	v_mov_b32_e32 v1, 0x7f
	v_cmp_lt_u32_e32 vcc_lo, 0x7f800000, v5
	s_delay_alu instid0(VALU_DEP_2)
	v_cndmask_b32_e32 v1, 0x7c, v1, vcc_lo
; %bb.122:
	s_or_b32 exec_lo, exec_lo, s25
	v_lshrrev_b32_e32 v5, 24, v4
	s_delay_alu instid0(VALU_DEP_1)
	v_and_or_b32 v1, 0x80, v5, v1
	global_store_b8 v[2:3], v1, off
.LBB22_123:
	s_mov_b32 s26, 0
	s_mov_b32 s25, -1
.LBB22_124:
	s_and_not1_b32 vcc_lo, exec_lo, s26
	s_cbranch_vccnz .LBB22_132
; %bb.125:
	s_cmp_gt_i32 s2, 14
	s_mov_b32 s26, -1
	s_cbranch_scc0 .LBB22_129
; %bb.126:
	s_cmp_eq_u32 s2, 15
	s_mov_b32 s0, -1
	s_cbranch_scc0 .LBB22_128
; %bb.127:
	s_wait_xcnt 0x0
	v_bfe_u32 v1, v4, 16, 1
	v_cmp_o_f32_e32 vcc_lo, v4, v4
	s_mov_b32 s25, -1
	s_mov_b32 s0, 0
	s_delay_alu instid0(VALU_DEP_2) | instskip(NEXT) | instid1(VALU_DEP_1)
	v_add3_u32 v1, v4, v1, 0x7fff
	v_lshrrev_b32_e32 v1, 16, v1
	s_delay_alu instid0(VALU_DEP_1)
	v_cndmask_b32_e32 v1, 0x7fc0, v1, vcc_lo
	global_store_b16 v[2:3], v1, off
.LBB22_128:
	s_mov_b32 s26, 0
.LBB22_129:
	s_delay_alu instid0(SALU_CYCLE_1)
	s_and_b32 vcc_lo, exec_lo, s26
	s_cbranch_vccz .LBB22_132
; %bb.130:
	s_cmp_eq_u32 s2, 11
	s_mov_b32 s0, -1
	s_cbranch_scc0 .LBB22_132
; %bb.131:
	v_cmp_neq_f32_e32 vcc_lo, 0, v4
	s_mov_b32 s0, 0
	s_mov_b32 s25, -1
	s_wait_xcnt 0x0
	v_cndmask_b32_e64 v1, 0, 1, vcc_lo
	global_store_b8 v[2:3], v1, off
.LBB22_132:
	s_branch .LBB22_51
.LBB22_133:
	s_and_b32 s1, 0xffff, s1
	s_mov_b32 s2, -1
	s_cmp_lt_i32 s1, 5
	s_cbranch_scc1 .LBB22_154
; %bb.134:
	s_cmp_lt_i32 s1, 8
	s_cbranch_scc1 .LBB22_144
; %bb.135:
	;; [unrolled: 3-line block ×3, first 2 shown]
	s_cmp_gt_i32 s1, 9
	s_cbranch_scc0 .LBB22_138
; %bb.137:
	s_wait_xcnt 0x0
	v_cvt_f64_f32_e32 v[6:7], v4
	v_mov_b32_e32 v8, 0
	s_mov_b32 s2, 0
	s_delay_alu instid0(VALU_DEP_1)
	v_mov_b32_e32 v9, v8
	global_store_b128 v[2:3], v[6:9], off
.LBB22_138:
	s_and_not1_b32 vcc_lo, exec_lo, s2
	s_cbranch_vccnz .LBB22_140
; %bb.139:
	s_wait_xcnt 0x0
	v_mov_b32_e32 v5, 0
	global_store_b64 v[2:3], v[4:5], off
.LBB22_140:
	s_mov_b32 s2, 0
.LBB22_141:
	s_delay_alu instid0(SALU_CYCLE_1)
	s_and_not1_b32 vcc_lo, exec_lo, s2
	s_cbranch_vccnz .LBB22_143
; %bb.142:
	s_wait_xcnt 0x0
	v_cvt_f16_f32_e32 v1, v4
	s_delay_alu instid0(VALU_DEP_1)
	v_and_b32_e32 v1, 0xffff, v1
	global_store_b32 v[2:3], v1, off
.LBB22_143:
	s_mov_b32 s2, 0
.LBB22_144:
	s_delay_alu instid0(SALU_CYCLE_1)
	s_and_not1_b32 vcc_lo, exec_lo, s2
	s_cbranch_vccnz .LBB22_153
; %bb.145:
	s_cmp_lt_i32 s1, 6
	s_mov_b32 s2, -1
	s_cbranch_scc1 .LBB22_151
; %bb.146:
	s_cmp_gt_i32 s1, 6
	s_cbranch_scc0 .LBB22_148
; %bb.147:
	s_wait_xcnt 0x0
	v_cvt_f64_f32_e32 v[6:7], v4
	s_mov_b32 s2, 0
	global_store_b64 v[2:3], v[6:7], off
.LBB22_148:
	s_and_not1_b32 vcc_lo, exec_lo, s2
	s_cbranch_vccnz .LBB22_150
; %bb.149:
	global_store_b32 v[2:3], v4, off
.LBB22_150:
	s_mov_b32 s2, 0
.LBB22_151:
	s_delay_alu instid0(SALU_CYCLE_1)
	s_and_not1_b32 vcc_lo, exec_lo, s2
	s_cbranch_vccnz .LBB22_153
; %bb.152:
	s_wait_xcnt 0x0
	v_cvt_f16_f32_e32 v1, v4
	global_store_b16 v[2:3], v1, off
.LBB22_153:
	s_mov_b32 s2, 0
.LBB22_154:
	s_delay_alu instid0(SALU_CYCLE_1)
	s_and_not1_b32 vcc_lo, exec_lo, s2
	s_cbranch_vccnz .LBB22_170
; %bb.155:
	s_cmp_lt_i32 s1, 2
	s_mov_b32 s2, -1
	s_cbranch_scc1 .LBB22_165
; %bb.156:
	s_cmp_lt_i32 s1, 3
	s_cbranch_scc1 .LBB22_162
; %bb.157:
	s_cmp_gt_i32 s1, 3
	s_cbranch_scc0 .LBB22_159
; %bb.158:
	s_wait_xcnt 0x0
	v_trunc_f32_e32 v1, v4
	s_mov_b32 s2, 0
	s_delay_alu instid0(VALU_DEP_1) | instskip(SKIP_1) | instid1(VALU_DEP_2)
	v_mul_f32_e64 v5, 0x2f800000, |v1|
	v_ashrrev_i32_e32 v6, 31, v1
	v_floor_f32_e32 v5, v5
	s_delay_alu instid0(VALU_DEP_1) | instskip(SKIP_1) | instid1(VALU_DEP_2)
	v_fma_f32 v7, 0xcf800000, v5, |v1|
	v_cvt_u32_f32_e32 v1, v5
	v_cvt_u32_f32_e32 v5, v7
	s_delay_alu instid0(VALU_DEP_2) | instskip(NEXT) | instid1(VALU_DEP_2)
	v_dual_mov_b32 v7, v6 :: v_dual_bitop2_b32 v9, v1, v6 bitop3:0x14
	v_xor_b32_e32 v8, v5, v6
	s_delay_alu instid0(VALU_DEP_1)
	v_sub_nc_u64_e32 v[6:7], v[8:9], v[6:7]
	global_store_b64 v[2:3], v[6:7], off
.LBB22_159:
	s_and_not1_b32 vcc_lo, exec_lo, s2
	s_cbranch_vccnz .LBB22_161
; %bb.160:
	s_wait_xcnt 0x0
	v_cvt_i32_f32_e32 v1, v4
	global_store_b32 v[2:3], v1, off
.LBB22_161:
	s_mov_b32 s2, 0
.LBB22_162:
	s_delay_alu instid0(SALU_CYCLE_1)
	s_and_not1_b32 vcc_lo, exec_lo, s2
	s_cbranch_vccnz .LBB22_164
; %bb.163:
	s_wait_xcnt 0x0
	v_cvt_i32_f32_e32 v1, v4
	global_store_b16 v[2:3], v1, off
.LBB22_164:
	s_mov_b32 s2, 0
.LBB22_165:
	s_delay_alu instid0(SALU_CYCLE_1)
	s_and_not1_b32 vcc_lo, exec_lo, s2
	s_cbranch_vccnz .LBB22_170
; %bb.166:
	s_cmp_gt_i32 s1, 0
	s_mov_b32 s1, -1
	s_cbranch_scc0 .LBB22_168
; %bb.167:
	s_wait_xcnt 0x0
	v_cvt_i32_f32_e32 v1, v4
	s_mov_b32 s1, 0
	global_store_b8 v[2:3], v1, off
.LBB22_168:
	s_and_not1_b32 vcc_lo, exec_lo, s1
	s_cbranch_vccnz .LBB22_170
; %bb.169:
	s_wait_xcnt 0x0
	v_trunc_f32_e32 v1, v4
	s_delay_alu instid0(VALU_DEP_1) | instskip(NEXT) | instid1(VALU_DEP_1)
	v_mul_f32_e64 v4, 0x2f800000, |v1|
	v_floor_f32_e32 v4, v4
	s_delay_alu instid0(VALU_DEP_1) | instskip(SKIP_1) | instid1(VALU_DEP_2)
	v_fma_f32 v4, 0xcf800000, v4, |v1|
	v_ashrrev_i32_e32 v1, 31, v1
	v_cvt_u32_f32_e32 v4, v4
	s_delay_alu instid0(VALU_DEP_1) | instskip(NEXT) | instid1(VALU_DEP_1)
	v_xor_b32_e32 v4, v4, v1
	v_sub_nc_u32_e32 v1, v4, v1
	global_store_b8 v[2:3], v1, off
.LBB22_170:
.LBB22_171:
	v_add_nc_u32_e32 v0, 0x80, v0
	s_mov_b32 s1, -1
	s_branch .LBB22_282
.LBB22_172:
	s_mov_b32 s24, -1
                                        ; implicit-def: $vgpr1
.LBB22_173:
	s_mov_b32 s2, 0
.LBB22_174:
	s_delay_alu instid0(SALU_CYCLE_1)
	s_and_b32 vcc_lo, exec_lo, s2
	s_cbranch_vccz .LBB22_178
; %bb.175:
	s_cmp_eq_u32 s0, 29
	s_cbranch_scc0 .LBB22_177
; %bb.176:
	global_load_b64 v[6:7], v[4:5], off
	s_mov_b32 s1, -1
	s_mov_b32 s24, 0
	s_mov_b32 s2, 0
	s_wait_loadcnt 0x0
	v_clz_i32_u32_e32 v1, v7
	s_delay_alu instid0(VALU_DEP_1) | instskip(NEXT) | instid1(VALU_DEP_1)
	v_min_u32_e32 v1, 32, v1
	v_lshlrev_b64_e32 v[6:7], v1, v[6:7]
	v_sub_nc_u32_e32 v1, 32, v1
	s_delay_alu instid0(VALU_DEP_2) | instskip(NEXT) | instid1(VALU_DEP_1)
	v_min_u32_e32 v3, 1, v6
	v_or_b32_e32 v3, v7, v3
	s_delay_alu instid0(VALU_DEP_1) | instskip(NEXT) | instid1(VALU_DEP_1)
	v_cvt_f32_u32_e32 v3, v3
	v_ldexp_f32 v1, v3, v1
	s_branch .LBB22_179
.LBB22_177:
	s_mov_b32 s24, -1
                                        ; implicit-def: $vgpr1
.LBB22_178:
	s_mov_b32 s2, 0
.LBB22_179:
	s_delay_alu instid0(SALU_CYCLE_1)
	s_and_b32 vcc_lo, exec_lo, s2
	s_cbranch_vccz .LBB22_197
; %bb.180:
	s_cmp_lt_i32 s0, 27
	s_cbranch_scc1 .LBB22_183
; %bb.181:
	s_cmp_gt_i32 s0, 27
	s_cbranch_scc0 .LBB22_184
; %bb.182:
	global_load_b32 v1, v[4:5], off
	s_mov_b32 s1, 0
	s_wait_loadcnt 0x0
	v_cvt_f32_u32_e32 v1, v1
	s_branch .LBB22_185
.LBB22_183:
	s_mov_b32 s1, -1
                                        ; implicit-def: $vgpr1
	s_branch .LBB22_188
.LBB22_184:
	s_mov_b32 s1, -1
                                        ; implicit-def: $vgpr1
.LBB22_185:
	s_delay_alu instid0(SALU_CYCLE_1)
	s_and_not1_b32 vcc_lo, exec_lo, s1
	s_cbranch_vccnz .LBB22_187
; %bb.186:
	global_load_u16 v1, v[4:5], off
	s_wait_loadcnt 0x0
	v_cvt_f32_u32_e32 v1, v1
.LBB22_187:
	s_mov_b32 s1, 0
.LBB22_188:
	s_delay_alu instid0(SALU_CYCLE_1)
	s_and_not1_b32 vcc_lo, exec_lo, s1
	s_cbranch_vccnz .LBB22_196
; %bb.189:
	global_load_u8 v3, v[4:5], off
	s_mov_b32 s1, 0
	s_mov_b32 s2, exec_lo
	s_wait_loadcnt 0x0
	v_cmpx_lt_i16_e32 0x7f, v3
	s_xor_b32 s2, exec_lo, s2
	s_cbranch_execz .LBB22_209
; %bb.190:
	s_mov_b32 s1, -1
	s_mov_b32 s25, exec_lo
	v_cmpx_eq_u16_e32 0x80, v3
; %bb.191:
	s_xor_b32 s1, exec_lo, -1
; %bb.192:
	s_or_b32 exec_lo, exec_lo, s25
	s_delay_alu instid0(SALU_CYCLE_1)
	s_and_b32 s1, s1, exec_lo
	s_or_saveexec_b32 s2, s2
	v_mov_b32_e32 v1, 0x7f800001
	s_xor_b32 exec_lo, exec_lo, s2
	s_cbranch_execnz .LBB22_210
.LBB22_193:
	s_or_b32 exec_lo, exec_lo, s2
	s_and_saveexec_b32 s2, s1
	s_cbranch_execz .LBB22_195
.LBB22_194:
	v_and_b32_e32 v1, 0xffff, v3
	s_delay_alu instid0(VALU_DEP_1) | instskip(SKIP_1) | instid1(VALU_DEP_2)
	v_and_b32_e32 v6, 7, v1
	v_bfe_u32 v9, v1, 3, 4
	v_clz_i32_u32_e32 v7, v6
	s_delay_alu instid0(VALU_DEP_2) | instskip(NEXT) | instid1(VALU_DEP_2)
	v_cmp_eq_u32_e32 vcc_lo, 0, v9
	v_min_u32_e32 v7, 32, v7
	s_delay_alu instid0(VALU_DEP_1) | instskip(NEXT) | instid1(VALU_DEP_1)
	v_subrev_nc_u32_e32 v8, 28, v7
	v_dual_lshlrev_b32 v1, v8, v1 :: v_dual_sub_nc_u32 v7, 29, v7
	s_delay_alu instid0(VALU_DEP_1) | instskip(NEXT) | instid1(VALU_DEP_1)
	v_dual_lshlrev_b32 v3, 24, v3 :: v_dual_bitop2_b32 v1, 7, v1 bitop3:0x40
	v_dual_cndmask_b32 v1, v6, v1, vcc_lo :: v_dual_cndmask_b32 v7, v9, v7, vcc_lo
	s_delay_alu instid0(VALU_DEP_2) | instskip(NEXT) | instid1(VALU_DEP_2)
	v_and_b32_e32 v3, 0x80000000, v3
	v_lshlrev_b32_e32 v1, 20, v1
	s_delay_alu instid0(VALU_DEP_3) | instskip(NEXT) | instid1(VALU_DEP_1)
	v_lshl_add_u32 v6, v7, 23, 0x3b800000
	v_or3_b32 v1, v3, v6, v1
.LBB22_195:
	s_or_b32 exec_lo, exec_lo, s2
.LBB22_196:
	s_mov_b32 s1, -1
.LBB22_197:
	s_branch .LBB22_232
.LBB22_198:
	s_cmp_gt_i32 s0, 22
	s_cbranch_scc0 .LBB22_208
; %bb.199:
	s_cmp_lt_i32 s0, 24
	s_cbranch_scc1 .LBB22_211
; %bb.200:
	s_cmp_gt_i32 s0, 24
	s_cbranch_scc0 .LBB22_212
; %bb.201:
	global_load_u8 v3, v[4:5], off
	s_mov_b32 s1, 0
	s_mov_b32 s2, exec_lo
	s_wait_loadcnt 0x0
	v_cmpx_lt_i16_e32 0x7f, v3
	s_xor_b32 s2, exec_lo, s2
	s_cbranch_execz .LBB22_224
; %bb.202:
	s_mov_b32 s1, -1
	s_mov_b32 s25, exec_lo
	v_cmpx_eq_u16_e32 0x80, v3
; %bb.203:
	s_xor_b32 s1, exec_lo, -1
; %bb.204:
	s_or_b32 exec_lo, exec_lo, s25
	s_delay_alu instid0(SALU_CYCLE_1)
	s_and_b32 s1, s1, exec_lo
	s_or_saveexec_b32 s2, s2
	v_mov_b32_e32 v1, 0x7f800001
	s_xor_b32 exec_lo, exec_lo, s2
	s_cbranch_execnz .LBB22_225
.LBB22_205:
	s_or_b32 exec_lo, exec_lo, s2
	s_and_saveexec_b32 s2, s1
	s_cbranch_execz .LBB22_207
.LBB22_206:
	v_and_b32_e32 v1, 0xffff, v3
	s_delay_alu instid0(VALU_DEP_1) | instskip(SKIP_1) | instid1(VALU_DEP_2)
	v_and_b32_e32 v6, 3, v1
	v_bfe_u32 v9, v1, 2, 5
	v_clz_i32_u32_e32 v7, v6
	s_delay_alu instid0(VALU_DEP_2) | instskip(NEXT) | instid1(VALU_DEP_2)
	v_cmp_eq_u32_e32 vcc_lo, 0, v9
	v_min_u32_e32 v7, 32, v7
	s_delay_alu instid0(VALU_DEP_1) | instskip(NEXT) | instid1(VALU_DEP_1)
	v_subrev_nc_u32_e32 v8, 29, v7
	v_dual_lshlrev_b32 v1, v8, v1 :: v_dual_sub_nc_u32 v7, 30, v7
	s_delay_alu instid0(VALU_DEP_1) | instskip(NEXT) | instid1(VALU_DEP_1)
	v_dual_lshlrev_b32 v3, 24, v3 :: v_dual_bitop2_b32 v1, 3, v1 bitop3:0x40
	v_dual_cndmask_b32 v1, v6, v1, vcc_lo :: v_dual_cndmask_b32 v7, v9, v7, vcc_lo
	s_delay_alu instid0(VALU_DEP_2) | instskip(NEXT) | instid1(VALU_DEP_2)
	v_and_b32_e32 v3, 0x80000000, v3
	v_lshlrev_b32_e32 v1, 21, v1
	s_delay_alu instid0(VALU_DEP_3) | instskip(NEXT) | instid1(VALU_DEP_1)
	v_lshl_add_u32 v6, v7, 23, 0x37800000
	v_or3_b32 v1, v3, v6, v1
.LBB22_207:
	s_or_b32 exec_lo, exec_lo, s2
	s_mov_b32 s1, 0
	s_branch .LBB22_213
.LBB22_208:
	s_mov_b32 s2, -1
                                        ; implicit-def: $vgpr1
	s_branch .LBB22_219
.LBB22_209:
	s_or_saveexec_b32 s2, s2
	v_mov_b32_e32 v1, 0x7f800001
	s_xor_b32 exec_lo, exec_lo, s2
	s_cbranch_execz .LBB22_193
.LBB22_210:
	v_cmp_ne_u16_e32 vcc_lo, 0, v3
	v_mov_b32_e32 v1, 0
	s_and_not1_b32 s1, s1, exec_lo
	s_and_b32 s25, vcc_lo, exec_lo
	s_delay_alu instid0(SALU_CYCLE_1)
	s_or_b32 s1, s1, s25
	s_or_b32 exec_lo, exec_lo, s2
	s_and_saveexec_b32 s2, s1
	s_cbranch_execnz .LBB22_194
	s_branch .LBB22_195
.LBB22_211:
	s_mov_b32 s1, -1
                                        ; implicit-def: $vgpr1
	s_branch .LBB22_216
.LBB22_212:
	s_mov_b32 s1, -1
                                        ; implicit-def: $vgpr1
.LBB22_213:
	s_delay_alu instid0(SALU_CYCLE_1)
	s_and_b32 vcc_lo, exec_lo, s1
	s_cbranch_vccz .LBB22_215
; %bb.214:
	global_load_u8 v1, v[4:5], off
	s_wait_loadcnt 0x0
	v_lshlrev_b32_e32 v1, 24, v1
	s_delay_alu instid0(VALU_DEP_1) | instskip(NEXT) | instid1(VALU_DEP_1)
	v_and_b32_e32 v3, 0x7f000000, v1
	v_clz_i32_u32_e32 v6, v3
	v_cmp_ne_u32_e32 vcc_lo, 0, v3
	v_add_nc_u32_e32 v8, 0x1000000, v3
	s_delay_alu instid0(VALU_DEP_3) | instskip(NEXT) | instid1(VALU_DEP_1)
	v_min_u32_e32 v6, 32, v6
	v_sub_nc_u32_e64 v6, v6, 4 clamp
	s_delay_alu instid0(VALU_DEP_1) | instskip(NEXT) | instid1(VALU_DEP_1)
	v_dual_lshlrev_b32 v7, v6, v3 :: v_dual_lshlrev_b32 v6, 23, v6
	v_lshrrev_b32_e32 v7, 4, v7
	s_delay_alu instid0(VALU_DEP_1) | instskip(NEXT) | instid1(VALU_DEP_1)
	v_dual_sub_nc_u32 v6, v7, v6 :: v_dual_ashrrev_i32 v7, 8, v8
	v_add_nc_u32_e32 v6, 0x3c000000, v6
	s_delay_alu instid0(VALU_DEP_1) | instskip(NEXT) | instid1(VALU_DEP_1)
	v_and_or_b32 v6, 0x7f800000, v7, v6
	v_cndmask_b32_e32 v3, 0, v6, vcc_lo
	s_delay_alu instid0(VALU_DEP_1)
	v_and_or_b32 v1, 0x80000000, v1, v3
.LBB22_215:
	s_mov_b32 s1, 0
.LBB22_216:
	s_delay_alu instid0(SALU_CYCLE_1)
	s_and_not1_b32 vcc_lo, exec_lo, s1
	s_cbranch_vccnz .LBB22_218
; %bb.217:
	global_load_u8 v1, v[4:5], off
	s_wait_loadcnt 0x0
	v_lshlrev_b32_e32 v3, 25, v1
	v_lshlrev_b16 v1, 8, v1
	s_delay_alu instid0(VALU_DEP_1) | instskip(SKIP_1) | instid1(VALU_DEP_2)
	v_and_or_b32 v7, 0x7f00, v1, 0.5
	v_bfe_i32 v1, v1, 0, 16
	v_add_f32_e32 v7, -0.5, v7
	v_lshrrev_b32_e32 v6, 4, v3
	v_cmp_gt_u32_e32 vcc_lo, 0x8000000, v3
	s_delay_alu instid0(VALU_DEP_2) | instskip(NEXT) | instid1(VALU_DEP_1)
	v_or_b32_e32 v6, 0x70000000, v6
	v_mul_f32_e32 v6, 0x7800000, v6
	s_delay_alu instid0(VALU_DEP_1) | instskip(NEXT) | instid1(VALU_DEP_1)
	v_cndmask_b32_e32 v3, v6, v7, vcc_lo
	v_and_or_b32 v1, 0x80000000, v1, v3
.LBB22_218:
	s_mov_b32 s2, 0
	s_mov_b32 s1, -1
.LBB22_219:
	s_and_not1_b32 vcc_lo, exec_lo, s2
	s_cbranch_vccnz .LBB22_232
; %bb.220:
	s_cmp_gt_i32 s0, 14
	s_cbranch_scc0 .LBB22_223
; %bb.221:
	s_cmp_eq_u32 s0, 15
	s_cbranch_scc0 .LBB22_226
; %bb.222:
	global_load_u16 v1, v[4:5], off
	s_mov_b32 s1, -1
	s_mov_b32 s24, 0
	s_wait_loadcnt 0x0
	v_lshlrev_b32_e32 v1, 16, v1
	s_branch .LBB22_227
.LBB22_223:
	s_mov_b32 s2, -1
                                        ; implicit-def: $vgpr1
	s_branch .LBB22_228
.LBB22_224:
	s_or_saveexec_b32 s2, s2
	v_mov_b32_e32 v1, 0x7f800001
	s_xor_b32 exec_lo, exec_lo, s2
	s_cbranch_execz .LBB22_205
.LBB22_225:
	v_cmp_ne_u16_e32 vcc_lo, 0, v3
	v_mov_b32_e32 v1, 0
	s_and_not1_b32 s1, s1, exec_lo
	s_and_b32 s25, vcc_lo, exec_lo
	s_delay_alu instid0(SALU_CYCLE_1)
	s_or_b32 s1, s1, s25
	s_or_b32 exec_lo, exec_lo, s2
	s_and_saveexec_b32 s2, s1
	s_cbranch_execnz .LBB22_206
	s_branch .LBB22_207
.LBB22_226:
	s_mov_b32 s24, -1
                                        ; implicit-def: $vgpr1
.LBB22_227:
	s_mov_b32 s2, 0
.LBB22_228:
	s_delay_alu instid0(SALU_CYCLE_1)
	s_and_b32 vcc_lo, exec_lo, s2
	s_cbranch_vccz .LBB22_232
; %bb.229:
	s_cmp_eq_u32 s0, 11
	s_cbranch_scc0 .LBB22_231
; %bb.230:
	global_load_u8 v1, v[4:5], off
	s_mov_b32 s24, 0
	s_mov_b32 s1, -1
	s_wait_loadcnt 0x0
	v_cmp_ne_u16_e32 vcc_lo, 0, v1
	v_cndmask_b32_e64 v1, 0, 1.0, vcc_lo
	s_branch .LBB22_232
.LBB22_231:
	s_mov_b32 s24, -1
                                        ; implicit-def: $vgpr1
.LBB22_232:
	s_branch .LBB22_25
.LBB22_233:
	s_cmp_lt_i32 s0, 5
	s_cbranch_scc1 .LBB22_238
; %bb.234:
	s_cmp_lt_i32 s0, 8
	s_cbranch_scc1 .LBB22_239
; %bb.235:
	;; [unrolled: 3-line block ×3, first 2 shown]
	s_cmp_gt_i32 s0, 9
	s_cbranch_scc0 .LBB22_241
; %bb.237:
	global_load_b64 v[6:7], v[4:5], off
	s_mov_b32 s1, 0
	s_wait_loadcnt 0x0
	v_cvt_f32_f64_e32 v1, v[6:7]
	s_branch .LBB22_242
.LBB22_238:
                                        ; implicit-def: $vgpr1
	s_branch .LBB22_260
.LBB22_239:
	s_mov_b32 s1, -1
                                        ; implicit-def: $vgpr1
	s_branch .LBB22_248
.LBB22_240:
	s_mov_b32 s1, -1
                                        ; implicit-def: $vgpr1
	s_branch .LBB22_245
.LBB22_241:
	s_mov_b32 s1, -1
                                        ; implicit-def: $vgpr1
.LBB22_242:
	s_delay_alu instid0(SALU_CYCLE_1)
	s_and_not1_b32 vcc_lo, exec_lo, s1
	s_cbranch_vccnz .LBB22_244
; %bb.243:
	global_load_b32 v1, v[4:5], off
.LBB22_244:
	s_mov_b32 s1, 0
.LBB22_245:
	s_delay_alu instid0(SALU_CYCLE_1)
	s_and_not1_b32 vcc_lo, exec_lo, s1
	s_cbranch_vccnz .LBB22_247
; %bb.246:
	s_wait_loadcnt 0x0
	global_load_b32 v1, v[4:5], off
	s_wait_loadcnt 0x0
	v_cvt_f32_f16_e32 v1, v1
.LBB22_247:
	s_mov_b32 s1, 0
.LBB22_248:
	s_delay_alu instid0(SALU_CYCLE_1)
	s_and_not1_b32 vcc_lo, exec_lo, s1
	s_cbranch_vccnz .LBB22_259
; %bb.249:
	s_cmp_lt_i32 s0, 6
	s_cbranch_scc1 .LBB22_252
; %bb.250:
	s_cmp_gt_i32 s0, 6
	s_cbranch_scc0 .LBB22_253
; %bb.251:
	global_load_b64 v[6:7], v[4:5], off
	s_mov_b32 s1, 0
	s_wait_loadcnt 0x0
	v_cvt_f32_f64_e32 v1, v[6:7]
	s_branch .LBB22_254
.LBB22_252:
	s_mov_b32 s1, -1
                                        ; implicit-def: $vgpr1
	s_branch .LBB22_257
.LBB22_253:
	s_mov_b32 s1, -1
                                        ; implicit-def: $vgpr1
.LBB22_254:
	s_delay_alu instid0(SALU_CYCLE_1)
	s_and_not1_b32 vcc_lo, exec_lo, s1
	s_cbranch_vccnz .LBB22_256
; %bb.255:
	s_wait_loadcnt 0x0
	global_load_b32 v1, v[4:5], off
.LBB22_256:
	s_mov_b32 s1, 0
.LBB22_257:
	s_delay_alu instid0(SALU_CYCLE_1)
	s_and_not1_b32 vcc_lo, exec_lo, s1
	s_cbranch_vccnz .LBB22_259
; %bb.258:
	s_wait_loadcnt 0x0
	global_load_u16 v1, v[4:5], off
	s_wait_loadcnt 0x0
	v_cvt_f32_f16_e32 v1, v1
.LBB22_259:
	s_cbranch_execnz .LBB22_279
.LBB22_260:
	s_cmp_lt_i32 s0, 2
	s_cbranch_scc1 .LBB22_264
; %bb.261:
	s_cmp_lt_i32 s0, 3
	s_cbranch_scc1 .LBB22_265
; %bb.262:
	s_cmp_gt_i32 s0, 3
	s_cbranch_scc0 .LBB22_266
; %bb.263:
	global_load_b64 v[6:7], v[4:5], off
	s_mov_b32 s1, 0
	s_wait_loadcnt 0x0
	v_xor_b32_e32 v1, v6, v7
	v_cls_i32_e32 v3, v7
	s_delay_alu instid0(VALU_DEP_2) | instskip(NEXT) | instid1(VALU_DEP_1)
	v_ashrrev_i32_e32 v1, 31, v1
	v_add_nc_u32_e32 v1, 32, v1
	s_delay_alu instid0(VALU_DEP_1) | instskip(NEXT) | instid1(VALU_DEP_1)
	v_add_min_u32_e64 v1, v3, -1, v1
	v_lshlrev_b64_e32 v[6:7], v1, v[6:7]
	v_sub_nc_u32_e32 v1, 32, v1
	s_delay_alu instid0(VALU_DEP_2) | instskip(NEXT) | instid1(VALU_DEP_1)
	v_min_u32_e32 v3, 1, v6
	v_or_b32_e32 v3, v7, v3
	s_delay_alu instid0(VALU_DEP_1) | instskip(NEXT) | instid1(VALU_DEP_1)
	v_cvt_f32_i32_e32 v3, v3
	v_ldexp_f32 v1, v3, v1
	s_branch .LBB22_267
.LBB22_264:
	s_mov_b32 s1, -1
                                        ; implicit-def: $vgpr1
	s_branch .LBB22_273
.LBB22_265:
	s_mov_b32 s1, -1
                                        ; implicit-def: $vgpr1
	s_branch .LBB22_270
.LBB22_266:
	s_mov_b32 s1, -1
                                        ; implicit-def: $vgpr1
.LBB22_267:
	s_delay_alu instid0(SALU_CYCLE_1)
	s_and_not1_b32 vcc_lo, exec_lo, s1
	s_cbranch_vccnz .LBB22_269
; %bb.268:
	s_wait_loadcnt 0x0
	global_load_b32 v1, v[4:5], off
	s_wait_loadcnt 0x0
	v_cvt_f32_i32_e32 v1, v1
.LBB22_269:
	s_mov_b32 s1, 0
.LBB22_270:
	s_delay_alu instid0(SALU_CYCLE_1)
	s_and_not1_b32 vcc_lo, exec_lo, s1
	s_cbranch_vccnz .LBB22_272
; %bb.271:
	s_wait_loadcnt 0x0
	global_load_i16 v1, v[4:5], off
	s_wait_loadcnt 0x0
	v_cvt_f32_i32_e32 v1, v1
.LBB22_272:
	s_mov_b32 s1, 0
.LBB22_273:
	s_delay_alu instid0(SALU_CYCLE_1)
	s_and_not1_b32 vcc_lo, exec_lo, s1
	s_cbranch_vccnz .LBB22_279
; %bb.274:
	s_cmp_gt_i32 s0, 0
	s_mov_b32 s0, 0
	s_cbranch_scc0 .LBB22_276
; %bb.275:
	s_wait_loadcnt 0x0
	global_load_i8 v1, v[4:5], off
	s_wait_loadcnt 0x0
	v_cvt_f32_i32_e32 v1, v1
	s_branch .LBB22_277
.LBB22_276:
	s_mov_b32 s0, -1
                                        ; implicit-def: $vgpr1
.LBB22_277:
	s_delay_alu instid0(SALU_CYCLE_1)
	s_and_not1_b32 vcc_lo, exec_lo, s0
	s_cbranch_vccnz .LBB22_279
; %bb.278:
	s_wait_loadcnt 0x0
	global_load_u8 v1, v[4:5], off
	s_wait_loadcnt 0x0
	v_cvt_f32_ubyte0_e32 v1, v1
.LBB22_279:
	s_branch .LBB22_26
.LBB22_280:
	s_mov_b32 s0, 0
.LBB22_281:
	s_mov_b32 s1, 0
                                        ; implicit-def: $vgpr0
.LBB22_282:
	s_and_b32 s39, s0, exec_lo
	s_and_b32 s40, s24, exec_lo
	s_or_not1_b32 s24, s1, exec_lo
.LBB22_283:
	s_wait_xcnt 0x0
	s_or_b32 exec_lo, exec_lo, s41
	s_mov_b32 s2, 0
	s_mov_b32 s0, 0
                                        ; implicit-def: $vgpr4_vgpr5
                                        ; implicit-def: $vgpr2
                                        ; implicit-def: $vgpr1
	s_and_saveexec_b32 s41, s24
	s_cbranch_execz .LBB22_291
; %bb.284:
	s_mov_b32 s0, -1
	s_mov_b32 s42, s40
	s_mov_b32 s43, s39
	s_mov_b32 s44, exec_lo
	v_cmpx_gt_i32_e64 s36, v0
	s_cbranch_execz .LBB22_578
; %bb.285:
	s_and_not1_b32 vcc_lo, exec_lo, s31
	s_cbranch_vccnz .LBB22_294
; %bb.286:
	s_and_not1_b32 vcc_lo, exec_lo, s38
	s_cbranch_vccnz .LBB22_295
; %bb.287:
	s_add_co_i32 s1, s37, 1
	s_cmp_eq_u32 s29, 2
	s_cbranch_scc1 .LBB22_296
; %bb.288:
	v_dual_mov_b32 v2, 0 :: v_dual_mov_b32 v4, 0
	s_wait_loadcnt 0x0
	v_mov_b32_e32 v1, v0
	s_and_b32 s0, s1, 28
	s_mov_b64 s[24:25], s[16:17]
	s_mov_b64 s[26:27], s[22:23]
.LBB22_289:                             ; =>This Inner Loop Header: Depth=1
	s_clause 0x1
	s_load_b256 s[48:55], s[24:25], 0x4
	s_load_b128 s[64:67], s[24:25], 0x24
	s_load_b256 s[56:63], s[26:27], 0x0
	s_add_co_i32 s2, s2, 4
	s_wait_xcnt 0x0
	s_add_nc_u64 s[24:25], s[24:25], 48
	s_cmp_eq_u32 s0, s2
	s_add_nc_u64 s[26:27], s[26:27], 32
	s_wait_kmcnt 0x0
	v_mul_hi_u32 v3, s49, v1
	s_delay_alu instid0(VALU_DEP_1) | instskip(NEXT) | instid1(VALU_DEP_1)
	v_add_nc_u32_e32 v3, v1, v3
	v_lshrrev_b32_e32 v3, s50, v3
	s_delay_alu instid0(VALU_DEP_1) | instskip(NEXT) | instid1(VALU_DEP_1)
	v_mul_hi_u32 v5, s52, v3
	v_add_nc_u32_e32 v5, v3, v5
	s_delay_alu instid0(VALU_DEP_1) | instskip(NEXT) | instid1(VALU_DEP_1)
	v_lshrrev_b32_e32 v5, s53, v5
	v_mul_hi_u32 v6, s55, v5
	s_delay_alu instid0(VALU_DEP_1) | instskip(SKIP_1) | instid1(VALU_DEP_1)
	v_add_nc_u32_e32 v6, v5, v6
	v_mul_lo_u32 v7, v3, s48
	v_sub_nc_u32_e32 v1, v1, v7
	v_mul_lo_u32 v7, v5, s51
	s_delay_alu instid0(VALU_DEP_4) | instskip(NEXT) | instid1(VALU_DEP_3)
	v_lshrrev_b32_e32 v6, s64, v6
	v_mad_u32 v4, v1, s57, v4
	v_mad_u32 v1, v1, s56, v2
	s_delay_alu instid0(VALU_DEP_4) | instskip(NEXT) | instid1(VALU_DEP_4)
	v_sub_nc_u32_e32 v2, v3, v7
	v_mul_hi_u32 v8, s66, v6
	v_mul_lo_u32 v3, v6, s54
	s_delay_alu instid0(VALU_DEP_3) | instskip(SKIP_1) | instid1(VALU_DEP_3)
	v_mad_u32 v4, v2, s59, v4
	v_mad_u32 v2, v2, s58, v1
	v_dual_add_nc_u32 v7, v6, v8 :: v_dual_sub_nc_u32 v3, v5, v3
	s_delay_alu instid0(VALU_DEP_1) | instskip(NEXT) | instid1(VALU_DEP_2)
	v_lshrrev_b32_e32 v1, s67, v7
	v_mad_u32 v4, v3, s61, v4
	s_delay_alu instid0(VALU_DEP_4) | instskip(NEXT) | instid1(VALU_DEP_3)
	v_mad_u32 v2, v3, s60, v2
	v_mul_lo_u32 v5, v1, s65
	s_delay_alu instid0(VALU_DEP_1) | instskip(NEXT) | instid1(VALU_DEP_1)
	v_sub_nc_u32_e32 v3, v6, v5
	v_mad_u32 v4, v3, s63, v4
	s_delay_alu instid0(VALU_DEP_4)
	v_mad_u32 v2, v3, s62, v2
	s_cbranch_scc0 .LBB22_289
; %bb.290:
	s_delay_alu instid0(VALU_DEP_2)
	v_mov_b32_e32 v3, v4
	s_branch .LBB22_297
.LBB22_291:
	s_or_b32 exec_lo, exec_lo, s41
	s_mov_b32 s3, 0
	s_and_saveexec_b32 s1, s40
	s_cbranch_execnz .LBB22_976
.LBB22_292:
	s_or_b32 exec_lo, exec_lo, s1
	s_and_saveexec_b32 s1, s19
	s_delay_alu instid0(SALU_CYCLE_1)
	s_xor_b32 s1, exec_lo, s1
	s_cbranch_execz .LBB22_977
.LBB22_293:
	global_load_u8 v0, v[4:5], off
	s_or_b32 s0, s0, exec_lo
	s_wait_loadcnt 0x0
	v_cmp_ne_u16_e32 vcc_lo, 0, v0
	v_cndmask_b32_e64 v1, 0, 1.0, vcc_lo
	s_wait_xcnt 0x0
	s_or_b32 exec_lo, exec_lo, s1
	s_and_saveexec_b32 s1, s2
	s_cbranch_execz .LBB22_1023
	s_branch .LBB22_978
.LBB22_294:
                                        ; implicit-def: $vgpr4
                                        ; implicit-def: $vgpr2
	s_and_not1_b32 vcc_lo, exec_lo, s0
	s_cbranch_vccnz .LBB22_304
	s_branch .LBB22_302
.LBB22_295:
	v_dual_mov_b32 v4, 0 :: v_dual_mov_b32 v2, 0
	s_branch .LBB22_301
.LBB22_296:
	v_mov_b64_e32 v[2:3], 0
	s_wait_loadcnt 0x0
	v_mov_b32_e32 v1, v0
	s_mov_b32 s0, 0
                                        ; implicit-def: $vgpr4
.LBB22_297:
	s_and_b32 s2, s1, 3
	s_mov_b32 s1, 0
	s_cmp_eq_u32 s2, 0
	s_cbranch_scc1 .LBB22_301
; %bb.298:
	s_lshl_b32 s24, s0, 3
	s_mov_b32 s25, s1
	s_mul_u64 s[26:27], s[0:1], 12
	s_add_nc_u64 s[24:25], s[16:17], s[24:25]
	s_delay_alu instid0(SALU_CYCLE_1)
	s_add_nc_u64 s[0:1], s[24:25], 0xc4
	s_add_nc_u64 s[24:25], s[16:17], s[26:27]
.LBB22_299:                             ; =>This Inner Loop Header: Depth=1
	s_load_b96 s[48:50], s[24:25], 0x4
	s_load_b64 s[26:27], s[0:1], 0x0
	s_add_co_i32 s2, s2, -1
	s_wait_xcnt 0x0
	s_add_nc_u64 s[24:25], s[24:25], 12
	s_cmp_lg_u32 s2, 0
	s_add_nc_u64 s[0:1], s[0:1], 8
	s_wait_kmcnt 0x0
	v_mul_hi_u32 v4, s49, v1
	s_delay_alu instid0(VALU_DEP_1) | instskip(NEXT) | instid1(VALU_DEP_1)
	v_add_nc_u32_e32 v4, v1, v4
	v_lshrrev_b32_e32 v4, s50, v4
	s_delay_alu instid0(VALU_DEP_1) | instskip(NEXT) | instid1(VALU_DEP_1)
	v_mul_lo_u32 v5, v4, s48
	v_sub_nc_u32_e32 v1, v1, v5
	s_delay_alu instid0(VALU_DEP_1)
	v_mad_u32 v3, v1, s27, v3
	v_mad_u32 v2, v1, s26, v2
	v_mov_b32_e32 v1, v4
	s_cbranch_scc1 .LBB22_299
; %bb.300:
	s_delay_alu instid0(VALU_DEP_3)
	v_mov_b32_e32 v4, v3
.LBB22_301:
	s_cbranch_execnz .LBB22_304
.LBB22_302:
	s_wait_loadcnt 0x0
	v_mov_b32_e32 v1, 0
	s_and_not1_b32 vcc_lo, exec_lo, s35
	s_delay_alu instid0(VALU_DEP_1) | instskip(NEXT) | instid1(VALU_DEP_1)
	v_mul_u64_e32 v[2:3], s[18:19], v[0:1]
	v_add_nc_u32_e32 v2, v0, v3
	s_delay_alu instid0(VALU_DEP_1) | instskip(NEXT) | instid1(VALU_DEP_1)
	v_lshrrev_b32_e32 v6, s14, v2
	v_mul_lo_u32 v2, v6, s12
	s_delay_alu instid0(VALU_DEP_1) | instskip(NEXT) | instid1(VALU_DEP_1)
	v_sub_nc_u32_e32 v2, v0, v2
	v_mul_lo_u32 v4, v2, s9
	v_mul_lo_u32 v2, v2, s8
	s_cbranch_vccnz .LBB22_304
; %bb.303:
	v_mov_b32_e32 v7, v1
	s_delay_alu instid0(VALU_DEP_1) | instskip(NEXT) | instid1(VALU_DEP_1)
	v_mul_u64_e32 v[8:9], s[20:21], v[6:7]
	v_add_nc_u32_e32 v1, v6, v9
	s_delay_alu instid0(VALU_DEP_1) | instskip(NEXT) | instid1(VALU_DEP_1)
	v_lshrrev_b32_e32 v1, s3, v1
	v_mul_lo_u32 v1, v1, s15
	s_delay_alu instid0(VALU_DEP_1) | instskip(NEXT) | instid1(VALU_DEP_1)
	v_sub_nc_u32_e32 v1, v6, v1
	v_mad_u32 v2, v1, s10, v2
	v_mad_u32 v4, v1, s11, v4
.LBB22_304:
	v_mov_b32_e32 v5, 0
	s_and_b32 s0, 0xffff, s13
	s_delay_alu instid0(SALU_CYCLE_1) | instskip(NEXT) | instid1(VALU_DEP_1)
	s_cmp_lt_i32 s0, 11
	v_add_nc_u64_e32 v[4:5], s[6:7], v[4:5]
	s_cbranch_scc1 .LBB22_311
; %bb.305:
	s_cmp_gt_i32 s0, 25
	s_cbranch_scc0 .LBB22_322
; %bb.306:
	s_cmp_gt_i32 s0, 28
	s_cbranch_scc0 .LBB22_338
	;; [unrolled: 3-line block ×4, first 2 shown]
; %bb.309:
	s_cmp_eq_u32 s0, 46
	s_mov_b32 s2, 0
	s_cbranch_scc0 .LBB22_348
; %bb.310:
	s_wait_loadcnt 0x0
	global_load_b32 v1, v[4:5], off
	s_mov_b32 s1, -1
	s_mov_b32 s24, 0
	s_wait_loadcnt 0x0
	v_lshlrev_b32_e32 v1, 16, v1
	s_branch .LBB22_350
.LBB22_311:
	s_mov_b32 s1, 0
	s_mov_b32 s24, s40
                                        ; implicit-def: $vgpr1
	s_cbranch_execnz .LBB22_527
.LBB22_312:
	s_and_not1_b32 vcc_lo, exec_lo, s1
	s_cbranch_vccnz .LBB22_575
.LBB22_313:
                                        ; implicit-def: $vgpr4
	s_mov_b32 s0, exec_lo
	s_wait_loadcnt 0x0
	s_delay_alu instid0(VALU_DEP_1)
	v_cmpx_ge_f32_e32 0x40a00000, v1
	s_xor_b32 s25, exec_lo, s0
	s_cbranch_execz .LBB22_319
; %bb.314:
	v_mov_b32_e32 v4, 0xff800000
	s_mov_b32 s26, exec_lo
	v_cmpx_neq_f32_e32 0, v1
	s_cbranch_execz .LBB22_318
; %bb.315:
	v_mov_b32_e32 v4, 0x7fc00000
	s_mov_b32 s27, exec_lo
	v_cmpx_nge_f32_e32 0, v1
	s_cbranch_execz .LBB22_317
; %bb.316:
	v_mul_f32_e32 v4, v1, v1
	v_mov_b64_e32 v[6:7], 0x4c8c277d4e9695f3
	v_mov_b64_e32 v[10:11], 0x508bc61dd316b96b
	;; [unrolled: 1-line block ×3, first 2 shown]
	v_div_scale_f32 v22, s2, -1.0, v1, -1.0
	v_dual_fmaak_f32 v3, 0, v4, 0x4414934d :: v_dual_mul_f32 v8, 0, v4
	v_fmaak_f32 v5, 0, v4, 0x441b3589
	v_mov_b64_e32 v[14:15], 0x548a37dcce5691e2
	v_mov_b64_e32 v[16:17], 0x5832585252d295d0
	s_delay_alu instid0(VALU_DEP_4) | instskip(SKIP_2) | instid1(VALU_DEP_3)
	v_fmaak_f32 v3, v4, v3, 0x48660b06
	v_cmp_gt_f32_e64 s0, 0x800000, v1
	v_fmaak_f32 v5, v4, v5, 0x487af6d0
	v_mul_f32_e32 v9, v4, v3
	s_delay_alu instid0(VALU_DEP_2) | instskip(NEXT) | instid1(VALU_DEP_2)
	v_fmaak_f32 v3, v4, v5, 0x4c9f4aa7
	v_pk_add_f32 v[6:7], v[8:9], v[6:7]
	s_delay_alu instid0(VALU_DEP_2) | instskip(NEXT) | instid1(VALU_DEP_2)
	v_fmaak_f32 v3, v4, v3, 0x50a509fc
	v_pk_fma_f32 v[6:7], v[4:5], v[6:7], v[10:11] op_sel_hi:[0,1,1]
	v_mov_b64_e32 v[10:11], 0x580d1937d9e700d2
	s_delay_alu instid0(VALU_DEP_3) | instskip(NEXT) | instid1(VALU_DEP_3)
	v_mul_f32_e32 v9, v4, v3
	v_pk_fma_f32 v[6:7], v[4:5], v[6:7], v[12:13] op_sel_hi:[0,1,1]
	v_mov_b64_e32 v[12:13], 0x5b741f1e5c33cd68
	s_delay_alu instid0(VALU_DEP_3) | instskip(SKIP_1) | instid1(VALU_DEP_4)
	v_pk_add_f32 v[8:9], v[8:9], v[14:15]
	v_mov_b64_e32 v[14:15], 0x5b9f0600d6845497
	v_pk_fma_f32 v[6:7], v[4:5], v[6:7], v[10:11] op_sel_hi:[0,1,1]
	v_mov_b64_e32 v[10:11], 0x5e5c878ddd2cf20b
	s_delay_alu instid0(VALU_DEP_4) | instskip(SKIP_1) | instid1(VALU_DEP_4)
	v_pk_fma_f32 v[8:9], v[4:5], v[8:9], v[16:17] op_sel_hi:[0,1,1]
	v_mov_b64_e32 v[16:17], 0x5e93bcac59515a15
	v_pk_fma_f32 v[6:7], v[4:5], v[6:7], v[12:13] op_sel_hi:[0,1,1]
	v_div_scale_f32 v13, null, v1, v1, -1.0
	s_delay_alu instid0(VALU_DEP_4) | instskip(NEXT) | instid1(VALU_DEP_3)
	v_pk_fma_f32 v[8:9], v[4:5], v[8:9], v[14:15] op_sel_hi:[0,1,1]
	v_pk_fma_f32 v[6:7], v[4:5], v[6:7], v[10:11] op_sel_hi:[0,1,1]
	v_cndmask_b32_e64 v10, 0, 32, s0
	s_delay_alu instid0(VALU_DEP_2) | instskip(NEXT) | instid1(VALU_DEP_2)
	v_div_scale_f32 v3, null, v7, v7, v6
	v_ldexp_f32 v10, v1, v10
	s_delay_alu instid0(VALU_DEP_2) | instskip(NEXT) | instid1(VALU_DEP_1)
	v_rcp_f32_e32 v11, v3
	v_log_f32_e32 v19, v10
	s_delay_alu instid0(TRANS32_DEP_2) | instskip(NEXT) | instid1(VALU_DEP_1)
	v_fma_f32 v14, -v3, v11, 1.0
	v_fmac_f32_e32 v11, v14, v11
	v_pk_fma_f32 v[8:9], v[4:5], v[8:9], v[16:17] op_sel_hi:[0,1,1]
	v_div_scale_f32 v16, vcc_lo, v6, v7, v6
	v_rcp_f32_e32 v14, v13
	s_delay_alu instid0(VALU_DEP_2) | instskip(SKIP_1) | instid1(VALU_DEP_2)
	v_div_scale_f32 v5, null, v9, v9, v8
	v_div_scale_f32 v17, s1, v8, v9, v8
	v_rcp_f32_e32 v12, v5
	s_delay_alu instid0(TRANS32_DEP_2) | instskip(NEXT) | instid1(VALU_DEP_1)
	v_fma_f32 v10, -v13, v14, 1.0
	v_fmac_f32_e32 v14, v10, v14
	s_delay_alu instid0(TRANS32_DEP_1) | instskip(NEXT) | instid1(VALU_DEP_1)
	v_fma_f32 v15, -v5, v12, 1.0
	v_dual_fmac_f32 v12, v15, v12 :: v_dual_mul_f32 v15, v16, v11
	s_delay_alu instid0(VALU_DEP_1) | instskip(NEXT) | instid1(VALU_DEP_1)
	v_dual_mul_f32 v18, v17, v12 :: v_dual_fma_f32 v20, -v3, v15, v16
	v_dual_fma_f32 v21, -v5, v18, v17 :: v_dual_fmac_f32 v15, v20, v11
	s_delay_alu instid0(VALU_DEP_1) | instskip(SKIP_1) | instid1(VALU_DEP_2)
	v_dual_fmac_f32 v18, v21, v12 :: v_dual_fma_f32 v3, -v3, v15, v16
	v_mul_f32_e32 v16, v22, v14
	v_fma_f32 v5, -v5, v18, v17
	s_delay_alu instid0(VALU_DEP_3) | instskip(SKIP_2) | instid1(VALU_DEP_3)
	v_div_fmas_f32 v3, v3, v11, v15
	s_mov_b32 vcc_lo, s1
	v_mov_b64_e32 v[10:11], 0xc16ae95ac244dfb3
	v_div_fmas_f32 v5, v5, v12, v18
	v_fma_f32 v12, -v13, v16, v22
	v_mul_f32_e32 v23, 0x3f317217, v19
	v_cmp_gt_f32_e64 vcc_lo, 0x7f800000, |v19|
	v_div_fixup_f32 v3, v3, v7, v6
	v_div_fixup_f32 v8, v5, v9, v8
	v_fmac_f32_e32 v16, v12, v14
	v_fma_f32 v20, 0x3f317217, v19, -v23
	v_pk_add_f32 v[4:5], v[4:5], v[10:11] op_sel_hi:[0,1]
	v_cndmask_b32_e64 v9, 0, 0x41b17218, s0
	v_mul_f32_e32 v8, v1, v8
	s_delay_alu instid0(VALU_DEP_1) | instskip(NEXT) | instid1(VALU_DEP_1)
	v_mul_f32_e32 v5, v5, v8
	v_dual_fmamk_f32 v15, v19, 0x3377d1cf, v20 :: v_dual_mul_f32 v4, v4, v5
	s_delay_alu instid0(VALU_DEP_1) | instskip(NEXT) | instid1(VALU_DEP_1)
	v_fmac_f32_e32 v15, 0x3f317217, v19
	v_dual_fma_f32 v10, -v13, v16, v22 :: v_dual_cndmask_b32 v11, v19, v15, vcc_lo
	s_mov_b32 vcc_lo, s2
	s_delay_alu instid0(VALU_DEP_1) | instskip(NEXT) | instid1(VALU_DEP_2)
	v_div_fmas_f32 v8, v10, v14, v16
	v_sub_f32_e32 v9, v11, v9
	s_delay_alu instid0(VALU_DEP_2) | instskip(NEXT) | instid1(VALU_DEP_1)
	v_div_fixup_f32 v5, v8, v1, -1.0
	v_fmac_f32_e32 v5, v9, v4
	s_delay_alu instid0(VALU_DEP_1) | instskip(NEXT) | instid1(VALU_DEP_1)
	v_mul_f32_e32 v4, 0x3f22f983, v5
	v_fmac_f32_e32 v4, v1, v3
.LBB22_317:
	s_or_b32 exec_lo, exec_lo, s27
.LBB22_318:
	s_delay_alu instid0(SALU_CYCLE_1)
	s_or_b32 exec_lo, exec_lo, s26
                                        ; implicit-def: $vgpr1
.LBB22_319:
	s_and_not1_saveexec_b32 s25, s25
	s_cbranch_execz .LBB22_330
; %bb.320:
	v_add_f32_e32 v3, 0xc016cbe4, v1
                                        ; implicit-def: $vgpr6
                                        ; implicit-def: $vgpr5
	s_delay_alu instid0(VALU_DEP_1) | instskip(SKIP_2) | instid1(SALU_CYCLE_1)
	v_and_b32_e32 v4, 0x7fffffff, v3
	v_cmp_ngt_f32_e64 s2, 0x48000000, |v3|
	s_and_saveexec_b32 s0, s2
	s_xor_b32 s26, exec_lo, s0
	s_cbranch_execz .LBB22_323
; %bb.321:
	s_mov_b32 s0, 0x7fffff
	v_mov_b32_e32 v7, 0
	v_and_or_b32 v6, v4, s0, 0x800000
	s_mov_b64 s[0:1], 0xfe5163ab
	v_lshrrev_b32_e32 v5, 23, v4
	s_delay_alu instid0(VALU_DEP_2) | instskip(NEXT) | instid1(VALU_DEP_1)
	v_mul_u64_e32 v[8:9], s[0:1], v[6:7]
	v_dual_mov_b32 v10, v9 :: v_dual_mov_b32 v11, v7
	v_dual_mov_b32 v13, v7 :: v_dual_mov_b32 v15, v7
	;; [unrolled: 1-line block ×3, first 2 shown]
	s_delay_alu instid0(VALU_DEP_3) | instskip(NEXT) | instid1(VALU_DEP_1)
	v_mad_nc_u64_u32 v[10:11], 0x3c439041, v6, v[10:11]
	v_mov_b32_e32 v12, v11
	s_delay_alu instid0(VALU_DEP_1) | instskip(NEXT) | instid1(VALU_DEP_1)
	v_mad_nc_u64_u32 v[12:13], 0xdb629599, v6, v[12:13]
	v_mov_b32_e32 v14, v13
	s_delay_alu instid0(VALU_DEP_1) | instskip(NEXT) | instid1(VALU_DEP_1)
	;; [unrolled: 3-line block ×3, first 2 shown]
	v_mad_nc_u64_u32 v[16:17], 0xfc2757d1, v6, v[16:17]
	v_dual_mov_b32 v19, v7 :: v_dual_mov_b32 v18, v17
	s_delay_alu instid0(VALU_DEP_1) | instskip(NEXT) | instid1(VALU_DEP_1)
	v_mad_nc_u64_u32 v[18:19], 0x4e441529, v6, v[18:19]
	v_dual_mov_b32 v20, v19 :: v_dual_add_nc_u32 v5, 0xffffff88, v5
	s_delay_alu instid0(VALU_DEP_1) | instskip(NEXT) | instid1(VALU_DEP_2)
	v_cmp_lt_u32_e32 vcc_lo, 63, v5
	v_mad_nc_u64_u32 v[6:7], 0xa2f9836e, v6, v[20:21]
	v_cndmask_b32_e64 v9, 0, 0xffffffc0, vcc_lo
	v_dual_cndmask_b32 v11, v18, v14 :: v_dual_cndmask_b32 v8, v12, v8
	s_delay_alu instid0(VALU_DEP_2) | instskip(NEXT) | instid1(VALU_DEP_1)
	v_add_nc_u32_e32 v5, v9, v5
	v_cmp_lt_u32_e64 s0, 31, v5
	v_dual_cndmask_b32 v6, v6, v16 :: v_dual_cndmask_b32 v7, v7, v18
	s_delay_alu instid0(VALU_DEP_2) | instskip(NEXT) | instid1(VALU_DEP_1)
	v_cndmask_b32_e64 v9, 0, 0xffffffe0, s0
	v_add_nc_u32_e32 v5, v9, v5
	s_delay_alu instid0(VALU_DEP_1) | instskip(NEXT) | instid1(VALU_DEP_1)
	v_cmp_lt_u32_e64 s1, 31, v5
	v_cndmask_b32_e64 v9, 0, 0xffffffe0, s1
	s_delay_alu instid0(VALU_DEP_1) | instskip(SKIP_2) | instid1(VALU_DEP_3)
	v_dual_cndmask_b32 v13, v16, v12, vcc_lo :: v_dual_add_nc_u32 v5, v9, v5
	v_cndmask_b32_e32 v9, v14, v10, vcc_lo
	v_dual_cndmask_b32 v10, v6, v11, s0 :: v_dual_cndmask_b32 v6, v7, v6, s0
	v_cndmask_b32_e64 v7, v11, v13, s0
	s_delay_alu instid0(VALU_DEP_4) | instskip(NEXT) | instid1(VALU_DEP_4)
	v_sub_nc_u32_e32 v11, 32, v5
	v_cndmask_b32_e64 v13, v13, v9, s0
	v_cmp_eq_u32_e32 vcc_lo, 0, v5
	v_cndmask_b32_e64 v6, v6, v10, s1
	s_delay_alu instid0(VALU_DEP_3) | instskip(NEXT) | instid1(VALU_DEP_1)
	v_dual_cndmask_b32 v10, v10, v7, s1 :: v_dual_cndmask_b32 v7, v7, v13, s1
	v_alignbit_b32 v14, v6, v10, v11
	s_delay_alu instid0(VALU_DEP_2) | instskip(NEXT) | instid1(VALU_DEP_2)
	v_alignbit_b32 v12, v10, v7, v11
	v_dual_cndmask_b32 v5, v14, v6, vcc_lo :: v_dual_cndmask_b32 v6, v9, v8, s0
	s_delay_alu instid0(VALU_DEP_1) | instskip(NEXT) | instid1(VALU_DEP_1)
	v_bfe_u32 v9, v5, 29, 1
	v_dual_cndmask_b32 v8, v12, v10, vcc_lo :: v_dual_sub_nc_u32 v12, 0, v9
	s_delay_alu instid0(VALU_DEP_1) | instskip(NEXT) | instid1(VALU_DEP_1)
	v_alignbit_b32 v10, v5, v8, 30
	v_dual_cndmask_b32 v6, v13, v6, s1 :: v_dual_bitop2_b32 v10, v10, v12 bitop3:0x14
	s_delay_alu instid0(VALU_DEP_1) | instskip(NEXT) | instid1(VALU_DEP_1)
	v_alignbit_b32 v11, v7, v6, v11
	v_cndmask_b32_e32 v7, v11, v7, vcc_lo
	s_delay_alu instid0(VALU_DEP_3) | instskip(NEXT) | instid1(VALU_DEP_2)
	v_clz_i32_u32_e32 v11, v10
	v_alignbit_b32 v6, v7, v6, 30
	s_delay_alu instid0(VALU_DEP_2) | instskip(NEXT) | instid1(VALU_DEP_2)
	v_min_u32_e32 v11, 32, v11
	v_xor_b32_e32 v6, v6, v12
	v_alignbit_b32 v8, v8, v7, 30
	s_delay_alu instid0(VALU_DEP_1) | instskip(SKIP_1) | instid1(VALU_DEP_1)
	v_dual_lshlrev_b32 v13, 23, v11 :: v_dual_bitop2_b32 v7, v8, v12 bitop3:0x14
	v_dual_sub_nc_u32 v8, 31, v11 :: v_dual_lshrrev_b32 v12, 29, v5
	v_alignbit_b32 v10, v10, v7, v8
	v_alignbit_b32 v6, v7, v6, v8
	s_delay_alu instid0(VALU_DEP_3) | instskip(NEXT) | instid1(VALU_DEP_2)
	v_lshlrev_b32_e32 v7, 31, v12
	v_alignbit_b32 v8, v10, v6, 9
	s_delay_alu instid0(VALU_DEP_2) | instskip(NEXT) | instid1(VALU_DEP_2)
	v_dual_lshrrev_b32 v10, 9, v10 :: v_dual_bitop2_b32 v12, 0.5, v7 bitop3:0x54
	v_clz_i32_u32_e32 v14, v8
	s_delay_alu instid0(VALU_DEP_2) | instskip(SKIP_1) | instid1(VALU_DEP_3)
	v_sub_nc_u32_e32 v12, v12, v13
	v_or_b32_e32 v7, 0x33000000, v7
	v_min_u32_e32 v13, 32, v14
	s_delay_alu instid0(VALU_DEP_1) | instskip(NEXT) | instid1(VALU_DEP_4)
	v_add_lshl_u32 v11, v13, v11, 23
	v_or_b32_e32 v10, v10, v12
	v_not_b32_e32 v12, v13
	s_delay_alu instid0(VALU_DEP_2) | instskip(NEXT) | instid1(VALU_DEP_2)
	v_dual_mul_f32 v14, 0x3fc90fda, v10 :: v_dual_sub_nc_u32 v7, v7, v11
	v_alignbit_b32 v6, v8, v6, v12
	s_delay_alu instid0(VALU_DEP_2) | instskip(NEXT) | instid1(VALU_DEP_2)
	v_fma_f32 v8, 0x3fc90fda, v10, -v14
	v_lshrrev_b32_e32 v6, 9, v6
	s_delay_alu instid0(VALU_DEP_2) | instskip(NEXT) | instid1(VALU_DEP_2)
	v_fmamk_f32 v8, v10, 0x33a22168, v8
	v_or_b32_e32 v6, v7, v6
	s_delay_alu instid0(VALU_DEP_1) | instskip(NEXT) | instid1(VALU_DEP_1)
	v_fmac_f32_e32 v8, 0x3fc90fda, v6
	v_dual_add_f32 v5, v14, v8 :: v_dual_lshrrev_b32 v6, 30, v5
	s_delay_alu instid0(VALU_DEP_1)
	v_add_nc_u32_e32 v6, v9, v6
	s_and_not1_saveexec_b32 s0, s26
	s_branch .LBB22_324
.LBB22_322:
	s_mov_b32 s2, -1
	s_mov_b32 s1, 0
	s_mov_b32 s24, s40
                                        ; implicit-def: $vgpr1
	s_branch .LBB22_491
.LBB22_323:
	s_and_not1_saveexec_b32 s0, s26
.LBB22_324:
	v_mul_f32_e64 v5, 0x3f22f983, |v3|
	s_delay_alu instid0(VALU_DEP_1) | instskip(NEXT) | instid1(VALU_DEP_1)
	v_rndne_f32_e32 v6, v5
	v_fma_f32 v5, 0xbfc90fda, v6, |v3|
	s_delay_alu instid0(VALU_DEP_1) | instskip(NEXT) | instid1(VALU_DEP_1)
	v_fmamk_f32 v5, v6, 0xb3a22168, v5
	v_fmamk_f32 v5, v6, 0xa7c234c4, v5
	v_cvt_i32_f32_e32 v6, v6
; %bb.325:
	s_or_b32 exec_lo, exec_lo, s0
                                        ; implicit-def: $vgpr8
                                        ; implicit-def: $vgpr7
	s_and_saveexec_b32 s0, s2
	s_delay_alu instid0(SALU_CYCLE_1)
	s_xor_b32 s2, exec_lo, s0
	s_cbranch_execz .LBB22_327
; %bb.326:
	s_mov_b32 s0, 0x7fffff
	v_mov_b32_e32 v9, 0
	v_and_or_b32 v8, v4, s0, 0x800000
	s_mov_b64 s[0:1], 0xfe5163ab
	v_lshrrev_b32_e32 v7, 23, v4
	s_delay_alu instid0(VALU_DEP_2) | instskip(NEXT) | instid1(VALU_DEP_1)
	v_mul_u64_e32 v[10:11], s[0:1], v[8:9]
	v_dual_mov_b32 v12, v11 :: v_dual_mov_b32 v13, v9
	v_dual_mov_b32 v15, v9 :: v_dual_mov_b32 v17, v9
	;; [unrolled: 1-line block ×3, first 2 shown]
	s_delay_alu instid0(VALU_DEP_3) | instskip(NEXT) | instid1(VALU_DEP_1)
	v_mad_nc_u64_u32 v[12:13], 0x3c439041, v8, v[12:13]
	v_mov_b32_e32 v14, v13
	s_delay_alu instid0(VALU_DEP_1) | instskip(NEXT) | instid1(VALU_DEP_1)
	v_mad_nc_u64_u32 v[14:15], 0xdb629599, v8, v[14:15]
	v_mov_b32_e32 v16, v15
	s_delay_alu instid0(VALU_DEP_1) | instskip(NEXT) | instid1(VALU_DEP_1)
	;; [unrolled: 3-line block ×3, first 2 shown]
	v_mad_nc_u64_u32 v[18:19], 0xfc2757d1, v8, v[18:19]
	v_dual_mov_b32 v21, v9 :: v_dual_mov_b32 v20, v19
	s_delay_alu instid0(VALU_DEP_1) | instskip(NEXT) | instid1(VALU_DEP_1)
	v_mad_nc_u64_u32 v[20:21], 0x4e441529, v8, v[20:21]
	v_dual_mov_b32 v22, v21 :: v_dual_add_nc_u32 v7, 0xffffff88, v7
	s_delay_alu instid0(VALU_DEP_1) | instskip(NEXT) | instid1(VALU_DEP_2)
	v_cmp_lt_u32_e32 vcc_lo, 63, v7
	v_mad_nc_u64_u32 v[8:9], 0xa2f9836e, v8, v[22:23]
	v_cndmask_b32_e64 v11, 0, 0xffffffc0, vcc_lo
	v_dual_cndmask_b32 v13, v20, v16 :: v_dual_cndmask_b32 v10, v14, v10
	s_delay_alu instid0(VALU_DEP_2) | instskip(NEXT) | instid1(VALU_DEP_1)
	v_add_nc_u32_e32 v7, v11, v7
	v_cmp_lt_u32_e64 s0, 31, v7
	v_dual_cndmask_b32 v8, v8, v18 :: v_dual_cndmask_b32 v9, v9, v20
	s_delay_alu instid0(VALU_DEP_2) | instskip(NEXT) | instid1(VALU_DEP_1)
	v_cndmask_b32_e64 v11, 0, 0xffffffe0, s0
	v_add_nc_u32_e32 v7, v11, v7
	s_delay_alu instid0(VALU_DEP_1) | instskip(NEXT) | instid1(VALU_DEP_1)
	v_cmp_lt_u32_e64 s1, 31, v7
	v_cndmask_b32_e64 v11, 0, 0xffffffe0, s1
	s_delay_alu instid0(VALU_DEP_1) | instskip(SKIP_2) | instid1(VALU_DEP_3)
	v_dual_cndmask_b32 v15, v18, v14, vcc_lo :: v_dual_add_nc_u32 v7, v11, v7
	v_cndmask_b32_e32 v11, v16, v12, vcc_lo
	v_dual_cndmask_b32 v12, v8, v13, s0 :: v_dual_cndmask_b32 v8, v9, v8, s0
	v_cndmask_b32_e64 v9, v13, v15, s0
	s_delay_alu instid0(VALU_DEP_4) | instskip(NEXT) | instid1(VALU_DEP_4)
	v_sub_nc_u32_e32 v13, 32, v7
	v_cndmask_b32_e64 v15, v15, v11, s0
	v_cmp_eq_u32_e32 vcc_lo, 0, v7
	v_cndmask_b32_e64 v8, v8, v12, s1
	s_delay_alu instid0(VALU_DEP_3) | instskip(NEXT) | instid1(VALU_DEP_1)
	v_dual_cndmask_b32 v12, v12, v9, s1 :: v_dual_cndmask_b32 v9, v9, v15, s1
	v_alignbit_b32 v16, v8, v12, v13
	s_delay_alu instid0(VALU_DEP_2) | instskip(NEXT) | instid1(VALU_DEP_2)
	v_alignbit_b32 v14, v12, v9, v13
	v_dual_cndmask_b32 v7, v16, v8, vcc_lo :: v_dual_cndmask_b32 v8, v11, v10, s0
	s_delay_alu instid0(VALU_DEP_1) | instskip(NEXT) | instid1(VALU_DEP_1)
	v_bfe_u32 v11, v7, 29, 1
	v_dual_cndmask_b32 v10, v14, v12, vcc_lo :: v_dual_sub_nc_u32 v14, 0, v11
	s_delay_alu instid0(VALU_DEP_1) | instskip(NEXT) | instid1(VALU_DEP_1)
	v_alignbit_b32 v12, v7, v10, 30
	v_dual_cndmask_b32 v8, v15, v8, s1 :: v_dual_bitop2_b32 v12, v12, v14 bitop3:0x14
	s_delay_alu instid0(VALU_DEP_1) | instskip(NEXT) | instid1(VALU_DEP_1)
	v_alignbit_b32 v13, v9, v8, v13
	v_cndmask_b32_e32 v9, v13, v9, vcc_lo
	s_delay_alu instid0(VALU_DEP_3) | instskip(NEXT) | instid1(VALU_DEP_2)
	v_clz_i32_u32_e32 v13, v12
	v_alignbit_b32 v8, v9, v8, 30
	s_delay_alu instid0(VALU_DEP_2) | instskip(NEXT) | instid1(VALU_DEP_2)
	v_min_u32_e32 v13, 32, v13
	v_xor_b32_e32 v8, v8, v14
	v_alignbit_b32 v10, v10, v9, 30
	s_delay_alu instid0(VALU_DEP_1) | instskip(SKIP_1) | instid1(VALU_DEP_1)
	v_dual_lshlrev_b32 v15, 23, v13 :: v_dual_bitop2_b32 v9, v10, v14 bitop3:0x14
	v_dual_sub_nc_u32 v10, 31, v13 :: v_dual_lshrrev_b32 v14, 29, v7
	v_alignbit_b32 v12, v12, v9, v10
	v_alignbit_b32 v8, v9, v8, v10
	s_delay_alu instid0(VALU_DEP_3) | instskip(NEXT) | instid1(VALU_DEP_2)
	v_lshlrev_b32_e32 v9, 31, v14
	v_alignbit_b32 v10, v12, v8, 9
	s_delay_alu instid0(VALU_DEP_2) | instskip(NEXT) | instid1(VALU_DEP_2)
	v_dual_lshrrev_b32 v12, 9, v12 :: v_dual_bitop2_b32 v14, 0.5, v9 bitop3:0x54
	v_clz_i32_u32_e32 v16, v10
	s_delay_alu instid0(VALU_DEP_2) | instskip(SKIP_1) | instid1(VALU_DEP_3)
	v_sub_nc_u32_e32 v14, v14, v15
	v_or_b32_e32 v9, 0x33000000, v9
	v_min_u32_e32 v15, 32, v16
	s_delay_alu instid0(VALU_DEP_1) | instskip(NEXT) | instid1(VALU_DEP_4)
	v_add_lshl_u32 v13, v15, v13, 23
	v_or_b32_e32 v12, v12, v14
	v_not_b32_e32 v14, v15
	s_delay_alu instid0(VALU_DEP_2) | instskip(NEXT) | instid1(VALU_DEP_2)
	v_dual_mul_f32 v16, 0x3fc90fda, v12 :: v_dual_sub_nc_u32 v9, v9, v13
	v_alignbit_b32 v8, v10, v8, v14
	s_delay_alu instid0(VALU_DEP_2) | instskip(NEXT) | instid1(VALU_DEP_2)
	v_fma_f32 v10, 0x3fc90fda, v12, -v16
	v_lshrrev_b32_e32 v8, 9, v8
	s_delay_alu instid0(VALU_DEP_2) | instskip(NEXT) | instid1(VALU_DEP_2)
	v_fmamk_f32 v10, v12, 0x33a22168, v10
	v_or_b32_e32 v8, v9, v8
	s_delay_alu instid0(VALU_DEP_1) | instskip(NEXT) | instid1(VALU_DEP_1)
	v_fmac_f32_e32 v10, 0x3fc90fda, v8
	v_dual_add_f32 v7, v16, v10 :: v_dual_lshrrev_b32 v8, 30, v7
	s_delay_alu instid0(VALU_DEP_1)
	v_add_nc_u32_e32 v8, v11, v8
	s_and_not1_saveexec_b32 s0, s2
	s_cbranch_execnz .LBB22_328
	s_branch .LBB22_329
.LBB22_327:
	s_and_not1_saveexec_b32 s0, s2
.LBB22_328:
	v_mul_f32_e64 v7, 0x3f22f983, |v3|
	s_delay_alu instid0(VALU_DEP_1) | instskip(NEXT) | instid1(VALU_DEP_1)
	v_rndne_f32_e32 v8, v7
	v_fma_f32 v7, 0xbfc90fda, v8, |v3|
	s_delay_alu instid0(VALU_DEP_1) | instskip(NEXT) | instid1(VALU_DEP_1)
	v_fmamk_f32 v7, v8, 0xb3a22168, v7
	v_fmamk_f32 v7, v8, 0xa7c234c4, v7
	v_cvt_i32_f32_e32 v8, v8
.LBB22_329:
	s_or_b32 exec_lo, exec_lo, s0
	v_div_scale_f32 v9, null, v1, v1, 0x40a00000
	v_div_scale_f32 v12, vcc_lo, 0x40a00000, v1, 0x40a00000
	s_mov_b32 s0, 0xb94c1982
	v_rcp_f32_e32 v10, v9
	s_mov_b32 s1, 0x37d75334
	v_xor_b32_e32 v4, v4, v3
	v_and_b32_e32 v14, 1, v8
	s_delay_alu instid0(TRANS32_DEP_1) | instskip(NEXT) | instid1(VALU_DEP_1)
	v_fma_f32 v11, -v9, v10, 1.0
	v_fmac_f32_e32 v10, v11, v10
	s_delay_alu instid0(VALU_DEP_1) | instskip(NEXT) | instid1(VALU_DEP_1)
	v_mul_f32_e32 v11, v12, v10
	v_fma_f32 v13, -v9, v11, v12
	s_delay_alu instid0(VALU_DEP_1) | instskip(NEXT) | instid1(VALU_DEP_1)
	v_dual_fmac_f32 v11, v13, v10 :: v_dual_mul_f32 v13, v7, v7
	v_fma_f32 v9, -v9, v11, v12
	s_delay_alu instid0(VALU_DEP_2) | instskip(SKIP_1) | instid1(VALU_DEP_3)
	v_fmaak_f32 v22, s0, v13, 0x3c0881c4
	v_fmaak_f32 v23, s1, v13, 0xbab64f3b
	v_div_fmas_f32 v9, v9, v10, v11
	v_dual_mul_f32 v10, v5, v5 :: v_dual_bitop2_b32 v11, 1, v6 bitop3:0x40
	s_delay_alu instid0(VALU_DEP_4) | instskip(NEXT) | instid1(VALU_DEP_4)
	v_fmaak_f32 v22, v13, v22, 0xbe2aaa9d
	v_fmaak_f32 v23, v13, v23, 0x3d2aabf7
	s_delay_alu instid0(VALU_DEP_4) | instskip(NEXT) | instid1(VALU_DEP_4)
	v_div_fixup_f32 v9, v9, v1, 0x40a00000
	v_fmaak_f32 v20, s0, v10, 0x3c0881c4
	v_cmp_gt_f32_e64 s0, 0xf800000, v1
	v_cmp_eq_u32_e64 s2, 0, v11
	v_fmaak_f32 v23, v13, v23, 0xbf000004
	v_dual_mul_f32 v12, v9, v9 :: v_dual_lshlrev_b32 v6, 30, v6
	v_fmaak_f32 v20, v10, v20, 0xbe2aaa9d
	v_dual_mul_f32 v19, 0x4f800000, v1 :: v_dual_mul_f32 v22, v13, v22
	s_delay_alu instid0(VALU_DEP_3) | instskip(SKIP_1) | instid1(VALU_DEP_3)
	v_fmaak_f32 v15, 0, v12, 0x3d513fd3
	v_fmaak_f32 v16, 0, v12, 0x3a15c4d9
	v_dual_mul_f32 v20, v10, v20 :: v_dual_cndmask_b32 v1, v1, v19, s0
	s_delay_alu instid0(VALU_DEP_3) | instskip(NEXT) | instid1(VALU_DEP_3)
	v_dual_fmaak_f32 v15, v12, v15, 0x409f6dae :: v_dual_lshlrev_b32 v8, 30, v8
	v_dual_fmaak_f32 v16, v12, v16, 0x3d8cfeeb :: v_dual_fmac_f32 v7, v7, v22
	s_delay_alu instid0(VALU_DEP_3) | instskip(SKIP_2) | instid1(VALU_DEP_3)
	v_sqrt_f32_e32 v26, v1
	v_fmaak_f32 v18, 0, v12, 0x3a47c962
	v_fmaak_f32 v17, 0, v12, 0x42947983
	;; [unrolled: 1-line block ×3, first 2 shown]
	v_fmac_f32_e32 v5, v5, v20
	v_fma_f32 v13, v13, v23, 1.0
	v_and_b32_e32 v6, 0x80000000, v6
	v_add_nc_u32_e32 v31, 1, v26
	v_fmaak_f32 v18, v12, v18, 0x3d95ca45
	v_fmaak_f32 v16, v12, v16, 0x40a25d18
	;; [unrolled: 1-line block ×3, first 2 shown]
	s_delay_alu instid0(VALU_DEP_3) | instskip(NEXT) | instid1(VALU_DEP_3)
	v_fmaak_f32 v18, v12, v18, 0x3f9047f6
	v_fmaak_f32 v16, v12, v16, 0x410665cf
	s_delay_alu instid0(VALU_DEP_3) | instskip(NEXT) | instid1(VALU_DEP_3)
	v_fmaak_f32 v17, v12, v17, 0x459bd349
	v_fmaak_f32 v18, v12, v18, 0x40a39628
	;; [unrolled: 3-line block ×3, first 2 shown]
	s_delay_alu instid0(VALU_DEP_3) | instskip(NEXT) | instid1(VALU_DEP_3)
	v_fmaak_f32 v18, v12, v18, 0x4106c8e4
	v_fma_f32 v16, v12, v16, 1.0
	s_delay_alu instid0(VALU_DEP_3) | instskip(NEXT) | instid1(VALU_DEP_3)
	v_fmaak_f32 v17, v12, v17, 0x45f9e855
	v_fmaak_f32 v18, v12, v18, 0x40a6dd51
	s_delay_alu instid0(VALU_DEP_2) | instskip(NEXT) | instid1(VALU_DEP_2)
	v_fmaak_f32 v17, v12, v17, 0x4530a316
	v_fma_f32 v18, v12, v18, 1.0
	s_delay_alu instid0(VALU_DEP_2) | instskip(NEXT) | instid1(VALU_DEP_2)
	v_fmaak_f32 v17, v12, v17, 0x43a80bfb
	v_div_scale_f32 v29, vcc_lo, v18, v16, v18
	v_fmaak_f32 v15, v12, v15, 0x4297a5cd
	s_delay_alu instid0(VALU_DEP_1) | instskip(NEXT) | instid1(VALU_DEP_1)
	v_fmaak_f32 v15, v12, v15, 0x43b763ca
	v_fmaak_f32 v15, v12, v15, 0x4431b6ce
	s_delay_alu instid0(VALU_DEP_1) | instskip(NEXT) | instid1(VALU_DEP_1)
	v_fmaak_f32 v15, v12, v15, 0x44155f56
	v_fmaak_f32 v15, v12, v15, 0x4353b052
	s_delay_alu instid0(VALU_DEP_1) | instskip(SKIP_1) | instid1(VALU_DEP_2)
	v_fmaak_f32 v12, v12, v15, 0x41c9a7fa
	v_div_scale_f32 v15, null, v16, v16, v18
	v_div_scale_f32 v19, null, v17, v17, v12
	s_delay_alu instid0(VALU_DEP_2) | instskip(NEXT) | instid1(VALU_DEP_1)
	v_rcp_f32_e32 v24, v15
	v_rcp_f32_e32 v25, v19
	s_delay_alu instid0(TRANS32_DEP_2) | instskip(NEXT) | instid1(TRANS32_DEP_1)
	v_fma_f32 v27, -v15, v24, 1.0
	v_fma_f32 v28, -v19, v25, 1.0
	s_delay_alu instid0(VALU_DEP_1) | instskip(NEXT) | instid1(VALU_DEP_1)
	v_dual_fmac_f32 v24, v27, v24 :: v_dual_fmac_f32 v25, v28, v25
	v_dual_add_nc_u32 v28, -1, v26 :: v_dual_mul_f32 v30, v29, v24
	s_delay_alu instid0(VALU_DEP_1) | instskip(SKIP_2) | instid1(VALU_DEP_4)
	v_fma_f32 v20, -v15, v30, v29
	v_fmaak_f32 v21, s1, v10, 0xbab64f3b
	v_div_scale_f32 v27, s1, v12, v17, v12
	v_fma_f32 v22, -v28, v26, v1
	s_delay_alu instid0(VALU_DEP_3) | instskip(NEXT) | instid1(VALU_DEP_3)
	v_dual_fmac_f32 v30, v20, v24 :: v_dual_fmaak_f32 v21, v10, v21, 0x3d2aabf7
	v_mul_f32_e32 v32, v27, v25
	s_delay_alu instid0(VALU_DEP_2) | instskip(NEXT) | instid1(VALU_DEP_1)
	v_fmaak_f32 v21, v10, v21, 0xbf000004
	v_fma_f32 v10, v10, v21, 1.0
	s_delay_alu instid0(VALU_DEP_3) | instskip(NEXT) | instid1(VALU_DEP_2)
	v_fma_f32 v21, -v19, v32, v27
	v_dual_fma_f32 v20, -v31, v26, v1 :: v_dual_cndmask_b32 v5, v10, v5, s2
	s_delay_alu instid0(VALU_DEP_2) | instskip(SKIP_1) | instid1(VALU_DEP_3)
	v_dual_fmac_f32 v32, v21, v25 :: v_dual_fma_f32 v10, -v15, v30, v29
	v_cmp_eq_u32_e64 s2, 0, v14
	v_xor3_b32 v4, v4, v6, v5
	s_delay_alu instid0(VALU_DEP_3) | instskip(NEXT) | instid1(VALU_DEP_4)
	v_fma_f32 v11, -v19, v32, v27
	v_div_fmas_f32 v10, v10, v24, v30
	s_mov_b32 vcc_lo, s1
	v_cndmask_b32_e64 v7, -v7, v13, s2
	v_cmp_lt_f32_e64 s1, 0, v20
	v_div_fmas_f32 v11, v11, v25, v32
	v_cmp_ge_f32_e32 vcc_lo, 0, v22
	s_delay_alu instid0(VALU_DEP_2)
	v_div_fixup_f32 v5, v11, v17, v12
	v_cndmask_b32_e32 v13, v26, v28, vcc_lo
	v_cmp_class_f32_e64 vcc_lo, v3, 0x1f8
	v_bitop3_b32 v3, v8, v7, 0x80000000 bitop3:0x6c
	v_div_fixup_f32 v8, v10, v16, v18
	v_mul_f32_e32 v5, v9, v5
	v_cndmask_b32_e64 v6, v13, v31, s1
	v_cndmask_b32_e32 v4, 0x7fc00000, v4, vcc_lo
	v_cndmask_b32_e32 v3, 0x7fc00000, v3, vcc_lo
	v_cmp_class_f32_e64 vcc_lo, v1, 0x260
	s_delay_alu instid0(VALU_DEP_4) | instskip(NEXT) | instid1(VALU_DEP_3)
	v_mul_f32_e32 v7, 0x37800000, v6
	v_mul_f32_e32 v3, v5, v3
	s_delay_alu instid0(VALU_DEP_1) | instskip(NEXT) | instid1(VALU_DEP_1)
	v_dual_cndmask_b32 v5, v6, v7, s0 :: v_dual_fmac_f32 v3, v8, v4
	v_cndmask_b32_e32 v1, v5, v1, vcc_lo
	s_delay_alu instid0(VALU_DEP_2) | instskip(NEXT) | instid1(VALU_DEP_1)
	v_mul_f32_e32 v3, 0x3f4c422a, v3
	v_div_scale_f32 v4, null, v1, v1, v3
	s_delay_alu instid0(VALU_DEP_1) | instskip(SKIP_1) | instid1(TRANS32_DEP_1)
	v_rcp_f32_e32 v5, v4
	v_nop
	v_fma_f32 v6, -v4, v5, 1.0
	s_delay_alu instid0(VALU_DEP_1) | instskip(SKIP_1) | instid1(VALU_DEP_1)
	v_fmac_f32_e32 v5, v6, v5
	v_div_scale_f32 v6, vcc_lo, v3, v1, v3
	v_mul_f32_e32 v7, v6, v5
	s_delay_alu instid0(VALU_DEP_1) | instskip(NEXT) | instid1(VALU_DEP_1)
	v_fma_f32 v8, -v4, v7, v6
	v_fmac_f32_e32 v7, v8, v5
	s_delay_alu instid0(VALU_DEP_1) | instskip(NEXT) | instid1(VALU_DEP_1)
	v_fma_f32 v4, -v4, v7, v6
	v_div_fmas_f32 v4, v4, v5, v7
	s_delay_alu instid0(VALU_DEP_1)
	v_div_fixup_f32 v4, v4, v1, v3
.LBB22_330:
	s_or_b32 exec_lo, exec_lo, s25
	v_mov_b32_e32 v3, 0
	s_and_b32 s1, s34, 0xff
	s_delay_alu instid0(SALU_CYCLE_1) | instskip(NEXT) | instid1(VALU_DEP_1)
	s_cmp_lt_i32 s1, 11
	v_add_nc_u64_e32 v[2:3], s[4:5], v[2:3]
	s_cbranch_scc1 .LBB22_337
; %bb.331:
	s_and_b32 s2, 0xffff, s1
	s_delay_alu instid0(SALU_CYCLE_1)
	s_cmp_gt_i32 s2, 25
	s_cbranch_scc0 .LBB22_339
; %bb.332:
	s_cmp_gt_i32 s2, 28
	s_cbranch_scc0 .LBB22_341
; %bb.333:
	;; [unrolled: 3-line block ×4, first 2 shown]
	s_mov_b32 s26, 0
	s_mov_b32 s0, -1
	s_cmp_eq_u32 s2, 46
	s_mov_b32 s25, 0
	s_cbranch_scc0 .LBB22_354
; %bb.336:
	v_bfe_u32 v1, v4, 16, 1
	v_cmp_o_f32_e32 vcc_lo, v4, v4
	s_mov_b32 s25, -1
	s_mov_b32 s0, 0
	s_delay_alu instid0(VALU_DEP_2) | instskip(NEXT) | instid1(VALU_DEP_1)
	v_add3_u32 v1, v4, v1, 0x7fff
	v_lshrrev_b32_e32 v1, 16, v1
	s_delay_alu instid0(VALU_DEP_1)
	v_cndmask_b32_e32 v1, 0x7fc0, v1, vcc_lo
	global_store_b32 v[2:3], v1, off
	s_branch .LBB22_354
.LBB22_337:
	s_mov_b32 s2, -1
	s_mov_b32 s25, 0
	s_mov_b32 s0, s39
	s_branch .LBB22_423
.LBB22_338:
	s_mov_b32 s2, -1
	s_mov_b32 s1, 0
	s_mov_b32 s24, s40
                                        ; implicit-def: $vgpr1
	s_branch .LBB22_472
.LBB22_339:
	s_mov_b32 s26, -1
	s_mov_b32 s25, 0
	s_mov_b32 s0, s39
	s_branch .LBB22_381
.LBB22_340:
	s_mov_b32 s2, -1
	s_mov_b32 s1, 0
	s_mov_b32 s24, s40
                                        ; implicit-def: $vgpr1
	s_branch .LBB22_467
.LBB22_341:
	s_mov_b32 s26, -1
	s_mov_b32 s25, 0
	s_mov_b32 s0, s39
	s_branch .LBB22_364
.LBB22_342:
	s_and_not1_saveexec_b32 s27, s27
	s_cbranch_execz .LBB22_85
.LBB22_343:
	v_add_f32_e64 v1, 0x46000000, |v4|
	s_and_not1_b32 s26, s26, exec_lo
	s_delay_alu instid0(VALU_DEP_1) | instskip(NEXT) | instid1(VALU_DEP_1)
	v_and_b32_e32 v1, 0xff, v1
	v_cmp_ne_u32_e32 vcc_lo, 0, v1
	s_and_b32 s39, vcc_lo, exec_lo
	s_delay_alu instid0(SALU_CYCLE_1)
	s_or_b32 s26, s26, s39
	s_or_b32 exec_lo, exec_lo, s27
	v_mov_b32_e32 v5, 0
	s_and_saveexec_b32 s27, s26
	s_cbranch_execnz .LBB22_86
	s_branch .LBB22_87
.LBB22_344:
	s_mov_b32 s2, -1
	s_mov_b32 s1, 0
	s_mov_b32 s24, s40
	s_branch .LBB22_349
.LBB22_345:
	s_mov_b32 s26, -1
	s_mov_b32 s25, 0
	s_mov_b32 s0, s39
	s_branch .LBB22_360
.LBB22_346:
	s_and_not1_saveexec_b32 s27, s27
	s_cbranch_execz .LBB22_98
.LBB22_347:
	v_add_f32_e64 v1, 0x42800000, |v4|
	s_and_not1_b32 s26, s26, exec_lo
	s_delay_alu instid0(VALU_DEP_1) | instskip(NEXT) | instid1(VALU_DEP_1)
	v_and_b32_e32 v1, 0xff, v1
	v_cmp_ne_u32_e32 vcc_lo, 0, v1
	s_and_b32 s39, vcc_lo, exec_lo
	s_delay_alu instid0(SALU_CYCLE_1)
	s_or_b32 s26, s26, s39
	s_or_b32 exec_lo, exec_lo, s27
	v_mov_b32_e32 v5, 0
	s_and_saveexec_b32 s27, s26
	s_cbranch_execnz .LBB22_99
	s_branch .LBB22_100
.LBB22_348:
	s_mov_b32 s24, -1
	s_mov_b32 s1, 0
.LBB22_349:
                                        ; implicit-def: $vgpr1
.LBB22_350:
	s_and_b32 vcc_lo, exec_lo, s2
	s_cbranch_vccz .LBB22_466
; %bb.351:
	s_cmp_eq_u32 s0, 44
	s_cbranch_scc0 .LBB22_465
; %bb.352:
	s_wait_loadcnt 0x0
	global_load_u8 v1, v[4:5], off
	s_mov_b32 s24, 0
	s_mov_b32 s1, -1
	s_wait_loadcnt 0x0
	v_lshlrev_b32_e32 v3, 23, v1
	v_cmp_ne_u32_e32 vcc_lo, 0xff, v1
	s_delay_alu instid0(VALU_DEP_2) | instskip(SKIP_1) | instid1(VALU_DEP_2)
	v_cndmask_b32_e32 v3, 0x7f800001, v3, vcc_lo
	v_cmp_ne_u32_e32 vcc_lo, 0, v1
	v_cndmask_b32_e32 v1, 0x400000, v3, vcc_lo
	s_branch .LBB22_466
.LBB22_353:
	s_mov_b32 s26, -1
	s_mov_b32 s25, 0
	s_mov_b32 s0, s39
.LBB22_354:
	s_and_b32 vcc_lo, exec_lo, s26
	s_cbranch_vccz .LBB22_359
; %bb.355:
	s_cmp_eq_u32 s2, 44
	s_mov_b32 s0, -1
	s_cbranch_scc0 .LBB22_359
; %bb.356:
	v_bfe_u32 v5, v4, 23, 8
	s_wait_xcnt 0x0
	v_mov_b32_e32 v1, 0xff
	s_mov_b32 s25, exec_lo
	s_delay_alu instid0(VALU_DEP_2)
	v_cmpx_ne_u32_e32 0xff, v5
	s_cbranch_execz .LBB22_358
; %bb.357:
	v_and_b32_e32 v1, 0x400000, v4
	v_and_or_b32 v5, 0x3fffff, v4, v5
	s_delay_alu instid0(VALU_DEP_2) | instskip(NEXT) | instid1(VALU_DEP_2)
	v_cmp_ne_u32_e32 vcc_lo, 0, v1
	v_cmp_ne_u32_e64 s0, 0, v5
	v_lshrrev_b32_e32 v1, 23, v4
	s_and_b32 s0, vcc_lo, s0
	s_delay_alu instid0(SALU_CYCLE_1) | instskip(NEXT) | instid1(VALU_DEP_1)
	v_cndmask_b32_e64 v5, 0, 1, s0
	v_add_nc_u32_e32 v1, v1, v5
.LBB22_358:
	s_or_b32 exec_lo, exec_lo, s25
	s_mov_b32 s25, -1
	s_mov_b32 s0, 0
	global_store_b8 v[2:3], v1, off
.LBB22_359:
	s_mov_b32 s26, 0
.LBB22_360:
	s_delay_alu instid0(SALU_CYCLE_1)
	s_and_b32 vcc_lo, exec_lo, s26
	s_cbranch_vccz .LBB22_363
; %bb.361:
	s_cmp_eq_u32 s2, 29
	s_mov_b32 s0, -1
	s_cbranch_scc0 .LBB22_363
; %bb.362:
	s_wait_xcnt 0x0
	v_trunc_f32_e32 v1, v4
	s_mov_b32 s25, -1
	s_mov_b32 s0, 0
	s_mov_b32 s26, 0
	s_delay_alu instid0(VALU_DEP_1) | instskip(NEXT) | instid1(VALU_DEP_1)
	v_mul_f32_e32 v5, 0x2f800000, v1
	v_floor_f32_e32 v5, v5
	s_delay_alu instid0(VALU_DEP_1) | instskip(SKIP_1) | instid1(VALU_DEP_2)
	v_fmamk_f32 v1, v5, 0xcf800000, v1
	v_cvt_u32_f32_e32 v7, v5
	v_cvt_u32_f32_e32 v6, v1
	global_store_b64 v[2:3], v[6:7], off
	s_branch .LBB22_364
.LBB22_363:
	s_mov_b32 s26, 0
.LBB22_364:
	s_delay_alu instid0(SALU_CYCLE_1)
	s_and_b32 vcc_lo, exec_lo, s26
	s_cbranch_vccz .LBB22_380
; %bb.365:
	s_cmp_lt_i32 s2, 27
	s_mov_b32 s25, -1
	s_cbranch_scc1 .LBB22_371
; %bb.366:
	s_wait_xcnt 0x0
	v_cvt_u32_f32_e32 v1, v4
	s_cmp_gt_i32 s2, 27
	s_cbranch_scc0 .LBB22_368
; %bb.367:
	s_mov_b32 s25, 0
	global_store_b32 v[2:3], v1, off
.LBB22_368:
	s_and_not1_b32 vcc_lo, exec_lo, s25
	s_cbranch_vccnz .LBB22_370
; %bb.369:
	global_store_b16 v[2:3], v1, off
.LBB22_370:
	s_mov_b32 s25, 0
.LBB22_371:
	s_delay_alu instid0(SALU_CYCLE_1)
	s_and_not1_b32 vcc_lo, exec_lo, s25
	s_cbranch_vccnz .LBB22_379
; %bb.372:
	s_wait_xcnt 0x0
	v_and_b32_e32 v1, 0x7fffffff, v4
	v_mov_b32_e32 v5, 0x80
	s_mov_b32 s25, exec_lo
	s_delay_alu instid0(VALU_DEP_2)
	v_cmpx_gt_u32_e32 0x43800000, v1
	s_cbranch_execz .LBB22_378
; %bb.373:
	v_cmp_lt_u32_e32 vcc_lo, 0x3bffffff, v1
	s_mov_b32 s26, 0
                                        ; implicit-def: $vgpr1
	s_and_saveexec_b32 s27, vcc_lo
	s_delay_alu instid0(SALU_CYCLE_1)
	s_xor_b32 s27, exec_lo, s27
	s_cbranch_execz .LBB22_608
; %bb.374:
	v_bfe_u32 v1, v4, 20, 1
	s_mov_b32 s26, exec_lo
	s_delay_alu instid0(VALU_DEP_1) | instskip(NEXT) | instid1(VALU_DEP_1)
	v_add3_u32 v1, v4, v1, 0x487ffff
	v_lshrrev_b32_e32 v1, 20, v1
	s_and_not1_saveexec_b32 s27, s27
	s_cbranch_execnz .LBB22_609
.LBB22_375:
	s_or_b32 exec_lo, exec_lo, s27
	v_mov_b32_e32 v5, 0
	s_and_saveexec_b32 s27, s26
.LBB22_376:
	v_lshrrev_b32_e32 v5, 24, v4
	s_delay_alu instid0(VALU_DEP_1)
	v_and_or_b32 v5, 0x80, v5, v1
.LBB22_377:
	s_or_b32 exec_lo, exec_lo, s27
.LBB22_378:
	s_delay_alu instid0(SALU_CYCLE_1)
	s_or_b32 exec_lo, exec_lo, s25
	global_store_b8 v[2:3], v5, off
.LBB22_379:
	s_mov_b32 s25, -1
.LBB22_380:
	s_mov_b32 s26, 0
.LBB22_381:
	s_delay_alu instid0(SALU_CYCLE_1)
	s_and_b32 vcc_lo, exec_lo, s26
	s_cbranch_vccz .LBB22_422
; %bb.382:
	s_cmp_gt_i32 s2, 22
	s_mov_b32 s26, -1
	s_cbranch_scc0 .LBB22_414
; %bb.383:
	s_cmp_lt_i32 s2, 24
	s_mov_b32 s25, -1
	s_cbranch_scc1 .LBB22_403
; %bb.384:
	s_cmp_gt_i32 s2, 24
	s_cbranch_scc0 .LBB22_392
; %bb.385:
	s_wait_xcnt 0x0
	v_and_b32_e32 v1, 0x7fffffff, v4
	v_mov_b32_e32 v5, 0x80
	s_mov_b32 s25, exec_lo
	s_delay_alu instid0(VALU_DEP_2)
	v_cmpx_gt_u32_e32 0x47800000, v1
	s_cbranch_execz .LBB22_391
; %bb.386:
	v_cmp_lt_u32_e32 vcc_lo, 0x37ffffff, v1
	s_mov_b32 s26, 0
                                        ; implicit-def: $vgpr1
	s_and_saveexec_b32 s27, vcc_lo
	s_delay_alu instid0(SALU_CYCLE_1)
	s_xor_b32 s27, exec_lo, s27
	s_cbranch_execz .LBB22_611
; %bb.387:
	v_bfe_u32 v1, v4, 21, 1
	s_mov_b32 s26, exec_lo
	s_delay_alu instid0(VALU_DEP_1) | instskip(NEXT) | instid1(VALU_DEP_1)
	v_add3_u32 v1, v4, v1, 0x88fffff
	v_lshrrev_b32_e32 v1, 21, v1
	s_and_not1_saveexec_b32 s27, s27
	s_cbranch_execnz .LBB22_612
.LBB22_388:
	s_or_b32 exec_lo, exec_lo, s27
	v_mov_b32_e32 v5, 0
	s_and_saveexec_b32 s27, s26
.LBB22_389:
	v_lshrrev_b32_e32 v5, 24, v4
	s_delay_alu instid0(VALU_DEP_1)
	v_and_or_b32 v5, 0x80, v5, v1
.LBB22_390:
	s_or_b32 exec_lo, exec_lo, s27
.LBB22_391:
	s_delay_alu instid0(SALU_CYCLE_1)
	s_or_b32 exec_lo, exec_lo, s25
	s_mov_b32 s25, 0
	global_store_b8 v[2:3], v5, off
.LBB22_392:
	s_and_b32 vcc_lo, exec_lo, s25
	s_cbranch_vccz .LBB22_402
; %bb.393:
	s_wait_xcnt 0x0
	v_and_b32_e32 v5, 0x7fffffff, v4
	s_mov_b32 s25, exec_lo
                                        ; implicit-def: $vgpr1
	s_delay_alu instid0(VALU_DEP_1)
	v_cmpx_gt_u32_e32 0x43f00000, v5
	s_xor_b32 s25, exec_lo, s25
	s_cbranch_execz .LBB22_399
; %bb.394:
	s_mov_b32 s26, exec_lo
                                        ; implicit-def: $vgpr1
	v_cmpx_lt_u32_e32 0x3c7fffff, v5
	s_xor_b32 s26, exec_lo, s26
; %bb.395:
	v_bfe_u32 v1, v4, 20, 1
	s_delay_alu instid0(VALU_DEP_1) | instskip(NEXT) | instid1(VALU_DEP_1)
	v_add3_u32 v1, v4, v1, 0x407ffff
	v_and_b32_e32 v5, 0xff00000, v1
	v_lshrrev_b32_e32 v1, 20, v1
	s_delay_alu instid0(VALU_DEP_2) | instskip(NEXT) | instid1(VALU_DEP_2)
	v_cmp_ne_u32_e32 vcc_lo, 0x7f00000, v5
	v_cndmask_b32_e32 v1, 0x7e, v1, vcc_lo
; %bb.396:
	s_and_not1_saveexec_b32 s26, s26
; %bb.397:
	v_add_f32_e64 v1, 0x46800000, |v4|
; %bb.398:
	s_or_b32 exec_lo, exec_lo, s26
                                        ; implicit-def: $vgpr5
.LBB22_399:
	s_and_not1_saveexec_b32 s25, s25
; %bb.400:
	v_mov_b32_e32 v1, 0x7f
	v_cmp_lt_u32_e32 vcc_lo, 0x7f800000, v5
	s_delay_alu instid0(VALU_DEP_2)
	v_cndmask_b32_e32 v1, 0x7e, v1, vcc_lo
; %bb.401:
	s_or_b32 exec_lo, exec_lo, s25
	v_lshrrev_b32_e32 v5, 24, v4
	s_delay_alu instid0(VALU_DEP_1)
	v_and_or_b32 v1, 0x80, v5, v1
	global_store_b8 v[2:3], v1, off
.LBB22_402:
	s_mov_b32 s25, 0
.LBB22_403:
	s_delay_alu instid0(SALU_CYCLE_1)
	s_and_not1_b32 vcc_lo, exec_lo, s25
	s_cbranch_vccnz .LBB22_413
; %bb.404:
	s_wait_xcnt 0x0
	v_and_b32_e32 v5, 0x7fffffff, v4
	s_mov_b32 s25, exec_lo
                                        ; implicit-def: $vgpr1
	s_delay_alu instid0(VALU_DEP_1)
	v_cmpx_gt_u32_e32 0x47800000, v5
	s_xor_b32 s25, exec_lo, s25
	s_cbranch_execz .LBB22_410
; %bb.405:
	s_mov_b32 s26, exec_lo
                                        ; implicit-def: $vgpr1
	v_cmpx_lt_u32_e32 0x387fffff, v5
	s_xor_b32 s26, exec_lo, s26
; %bb.406:
	v_bfe_u32 v1, v4, 21, 1
	s_delay_alu instid0(VALU_DEP_1) | instskip(NEXT) | instid1(VALU_DEP_1)
	v_add3_u32 v1, v4, v1, 0x80fffff
	v_lshrrev_b32_e32 v1, 21, v1
; %bb.407:
	s_and_not1_saveexec_b32 s26, s26
; %bb.408:
	v_add_f32_e64 v1, 0x43000000, |v4|
; %bb.409:
	s_or_b32 exec_lo, exec_lo, s26
                                        ; implicit-def: $vgpr5
.LBB22_410:
	s_and_not1_saveexec_b32 s25, s25
; %bb.411:
	v_mov_b32_e32 v1, 0x7f
	v_cmp_lt_u32_e32 vcc_lo, 0x7f800000, v5
	s_delay_alu instid0(VALU_DEP_2)
	v_cndmask_b32_e32 v1, 0x7c, v1, vcc_lo
; %bb.412:
	s_or_b32 exec_lo, exec_lo, s25
	v_lshrrev_b32_e32 v5, 24, v4
	s_delay_alu instid0(VALU_DEP_1)
	v_and_or_b32 v1, 0x80, v5, v1
	global_store_b8 v[2:3], v1, off
.LBB22_413:
	s_mov_b32 s26, 0
	s_mov_b32 s25, -1
.LBB22_414:
	s_and_not1_b32 vcc_lo, exec_lo, s26
	s_cbranch_vccnz .LBB22_422
; %bb.415:
	s_cmp_gt_i32 s2, 14
	s_mov_b32 s26, -1
	s_cbranch_scc0 .LBB22_419
; %bb.416:
	s_cmp_eq_u32 s2, 15
	s_mov_b32 s0, -1
	s_cbranch_scc0 .LBB22_418
; %bb.417:
	s_wait_xcnt 0x0
	v_bfe_u32 v1, v4, 16, 1
	v_cmp_o_f32_e32 vcc_lo, v4, v4
	s_mov_b32 s25, -1
	s_mov_b32 s0, 0
	s_delay_alu instid0(VALU_DEP_2) | instskip(NEXT) | instid1(VALU_DEP_1)
	v_add3_u32 v1, v4, v1, 0x7fff
	v_lshrrev_b32_e32 v1, 16, v1
	s_delay_alu instid0(VALU_DEP_1)
	v_cndmask_b32_e32 v1, 0x7fc0, v1, vcc_lo
	global_store_b16 v[2:3], v1, off
.LBB22_418:
	s_mov_b32 s26, 0
.LBB22_419:
	s_delay_alu instid0(SALU_CYCLE_1)
	s_and_b32 vcc_lo, exec_lo, s26
	s_cbranch_vccz .LBB22_422
; %bb.420:
	s_cmp_eq_u32 s2, 11
	s_mov_b32 s0, -1
	s_cbranch_scc0 .LBB22_422
; %bb.421:
	v_cmp_neq_f32_e32 vcc_lo, 0, v4
	s_mov_b32 s0, 0
	s_mov_b32 s25, -1
	s_wait_xcnt 0x0
	v_cndmask_b32_e64 v1, 0, 1, vcc_lo
	global_store_b8 v[2:3], v1, off
.LBB22_422:
	s_mov_b32 s2, 0
.LBB22_423:
	s_delay_alu instid0(SALU_CYCLE_1)
	s_and_b32 vcc_lo, exec_lo, s2
	s_cbranch_vccz .LBB22_462
; %bb.424:
	s_and_b32 s1, 0xffff, s1
	s_mov_b32 s2, -1
	s_cmp_lt_i32 s1, 5
	s_cbranch_scc1 .LBB22_445
; %bb.425:
	s_cmp_lt_i32 s1, 8
	s_cbranch_scc1 .LBB22_435
; %bb.426:
	;; [unrolled: 3-line block ×3, first 2 shown]
	s_cmp_gt_i32 s1, 9
	s_cbranch_scc0 .LBB22_429
; %bb.428:
	s_wait_xcnt 0x0
	v_cvt_f64_f32_e32 v[6:7], v4
	v_mov_b32_e32 v8, 0
	s_mov_b32 s2, 0
	s_delay_alu instid0(VALU_DEP_1)
	v_mov_b32_e32 v9, v8
	global_store_b128 v[2:3], v[6:9], off
.LBB22_429:
	s_and_not1_b32 vcc_lo, exec_lo, s2
	s_cbranch_vccnz .LBB22_431
; %bb.430:
	s_wait_xcnt 0x0
	v_mov_b32_e32 v5, 0
	global_store_b64 v[2:3], v[4:5], off
.LBB22_431:
	s_mov_b32 s2, 0
.LBB22_432:
	s_delay_alu instid0(SALU_CYCLE_1)
	s_and_not1_b32 vcc_lo, exec_lo, s2
	s_cbranch_vccnz .LBB22_434
; %bb.433:
	s_wait_xcnt 0x0
	v_cvt_f16_f32_e32 v1, v4
	s_delay_alu instid0(VALU_DEP_1)
	v_and_b32_e32 v1, 0xffff, v1
	global_store_b32 v[2:3], v1, off
.LBB22_434:
	s_mov_b32 s2, 0
.LBB22_435:
	s_delay_alu instid0(SALU_CYCLE_1)
	s_and_not1_b32 vcc_lo, exec_lo, s2
	s_cbranch_vccnz .LBB22_444
; %bb.436:
	s_cmp_lt_i32 s1, 6
	s_mov_b32 s2, -1
	s_cbranch_scc1 .LBB22_442
; %bb.437:
	s_cmp_gt_i32 s1, 6
	s_cbranch_scc0 .LBB22_439
; %bb.438:
	s_wait_xcnt 0x0
	v_cvt_f64_f32_e32 v[6:7], v4
	s_mov_b32 s2, 0
	global_store_b64 v[2:3], v[6:7], off
.LBB22_439:
	s_and_not1_b32 vcc_lo, exec_lo, s2
	s_cbranch_vccnz .LBB22_441
; %bb.440:
	global_store_b32 v[2:3], v4, off
.LBB22_441:
	s_mov_b32 s2, 0
.LBB22_442:
	s_delay_alu instid0(SALU_CYCLE_1)
	s_and_not1_b32 vcc_lo, exec_lo, s2
	s_cbranch_vccnz .LBB22_444
; %bb.443:
	s_wait_xcnt 0x0
	v_cvt_f16_f32_e32 v1, v4
	global_store_b16 v[2:3], v1, off
.LBB22_444:
	s_mov_b32 s2, 0
.LBB22_445:
	s_delay_alu instid0(SALU_CYCLE_1)
	s_and_not1_b32 vcc_lo, exec_lo, s2
	s_cbranch_vccnz .LBB22_461
; %bb.446:
	s_cmp_lt_i32 s1, 2
	s_mov_b32 s2, -1
	s_cbranch_scc1 .LBB22_456
; %bb.447:
	s_cmp_lt_i32 s1, 3
	s_cbranch_scc1 .LBB22_453
; %bb.448:
	s_cmp_gt_i32 s1, 3
	s_cbranch_scc0 .LBB22_450
; %bb.449:
	s_wait_xcnt 0x0
	v_trunc_f32_e32 v1, v4
	s_mov_b32 s2, 0
	s_delay_alu instid0(VALU_DEP_1) | instskip(SKIP_1) | instid1(VALU_DEP_2)
	v_mul_f32_e64 v5, 0x2f800000, |v1|
	v_ashrrev_i32_e32 v6, 31, v1
	v_floor_f32_e32 v5, v5
	s_delay_alu instid0(VALU_DEP_1) | instskip(SKIP_1) | instid1(VALU_DEP_2)
	v_fma_f32 v7, 0xcf800000, v5, |v1|
	v_cvt_u32_f32_e32 v1, v5
	v_cvt_u32_f32_e32 v5, v7
	s_delay_alu instid0(VALU_DEP_2) | instskip(NEXT) | instid1(VALU_DEP_2)
	v_dual_mov_b32 v7, v6 :: v_dual_bitop2_b32 v9, v1, v6 bitop3:0x14
	v_xor_b32_e32 v8, v5, v6
	s_delay_alu instid0(VALU_DEP_1)
	v_sub_nc_u64_e32 v[6:7], v[8:9], v[6:7]
	global_store_b64 v[2:3], v[6:7], off
.LBB22_450:
	s_and_not1_b32 vcc_lo, exec_lo, s2
	s_cbranch_vccnz .LBB22_452
; %bb.451:
	s_wait_xcnt 0x0
	v_cvt_i32_f32_e32 v1, v4
	global_store_b32 v[2:3], v1, off
.LBB22_452:
	s_mov_b32 s2, 0
.LBB22_453:
	s_delay_alu instid0(SALU_CYCLE_1)
	s_and_not1_b32 vcc_lo, exec_lo, s2
	s_cbranch_vccnz .LBB22_455
; %bb.454:
	s_wait_xcnt 0x0
	v_cvt_i32_f32_e32 v1, v4
	global_store_b16 v[2:3], v1, off
.LBB22_455:
	s_mov_b32 s2, 0
.LBB22_456:
	s_delay_alu instid0(SALU_CYCLE_1)
	s_and_not1_b32 vcc_lo, exec_lo, s2
	s_cbranch_vccnz .LBB22_461
; %bb.457:
	s_cmp_gt_i32 s1, 0
	s_mov_b32 s1, -1
	s_cbranch_scc0 .LBB22_459
; %bb.458:
	s_wait_xcnt 0x0
	v_cvt_i32_f32_e32 v1, v4
	s_mov_b32 s1, 0
	global_store_b8 v[2:3], v1, off
.LBB22_459:
	s_and_not1_b32 vcc_lo, exec_lo, s1
	s_cbranch_vccnz .LBB22_461
; %bb.460:
	s_wait_xcnt 0x0
	v_trunc_f32_e32 v1, v4
	s_delay_alu instid0(VALU_DEP_1) | instskip(NEXT) | instid1(VALU_DEP_1)
	v_mul_f32_e64 v4, 0x2f800000, |v1|
	v_floor_f32_e32 v4, v4
	s_delay_alu instid0(VALU_DEP_1) | instskip(SKIP_1) | instid1(VALU_DEP_2)
	v_fma_f32 v4, 0xcf800000, v4, |v1|
	v_ashrrev_i32_e32 v1, 31, v1
	v_cvt_u32_f32_e32 v4, v4
	s_delay_alu instid0(VALU_DEP_1) | instskip(NEXT) | instid1(VALU_DEP_1)
	v_xor_b32_e32 v4, v4, v1
	v_sub_nc_u32_e32 v1, v4, v1
	global_store_b8 v[2:3], v1, off
.LBB22_461:
	s_mov_b32 s25, -1
.LBB22_462:
	s_delay_alu instid0(SALU_CYCLE_1)
	s_and_not1_b32 vcc_lo, exec_lo, s25
	s_cbranch_vccnz .LBB22_464
; %bb.463:
	v_add_nc_u32_e32 v0, 0x80, v0
	s_mov_b32 s1, -1
	s_branch .LBB22_577
.LBB22_464:
	s_mov_b32 s1, 0
	s_branch .LBB22_576
.LBB22_465:
	s_mov_b32 s24, -1
                                        ; implicit-def: $vgpr1
.LBB22_466:
	s_mov_b32 s2, 0
.LBB22_467:
	s_delay_alu instid0(SALU_CYCLE_1)
	s_and_b32 vcc_lo, exec_lo, s2
	s_cbranch_vccz .LBB22_471
; %bb.468:
	s_cmp_eq_u32 s0, 29
	s_cbranch_scc0 .LBB22_470
; %bb.469:
	global_load_b64 v[6:7], v[4:5], off
	s_mov_b32 s1, -1
	s_mov_b32 s24, 0
	s_mov_b32 s2, 0
	s_wait_loadcnt 0x0
	v_clz_i32_u32_e32 v1, v7
	s_delay_alu instid0(VALU_DEP_1) | instskip(NEXT) | instid1(VALU_DEP_1)
	v_min_u32_e32 v1, 32, v1
	v_lshlrev_b64_e32 v[6:7], v1, v[6:7]
	v_sub_nc_u32_e32 v1, 32, v1
	s_delay_alu instid0(VALU_DEP_2) | instskip(NEXT) | instid1(VALU_DEP_1)
	v_min_u32_e32 v3, 1, v6
	v_or_b32_e32 v3, v7, v3
	s_delay_alu instid0(VALU_DEP_1) | instskip(NEXT) | instid1(VALU_DEP_1)
	v_cvt_f32_u32_e32 v3, v3
	v_ldexp_f32 v1, v3, v1
	s_branch .LBB22_472
.LBB22_470:
	s_mov_b32 s24, -1
                                        ; implicit-def: $vgpr1
.LBB22_471:
	s_mov_b32 s2, 0
.LBB22_472:
	s_delay_alu instid0(SALU_CYCLE_1)
	s_and_b32 vcc_lo, exec_lo, s2
	s_cbranch_vccz .LBB22_490
; %bb.473:
	s_cmp_lt_i32 s0, 27
	s_cbranch_scc1 .LBB22_476
; %bb.474:
	s_cmp_gt_i32 s0, 27
	s_cbranch_scc0 .LBB22_477
; %bb.475:
	s_wait_loadcnt 0x0
	global_load_b32 v1, v[4:5], off
	s_mov_b32 s1, 0
	s_wait_loadcnt 0x0
	v_cvt_f32_u32_e32 v1, v1
	s_branch .LBB22_478
.LBB22_476:
	s_mov_b32 s1, -1
                                        ; implicit-def: $vgpr1
	s_branch .LBB22_481
.LBB22_477:
	s_mov_b32 s1, -1
                                        ; implicit-def: $vgpr1
.LBB22_478:
	s_delay_alu instid0(SALU_CYCLE_1)
	s_and_not1_b32 vcc_lo, exec_lo, s1
	s_cbranch_vccnz .LBB22_480
; %bb.479:
	s_wait_loadcnt 0x0
	global_load_u16 v1, v[4:5], off
	s_wait_loadcnt 0x0
	v_cvt_f32_u32_e32 v1, v1
.LBB22_480:
	s_mov_b32 s1, 0
.LBB22_481:
	s_delay_alu instid0(SALU_CYCLE_1)
	s_and_not1_b32 vcc_lo, exec_lo, s1
	s_cbranch_vccnz .LBB22_489
; %bb.482:
	global_load_u8 v3, v[4:5], off
	s_mov_b32 s1, 0
	s_mov_b32 s2, exec_lo
	s_wait_loadcnt 0x0
	v_cmpx_lt_i16_e32 0x7f, v3
	s_xor_b32 s2, exec_lo, s2
	s_cbranch_execz .LBB22_503
; %bb.483:
	s_mov_b32 s1, -1
	s_mov_b32 s25, exec_lo
	v_cmpx_eq_u16_e32 0x80, v3
; %bb.484:
	s_xor_b32 s1, exec_lo, -1
; %bb.485:
	s_or_b32 exec_lo, exec_lo, s25
	s_delay_alu instid0(SALU_CYCLE_1)
	s_and_b32 s1, s1, exec_lo
	s_or_saveexec_b32 s2, s2
	v_mov_b32_e32 v1, 0x7f800001
	s_xor_b32 exec_lo, exec_lo, s2
	s_cbranch_execnz .LBB22_504
.LBB22_486:
	s_or_b32 exec_lo, exec_lo, s2
	s_and_saveexec_b32 s2, s1
	s_cbranch_execz .LBB22_488
.LBB22_487:
	v_and_b32_e32 v1, 0xffff, v3
	s_delay_alu instid0(VALU_DEP_1) | instskip(SKIP_1) | instid1(VALU_DEP_2)
	v_and_b32_e32 v6, 7, v1
	v_bfe_u32 v9, v1, 3, 4
	v_clz_i32_u32_e32 v7, v6
	s_delay_alu instid0(VALU_DEP_2) | instskip(NEXT) | instid1(VALU_DEP_2)
	v_cmp_eq_u32_e32 vcc_lo, 0, v9
	v_min_u32_e32 v7, 32, v7
	s_delay_alu instid0(VALU_DEP_1) | instskip(NEXT) | instid1(VALU_DEP_1)
	v_subrev_nc_u32_e32 v8, 28, v7
	v_dual_lshlrev_b32 v1, v8, v1 :: v_dual_sub_nc_u32 v7, 29, v7
	s_delay_alu instid0(VALU_DEP_1) | instskip(NEXT) | instid1(VALU_DEP_1)
	v_dual_lshlrev_b32 v3, 24, v3 :: v_dual_bitop2_b32 v1, 7, v1 bitop3:0x40
	v_dual_cndmask_b32 v1, v6, v1, vcc_lo :: v_dual_cndmask_b32 v7, v9, v7, vcc_lo
	s_delay_alu instid0(VALU_DEP_2) | instskip(NEXT) | instid1(VALU_DEP_2)
	v_and_b32_e32 v3, 0x80000000, v3
	v_lshlrev_b32_e32 v1, 20, v1
	s_delay_alu instid0(VALU_DEP_3) | instskip(NEXT) | instid1(VALU_DEP_1)
	v_lshl_add_u32 v6, v7, 23, 0x3b800000
	v_or3_b32 v1, v3, v6, v1
.LBB22_488:
	s_or_b32 exec_lo, exec_lo, s2
.LBB22_489:
	s_mov_b32 s1, -1
.LBB22_490:
	s_mov_b32 s2, 0
.LBB22_491:
	s_delay_alu instid0(SALU_CYCLE_1)
	s_and_b32 vcc_lo, exec_lo, s2
	s_cbranch_vccz .LBB22_526
; %bb.492:
	s_cmp_gt_i32 s0, 22
	s_cbranch_scc0 .LBB22_502
; %bb.493:
	s_cmp_lt_i32 s0, 24
	s_cbranch_scc1 .LBB22_505
; %bb.494:
	s_cmp_gt_i32 s0, 24
	s_cbranch_scc0 .LBB22_506
; %bb.495:
	global_load_u8 v3, v[4:5], off
	s_mov_b32 s1, 0
	s_mov_b32 s2, exec_lo
	s_wait_loadcnt 0x0
	v_cmpx_lt_i16_e32 0x7f, v3
	s_xor_b32 s2, exec_lo, s2
	s_cbranch_execz .LBB22_518
; %bb.496:
	s_mov_b32 s1, -1
	s_mov_b32 s25, exec_lo
	v_cmpx_eq_u16_e32 0x80, v3
; %bb.497:
	s_xor_b32 s1, exec_lo, -1
; %bb.498:
	s_or_b32 exec_lo, exec_lo, s25
	s_delay_alu instid0(SALU_CYCLE_1)
	s_and_b32 s1, s1, exec_lo
	s_or_saveexec_b32 s2, s2
	v_mov_b32_e32 v1, 0x7f800001
	s_xor_b32 exec_lo, exec_lo, s2
	s_cbranch_execnz .LBB22_519
.LBB22_499:
	s_or_b32 exec_lo, exec_lo, s2
	s_and_saveexec_b32 s2, s1
	s_cbranch_execz .LBB22_501
.LBB22_500:
	v_and_b32_e32 v1, 0xffff, v3
	s_delay_alu instid0(VALU_DEP_1) | instskip(SKIP_1) | instid1(VALU_DEP_2)
	v_and_b32_e32 v6, 3, v1
	v_bfe_u32 v9, v1, 2, 5
	v_clz_i32_u32_e32 v7, v6
	s_delay_alu instid0(VALU_DEP_2) | instskip(NEXT) | instid1(VALU_DEP_2)
	v_cmp_eq_u32_e32 vcc_lo, 0, v9
	v_min_u32_e32 v7, 32, v7
	s_delay_alu instid0(VALU_DEP_1) | instskip(NEXT) | instid1(VALU_DEP_1)
	v_subrev_nc_u32_e32 v8, 29, v7
	v_dual_lshlrev_b32 v1, v8, v1 :: v_dual_sub_nc_u32 v7, 30, v7
	s_delay_alu instid0(VALU_DEP_1) | instskip(NEXT) | instid1(VALU_DEP_1)
	v_dual_lshlrev_b32 v3, 24, v3 :: v_dual_bitop2_b32 v1, 3, v1 bitop3:0x40
	v_dual_cndmask_b32 v1, v6, v1, vcc_lo :: v_dual_cndmask_b32 v7, v9, v7, vcc_lo
	s_delay_alu instid0(VALU_DEP_2) | instskip(NEXT) | instid1(VALU_DEP_2)
	v_and_b32_e32 v3, 0x80000000, v3
	v_lshlrev_b32_e32 v1, 21, v1
	s_delay_alu instid0(VALU_DEP_3) | instskip(NEXT) | instid1(VALU_DEP_1)
	v_lshl_add_u32 v6, v7, 23, 0x37800000
	v_or3_b32 v1, v3, v6, v1
.LBB22_501:
	s_or_b32 exec_lo, exec_lo, s2
	s_mov_b32 s1, 0
	s_branch .LBB22_507
.LBB22_502:
	s_mov_b32 s2, -1
                                        ; implicit-def: $vgpr1
	s_branch .LBB22_513
.LBB22_503:
	s_or_saveexec_b32 s2, s2
	v_mov_b32_e32 v1, 0x7f800001
	s_xor_b32 exec_lo, exec_lo, s2
	s_cbranch_execz .LBB22_486
.LBB22_504:
	v_cmp_ne_u16_e32 vcc_lo, 0, v3
	v_mov_b32_e32 v1, 0
	s_and_not1_b32 s1, s1, exec_lo
	s_and_b32 s25, vcc_lo, exec_lo
	s_delay_alu instid0(SALU_CYCLE_1)
	s_or_b32 s1, s1, s25
	s_or_b32 exec_lo, exec_lo, s2
	s_and_saveexec_b32 s2, s1
	s_cbranch_execnz .LBB22_487
	s_branch .LBB22_488
.LBB22_505:
	s_mov_b32 s1, -1
                                        ; implicit-def: $vgpr1
	s_branch .LBB22_510
.LBB22_506:
	s_mov_b32 s1, -1
                                        ; implicit-def: $vgpr1
.LBB22_507:
	s_delay_alu instid0(SALU_CYCLE_1)
	s_and_b32 vcc_lo, exec_lo, s1
	s_cbranch_vccz .LBB22_509
; %bb.508:
	s_wait_loadcnt 0x0
	global_load_u8 v1, v[4:5], off
	s_wait_loadcnt 0x0
	v_lshlrev_b32_e32 v1, 24, v1
	s_delay_alu instid0(VALU_DEP_1) | instskip(NEXT) | instid1(VALU_DEP_1)
	v_and_b32_e32 v3, 0x7f000000, v1
	v_clz_i32_u32_e32 v6, v3
	v_cmp_ne_u32_e32 vcc_lo, 0, v3
	v_add_nc_u32_e32 v8, 0x1000000, v3
	s_delay_alu instid0(VALU_DEP_3) | instskip(NEXT) | instid1(VALU_DEP_1)
	v_min_u32_e32 v6, 32, v6
	v_sub_nc_u32_e64 v6, v6, 4 clamp
	s_delay_alu instid0(VALU_DEP_1) | instskip(NEXT) | instid1(VALU_DEP_1)
	v_dual_lshlrev_b32 v7, v6, v3 :: v_dual_lshlrev_b32 v6, 23, v6
	v_lshrrev_b32_e32 v7, 4, v7
	s_delay_alu instid0(VALU_DEP_1) | instskip(NEXT) | instid1(VALU_DEP_1)
	v_dual_sub_nc_u32 v6, v7, v6 :: v_dual_ashrrev_i32 v7, 8, v8
	v_add_nc_u32_e32 v6, 0x3c000000, v6
	s_delay_alu instid0(VALU_DEP_1) | instskip(NEXT) | instid1(VALU_DEP_1)
	v_and_or_b32 v6, 0x7f800000, v7, v6
	v_cndmask_b32_e32 v3, 0, v6, vcc_lo
	s_delay_alu instid0(VALU_DEP_1)
	v_and_or_b32 v1, 0x80000000, v1, v3
.LBB22_509:
	s_mov_b32 s1, 0
.LBB22_510:
	s_delay_alu instid0(SALU_CYCLE_1)
	s_and_not1_b32 vcc_lo, exec_lo, s1
	s_cbranch_vccnz .LBB22_512
; %bb.511:
	s_wait_loadcnt 0x0
	global_load_u8 v1, v[4:5], off
	s_wait_loadcnt 0x0
	v_lshlrev_b32_e32 v3, 25, v1
	v_lshlrev_b16 v1, 8, v1
	s_delay_alu instid0(VALU_DEP_1) | instskip(SKIP_1) | instid1(VALU_DEP_2)
	v_and_or_b32 v7, 0x7f00, v1, 0.5
	v_bfe_i32 v1, v1, 0, 16
	v_add_f32_e32 v7, -0.5, v7
	v_lshrrev_b32_e32 v6, 4, v3
	v_cmp_gt_u32_e32 vcc_lo, 0x8000000, v3
	s_delay_alu instid0(VALU_DEP_2) | instskip(NEXT) | instid1(VALU_DEP_1)
	v_or_b32_e32 v6, 0x70000000, v6
	v_mul_f32_e32 v6, 0x7800000, v6
	s_delay_alu instid0(VALU_DEP_1) | instskip(NEXT) | instid1(VALU_DEP_1)
	v_cndmask_b32_e32 v3, v6, v7, vcc_lo
	v_and_or_b32 v1, 0x80000000, v1, v3
.LBB22_512:
	s_mov_b32 s2, 0
	s_mov_b32 s1, -1
.LBB22_513:
	s_and_not1_b32 vcc_lo, exec_lo, s2
	s_cbranch_vccnz .LBB22_526
; %bb.514:
	s_cmp_gt_i32 s0, 14
	s_cbranch_scc0 .LBB22_517
; %bb.515:
	s_cmp_eq_u32 s0, 15
	s_cbranch_scc0 .LBB22_520
; %bb.516:
	s_wait_loadcnt 0x0
	global_load_u16 v1, v[4:5], off
	s_mov_b32 s1, -1
	s_mov_b32 s24, 0
	s_wait_loadcnt 0x0
	v_lshlrev_b32_e32 v1, 16, v1
	s_branch .LBB22_521
.LBB22_517:
	s_mov_b32 s2, -1
                                        ; implicit-def: $vgpr1
	s_branch .LBB22_522
.LBB22_518:
	s_or_saveexec_b32 s2, s2
	v_mov_b32_e32 v1, 0x7f800001
	s_xor_b32 exec_lo, exec_lo, s2
	s_cbranch_execz .LBB22_499
.LBB22_519:
	v_cmp_ne_u16_e32 vcc_lo, 0, v3
	v_mov_b32_e32 v1, 0
	s_and_not1_b32 s1, s1, exec_lo
	s_and_b32 s25, vcc_lo, exec_lo
	s_delay_alu instid0(SALU_CYCLE_1)
	s_or_b32 s1, s1, s25
	s_or_b32 exec_lo, exec_lo, s2
	s_and_saveexec_b32 s2, s1
	s_cbranch_execnz .LBB22_500
	s_branch .LBB22_501
.LBB22_520:
	s_mov_b32 s24, -1
                                        ; implicit-def: $vgpr1
.LBB22_521:
	s_mov_b32 s2, 0
.LBB22_522:
	s_delay_alu instid0(SALU_CYCLE_1)
	s_and_b32 vcc_lo, exec_lo, s2
	s_cbranch_vccz .LBB22_526
; %bb.523:
	s_cmp_eq_u32 s0, 11
	s_cbranch_scc0 .LBB22_525
; %bb.524:
	s_wait_loadcnt 0x0
	global_load_u8 v1, v[4:5], off
	s_mov_b32 s24, 0
	s_mov_b32 s1, -1
	s_wait_loadcnt 0x0
	v_cmp_ne_u16_e32 vcc_lo, 0, v1
	v_cndmask_b32_e64 v1, 0, 1.0, vcc_lo
	s_branch .LBB22_526
.LBB22_525:
	s_mov_b32 s24, -1
                                        ; implicit-def: $vgpr1
.LBB22_526:
	s_branch .LBB22_312
.LBB22_527:
	s_cmp_lt_i32 s0, 5
	s_cbranch_scc1 .LBB22_532
; %bb.528:
	s_cmp_lt_i32 s0, 8
	s_cbranch_scc1 .LBB22_533
; %bb.529:
	s_cmp_lt_i32 s0, 9
	s_cbranch_scc1 .LBB22_534
; %bb.530:
	s_cmp_gt_i32 s0, 9
	s_cbranch_scc0 .LBB22_535
; %bb.531:
	global_load_b64 v[6:7], v[4:5], off
	s_mov_b32 s1, 0
	s_wait_loadcnt 0x0
	v_cvt_f32_f64_e32 v1, v[6:7]
	s_branch .LBB22_536
.LBB22_532:
	s_mov_b32 s1, -1
                                        ; implicit-def: $vgpr1
	s_branch .LBB22_554
.LBB22_533:
	s_mov_b32 s1, -1
                                        ; implicit-def: $vgpr1
	s_branch .LBB22_542
.LBB22_534:
	s_mov_b32 s1, -1
                                        ; implicit-def: $vgpr1
	s_branch .LBB22_539
.LBB22_535:
	s_mov_b32 s1, -1
                                        ; implicit-def: $vgpr1
.LBB22_536:
	s_delay_alu instid0(SALU_CYCLE_1)
	s_and_not1_b32 vcc_lo, exec_lo, s1
	s_cbranch_vccnz .LBB22_538
; %bb.537:
	s_wait_loadcnt 0x0
	global_load_b32 v1, v[4:5], off
.LBB22_538:
	s_mov_b32 s1, 0
.LBB22_539:
	s_delay_alu instid0(SALU_CYCLE_1)
	s_and_not1_b32 vcc_lo, exec_lo, s1
	s_cbranch_vccnz .LBB22_541
; %bb.540:
	s_wait_loadcnt 0x0
	global_load_b32 v1, v[4:5], off
	s_wait_loadcnt 0x0
	v_cvt_f32_f16_e32 v1, v1
.LBB22_541:
	s_mov_b32 s1, 0
.LBB22_542:
	s_delay_alu instid0(SALU_CYCLE_1)
	s_and_not1_b32 vcc_lo, exec_lo, s1
	s_cbranch_vccnz .LBB22_553
; %bb.543:
	s_cmp_lt_i32 s0, 6
	s_cbranch_scc1 .LBB22_546
; %bb.544:
	s_cmp_gt_i32 s0, 6
	s_cbranch_scc0 .LBB22_547
; %bb.545:
	global_load_b64 v[6:7], v[4:5], off
	s_mov_b32 s1, 0
	s_wait_loadcnt 0x0
	v_cvt_f32_f64_e32 v1, v[6:7]
	s_branch .LBB22_548
.LBB22_546:
	s_mov_b32 s1, -1
                                        ; implicit-def: $vgpr1
	s_branch .LBB22_551
.LBB22_547:
	s_mov_b32 s1, -1
                                        ; implicit-def: $vgpr1
.LBB22_548:
	s_delay_alu instid0(SALU_CYCLE_1)
	s_and_not1_b32 vcc_lo, exec_lo, s1
	s_cbranch_vccnz .LBB22_550
; %bb.549:
	s_wait_loadcnt 0x0
	global_load_b32 v1, v[4:5], off
.LBB22_550:
	s_mov_b32 s1, 0
.LBB22_551:
	s_delay_alu instid0(SALU_CYCLE_1)
	s_and_not1_b32 vcc_lo, exec_lo, s1
	s_cbranch_vccnz .LBB22_553
; %bb.552:
	s_wait_loadcnt 0x0
	global_load_u16 v1, v[4:5], off
	s_wait_loadcnt 0x0
	v_cvt_f32_f16_e32 v1, v1
.LBB22_553:
	s_mov_b32 s1, 0
.LBB22_554:
	s_delay_alu instid0(SALU_CYCLE_1)
	s_and_not1_b32 vcc_lo, exec_lo, s1
	s_cbranch_vccnz .LBB22_574
; %bb.555:
	s_cmp_lt_i32 s0, 2
	s_cbranch_scc1 .LBB22_559
; %bb.556:
	s_cmp_lt_i32 s0, 3
	s_cbranch_scc1 .LBB22_560
; %bb.557:
	s_cmp_gt_i32 s0, 3
	s_cbranch_scc0 .LBB22_561
; %bb.558:
	global_load_b64 v[6:7], v[4:5], off
	s_mov_b32 s1, 0
	s_wait_loadcnt 0x0
	v_xor_b32_e32 v1, v6, v7
	v_cls_i32_e32 v3, v7
	s_delay_alu instid0(VALU_DEP_2) | instskip(NEXT) | instid1(VALU_DEP_1)
	v_ashrrev_i32_e32 v1, 31, v1
	v_add_nc_u32_e32 v1, 32, v1
	s_delay_alu instid0(VALU_DEP_1) | instskip(NEXT) | instid1(VALU_DEP_1)
	v_add_min_u32_e64 v1, v3, -1, v1
	v_lshlrev_b64_e32 v[6:7], v1, v[6:7]
	v_sub_nc_u32_e32 v1, 32, v1
	s_delay_alu instid0(VALU_DEP_2) | instskip(NEXT) | instid1(VALU_DEP_1)
	v_min_u32_e32 v3, 1, v6
	v_or_b32_e32 v3, v7, v3
	s_delay_alu instid0(VALU_DEP_1) | instskip(NEXT) | instid1(VALU_DEP_1)
	v_cvt_f32_i32_e32 v3, v3
	v_ldexp_f32 v1, v3, v1
	s_branch .LBB22_562
.LBB22_559:
	s_mov_b32 s1, -1
                                        ; implicit-def: $vgpr1
	s_branch .LBB22_568
.LBB22_560:
	s_mov_b32 s1, -1
                                        ; implicit-def: $vgpr1
	s_branch .LBB22_565
.LBB22_561:
	s_mov_b32 s1, -1
                                        ; implicit-def: $vgpr1
.LBB22_562:
	s_delay_alu instid0(SALU_CYCLE_1)
	s_and_not1_b32 vcc_lo, exec_lo, s1
	s_cbranch_vccnz .LBB22_564
; %bb.563:
	s_wait_loadcnt 0x0
	global_load_b32 v1, v[4:5], off
	s_wait_loadcnt 0x0
	v_cvt_f32_i32_e32 v1, v1
.LBB22_564:
	s_mov_b32 s1, 0
.LBB22_565:
	s_delay_alu instid0(SALU_CYCLE_1)
	s_and_not1_b32 vcc_lo, exec_lo, s1
	s_cbranch_vccnz .LBB22_567
; %bb.566:
	s_wait_loadcnt 0x0
	global_load_i16 v1, v[4:5], off
	s_wait_loadcnt 0x0
	v_cvt_f32_i32_e32 v1, v1
.LBB22_567:
	s_mov_b32 s1, 0
.LBB22_568:
	s_delay_alu instid0(SALU_CYCLE_1)
	s_and_not1_b32 vcc_lo, exec_lo, s1
	s_cbranch_vccnz .LBB22_574
; %bb.569:
	s_cmp_gt_i32 s0, 0
	s_mov_b32 s0, 0
	s_cbranch_scc0 .LBB22_571
; %bb.570:
	s_wait_loadcnt 0x0
	global_load_i8 v1, v[4:5], off
	s_wait_loadcnt 0x0
	v_cvt_f32_i32_e32 v1, v1
	s_branch .LBB22_572
.LBB22_571:
	s_mov_b32 s0, -1
                                        ; implicit-def: $vgpr1
.LBB22_572:
	s_delay_alu instid0(SALU_CYCLE_1)
	s_and_not1_b32 vcc_lo, exec_lo, s0
	s_cbranch_vccnz .LBB22_574
; %bb.573:
	s_wait_loadcnt 0x0
	global_load_u8 v1, v[4:5], off
	s_wait_loadcnt 0x0
	v_cvt_f32_ubyte0_e32 v1, v1
.LBB22_574:
	s_branch .LBB22_313
.LBB22_575:
	s_mov_b32 s1, 0
	s_mov_b32 s0, s39
.LBB22_576:
                                        ; implicit-def: $vgpr0
.LBB22_577:
	s_and_not1_b32 s2, s39, exec_lo
	s_and_b32 s0, s0, exec_lo
	s_and_not1_b32 s25, s40, exec_lo
	s_and_b32 s24, s24, exec_lo
	s_or_b32 s43, s2, s0
	s_or_b32 s42, s25, s24
	s_or_not1_b32 s0, s1, exec_lo
.LBB22_578:
	s_wait_xcnt 0x0
	s_or_b32 exec_lo, exec_lo, s44
	s_mov_b32 s1, 0
	s_mov_b32 s24, 0
	;; [unrolled: 1-line block ×3, first 2 shown]
                                        ; implicit-def: $vgpr4_vgpr5
                                        ; implicit-def: $vgpr2
                                        ; implicit-def: $vgpr1
	s_and_saveexec_b32 s44, s0
	s_cbranch_execz .LBB22_975
; %bb.579:
	s_mov_b32 s25, -1
	s_mov_b32 s2, s42
	s_mov_b32 s26, s43
	s_mov_b32 s45, exec_lo
	v_cmpx_gt_i32_e64 s36, v0
	s_cbranch_execz .LBB22_872
; %bb.580:
	s_and_not1_b32 vcc_lo, exec_lo, s31
	s_cbranch_vccnz .LBB22_586
; %bb.581:
	s_and_not1_b32 vcc_lo, exec_lo, s38
	s_cbranch_vccnz .LBB22_587
; %bb.582:
	s_add_co_i32 s1, s37, 1
	s_cmp_eq_u32 s29, 2
	s_cbranch_scc1 .LBB22_588
; %bb.583:
	v_dual_mov_b32 v2, 0 :: v_dual_mov_b32 v4, 0
	s_wait_loadcnt 0x0
	v_mov_b32_e32 v1, v0
	s_and_b32 s0, s1, 28
	s_mov_b32 s2, 0
	s_mov_b64 s[24:25], s[16:17]
	s_mov_b64 s[26:27], s[22:23]
.LBB22_584:                             ; =>This Inner Loop Header: Depth=1
	s_clause 0x1
	s_load_b256 s[48:55], s[24:25], 0x4
	s_load_b128 s[64:67], s[24:25], 0x24
	s_load_b256 s[56:63], s[26:27], 0x0
	s_add_co_i32 s2, s2, 4
	s_wait_xcnt 0x0
	s_add_nc_u64 s[24:25], s[24:25], 48
	s_cmp_eq_u32 s0, s2
	s_add_nc_u64 s[26:27], s[26:27], 32
	s_wait_kmcnt 0x0
	v_mul_hi_u32 v3, s49, v1
	s_delay_alu instid0(VALU_DEP_1) | instskip(NEXT) | instid1(VALU_DEP_1)
	v_add_nc_u32_e32 v3, v1, v3
	v_lshrrev_b32_e32 v3, s50, v3
	s_delay_alu instid0(VALU_DEP_1) | instskip(NEXT) | instid1(VALU_DEP_1)
	v_mul_hi_u32 v5, s52, v3
	v_add_nc_u32_e32 v5, v3, v5
	s_delay_alu instid0(VALU_DEP_1) | instskip(NEXT) | instid1(VALU_DEP_1)
	v_lshrrev_b32_e32 v5, s53, v5
	v_mul_hi_u32 v6, s55, v5
	s_delay_alu instid0(VALU_DEP_1) | instskip(SKIP_1) | instid1(VALU_DEP_1)
	v_add_nc_u32_e32 v6, v5, v6
	v_mul_lo_u32 v7, v3, s48
	v_sub_nc_u32_e32 v1, v1, v7
	v_mul_lo_u32 v7, v5, s51
	s_delay_alu instid0(VALU_DEP_4) | instskip(NEXT) | instid1(VALU_DEP_3)
	v_lshrrev_b32_e32 v6, s64, v6
	v_mad_u32 v4, v1, s57, v4
	v_mad_u32 v1, v1, s56, v2
	s_delay_alu instid0(VALU_DEP_4) | instskip(NEXT) | instid1(VALU_DEP_4)
	v_sub_nc_u32_e32 v2, v3, v7
	v_mul_hi_u32 v8, s66, v6
	v_mul_lo_u32 v3, v6, s54
	s_delay_alu instid0(VALU_DEP_3) | instskip(SKIP_1) | instid1(VALU_DEP_3)
	v_mad_u32 v4, v2, s59, v4
	v_mad_u32 v2, v2, s58, v1
	v_dual_add_nc_u32 v7, v6, v8 :: v_dual_sub_nc_u32 v3, v5, v3
	s_delay_alu instid0(VALU_DEP_1) | instskip(NEXT) | instid1(VALU_DEP_2)
	v_lshrrev_b32_e32 v1, s67, v7
	v_mad_u32 v4, v3, s61, v4
	s_delay_alu instid0(VALU_DEP_4) | instskip(NEXT) | instid1(VALU_DEP_3)
	v_mad_u32 v2, v3, s60, v2
	v_mul_lo_u32 v5, v1, s65
	s_delay_alu instid0(VALU_DEP_1) | instskip(NEXT) | instid1(VALU_DEP_1)
	v_sub_nc_u32_e32 v3, v6, v5
	v_mad_u32 v4, v3, s63, v4
	s_delay_alu instid0(VALU_DEP_4)
	v_mad_u32 v2, v3, s62, v2
	s_cbranch_scc0 .LBB22_584
; %bb.585:
	s_delay_alu instid0(VALU_DEP_2)
	v_mov_b32_e32 v3, v4
	s_branch .LBB22_589
.LBB22_586:
	s_mov_b32 s0, -1
                                        ; implicit-def: $vgpr4
                                        ; implicit-def: $vgpr2
	s_branch .LBB22_594
.LBB22_587:
	v_dual_mov_b32 v4, 0 :: v_dual_mov_b32 v2, 0
	s_branch .LBB22_593
.LBB22_588:
	v_mov_b64_e32 v[2:3], 0
	s_wait_loadcnt 0x0
	v_mov_b32_e32 v1, v0
	s_mov_b32 s0, 0
                                        ; implicit-def: $vgpr4
.LBB22_589:
	s_and_b32 s2, s1, 3
	s_mov_b32 s1, 0
	s_cmp_eq_u32 s2, 0
	s_cbranch_scc1 .LBB22_593
; %bb.590:
	s_lshl_b32 s24, s0, 3
	s_mov_b32 s25, s1
	s_mul_u64 s[26:27], s[0:1], 12
	s_add_nc_u64 s[24:25], s[16:17], s[24:25]
	s_delay_alu instid0(SALU_CYCLE_1)
	s_add_nc_u64 s[0:1], s[24:25], 0xc4
	s_add_nc_u64 s[24:25], s[16:17], s[26:27]
.LBB22_591:                             ; =>This Inner Loop Header: Depth=1
	s_load_b96 s[48:50], s[24:25], 0x4
	s_load_b64 s[26:27], s[0:1], 0x0
	s_add_co_i32 s2, s2, -1
	s_wait_xcnt 0x0
	s_add_nc_u64 s[24:25], s[24:25], 12
	s_cmp_lg_u32 s2, 0
	s_add_nc_u64 s[0:1], s[0:1], 8
	s_wait_kmcnt 0x0
	v_mul_hi_u32 v4, s49, v1
	s_delay_alu instid0(VALU_DEP_1) | instskip(NEXT) | instid1(VALU_DEP_1)
	v_add_nc_u32_e32 v4, v1, v4
	v_lshrrev_b32_e32 v4, s50, v4
	s_delay_alu instid0(VALU_DEP_1) | instskip(NEXT) | instid1(VALU_DEP_1)
	v_mul_lo_u32 v5, v4, s48
	v_sub_nc_u32_e32 v1, v1, v5
	s_delay_alu instid0(VALU_DEP_1)
	v_mad_u32 v3, v1, s27, v3
	v_mad_u32 v2, v1, s26, v2
	v_mov_b32_e32 v1, v4
	s_cbranch_scc1 .LBB22_591
; %bb.592:
	s_delay_alu instid0(VALU_DEP_3)
	v_mov_b32_e32 v4, v3
.LBB22_593:
	s_mov_b32 s0, 0
.LBB22_594:
	s_delay_alu instid0(SALU_CYCLE_1)
	s_and_not1_b32 vcc_lo, exec_lo, s0
	s_cbranch_vccnz .LBB22_597
; %bb.595:
	s_wait_loadcnt 0x0
	v_mov_b32_e32 v1, 0
	s_and_not1_b32 vcc_lo, exec_lo, s35
	s_delay_alu instid0(VALU_DEP_1) | instskip(NEXT) | instid1(VALU_DEP_1)
	v_mul_u64_e32 v[2:3], s[18:19], v[0:1]
	v_add_nc_u32_e32 v2, v0, v3
	s_delay_alu instid0(VALU_DEP_1) | instskip(NEXT) | instid1(VALU_DEP_1)
	v_lshrrev_b32_e32 v6, s14, v2
	v_mul_lo_u32 v2, v6, s12
	s_delay_alu instid0(VALU_DEP_1) | instskip(NEXT) | instid1(VALU_DEP_1)
	v_sub_nc_u32_e32 v2, v0, v2
	v_mul_lo_u32 v4, v2, s9
	v_mul_lo_u32 v2, v2, s8
	s_cbranch_vccnz .LBB22_597
; %bb.596:
	v_mov_b32_e32 v7, v1
	s_delay_alu instid0(VALU_DEP_1) | instskip(NEXT) | instid1(VALU_DEP_1)
	v_mul_u64_e32 v[8:9], s[20:21], v[6:7]
	v_add_nc_u32_e32 v1, v6, v9
	s_delay_alu instid0(VALU_DEP_1) | instskip(NEXT) | instid1(VALU_DEP_1)
	v_lshrrev_b32_e32 v1, s3, v1
	v_mul_lo_u32 v1, v1, s15
	s_delay_alu instid0(VALU_DEP_1) | instskip(NEXT) | instid1(VALU_DEP_1)
	v_sub_nc_u32_e32 v1, v6, v1
	v_mad_u32 v2, v1, s10, v2
	v_mad_u32 v4, v1, s11, v4
.LBB22_597:
	v_mov_b32_e32 v5, 0
	s_and_b32 s0, 0xffff, s13
	s_delay_alu instid0(SALU_CYCLE_1) | instskip(NEXT) | instid1(VALU_DEP_1)
	s_cmp_lt_i32 s0, 11
	v_add_nc_u64_e32 v[4:5], s[6:7], v[4:5]
	s_cbranch_scc1 .LBB22_604
; %bb.598:
	s_cmp_gt_i32 s0, 25
	s_cbranch_scc0 .LBB22_605
; %bb.599:
	s_cmp_gt_i32 s0, 28
	s_cbranch_scc0 .LBB22_606
	;; [unrolled: 3-line block ×4, first 2 shown]
; %bb.602:
	s_cmp_eq_u32 s0, 46
	s_mov_b32 s2, 0
	s_cbranch_scc0 .LBB22_613
; %bb.603:
	s_wait_loadcnt 0x0
	global_load_b32 v1, v[4:5], off
	s_mov_b32 s1, -1
	s_mov_b32 s24, 0
	s_wait_loadcnt 0x0
	v_lshlrev_b32_e32 v1, 16, v1
	s_branch .LBB22_615
.LBB22_604:
	s_mov_b32 s2, -1
	s_mov_b32 s1, 0
	s_mov_b32 s24, s42
                                        ; implicit-def: $vgpr1
	s_branch .LBB22_680
.LBB22_605:
	s_mov_b32 s2, -1
	s_mov_b32 s1, 0
	s_mov_b32 s24, s42
                                        ; implicit-def: $vgpr1
	s_branch .LBB22_644
.LBB22_606:
	s_mov_b32 s2, -1
	s_mov_b32 s1, 0
	s_mov_b32 s24, s42
                                        ; implicit-def: $vgpr1
	s_branch .LBB22_625
.LBB22_607:
	s_mov_b32 s2, -1
	s_mov_b32 s1, 0
	s_mov_b32 s24, s42
                                        ; implicit-def: $vgpr1
	s_branch .LBB22_620
.LBB22_608:
	s_and_not1_saveexec_b32 s27, s27
	s_cbranch_execz .LBB22_375
.LBB22_609:
	v_add_f32_e64 v1, 0x46000000, |v4|
	s_and_not1_b32 s26, s26, exec_lo
	s_delay_alu instid0(VALU_DEP_1) | instskip(NEXT) | instid1(VALU_DEP_1)
	v_and_b32_e32 v1, 0xff, v1
	v_cmp_ne_u32_e32 vcc_lo, 0, v1
	s_and_b32 s42, vcc_lo, exec_lo
	s_delay_alu instid0(SALU_CYCLE_1)
	s_or_b32 s26, s26, s42
	s_or_b32 exec_lo, exec_lo, s27
	v_mov_b32_e32 v5, 0
	s_and_saveexec_b32 s27, s26
	s_cbranch_execnz .LBB22_376
	s_branch .LBB22_377
.LBB22_610:
	s_mov_b32 s2, -1
	s_mov_b32 s1, 0
	s_mov_b32 s24, s42
	s_branch .LBB22_614
.LBB22_611:
	s_and_not1_saveexec_b32 s27, s27
	s_cbranch_execz .LBB22_388
.LBB22_612:
	v_add_f32_e64 v1, 0x42800000, |v4|
	s_and_not1_b32 s26, s26, exec_lo
	s_delay_alu instid0(VALU_DEP_1) | instskip(NEXT) | instid1(VALU_DEP_1)
	v_and_b32_e32 v1, 0xff, v1
	v_cmp_ne_u32_e32 vcc_lo, 0, v1
	s_and_b32 s42, vcc_lo, exec_lo
	s_delay_alu instid0(SALU_CYCLE_1)
	s_or_b32 s26, s26, s42
	s_or_b32 exec_lo, exec_lo, s27
	v_mov_b32_e32 v5, 0
	s_and_saveexec_b32 s27, s26
	s_cbranch_execnz .LBB22_389
	s_branch .LBB22_390
.LBB22_613:
	s_mov_b32 s24, -1
	s_mov_b32 s1, 0
.LBB22_614:
                                        ; implicit-def: $vgpr1
.LBB22_615:
	s_and_b32 vcc_lo, exec_lo, s2
	s_cbranch_vccz .LBB22_619
; %bb.616:
	s_cmp_eq_u32 s0, 44
	s_cbranch_scc0 .LBB22_618
; %bb.617:
	s_wait_loadcnt 0x0
	global_load_u8 v1, v[4:5], off
	s_mov_b32 s24, 0
	s_mov_b32 s1, -1
	s_wait_loadcnt 0x0
	v_lshlrev_b32_e32 v3, 23, v1
	v_cmp_ne_u32_e32 vcc_lo, 0xff, v1
	s_delay_alu instid0(VALU_DEP_2) | instskip(SKIP_1) | instid1(VALU_DEP_2)
	v_cndmask_b32_e32 v3, 0x7f800001, v3, vcc_lo
	v_cmp_ne_u32_e32 vcc_lo, 0, v1
	v_cndmask_b32_e32 v1, 0x400000, v3, vcc_lo
	s_branch .LBB22_619
.LBB22_618:
	s_mov_b32 s24, -1
                                        ; implicit-def: $vgpr1
.LBB22_619:
	s_mov_b32 s2, 0
.LBB22_620:
	s_delay_alu instid0(SALU_CYCLE_1)
	s_and_b32 vcc_lo, exec_lo, s2
	s_cbranch_vccz .LBB22_624
; %bb.621:
	s_cmp_eq_u32 s0, 29
	s_cbranch_scc0 .LBB22_623
; %bb.622:
	global_load_b64 v[6:7], v[4:5], off
	s_mov_b32 s1, -1
	s_mov_b32 s24, 0
	s_mov_b32 s2, 0
	s_wait_loadcnt 0x0
	v_clz_i32_u32_e32 v1, v7
	s_delay_alu instid0(VALU_DEP_1) | instskip(NEXT) | instid1(VALU_DEP_1)
	v_min_u32_e32 v1, 32, v1
	v_lshlrev_b64_e32 v[6:7], v1, v[6:7]
	v_sub_nc_u32_e32 v1, 32, v1
	s_delay_alu instid0(VALU_DEP_2) | instskip(NEXT) | instid1(VALU_DEP_1)
	v_min_u32_e32 v3, 1, v6
	v_or_b32_e32 v3, v7, v3
	s_delay_alu instid0(VALU_DEP_1) | instskip(NEXT) | instid1(VALU_DEP_1)
	v_cvt_f32_u32_e32 v3, v3
	v_ldexp_f32 v1, v3, v1
	s_branch .LBB22_625
.LBB22_623:
	s_mov_b32 s24, -1
                                        ; implicit-def: $vgpr1
.LBB22_624:
	s_mov_b32 s2, 0
.LBB22_625:
	s_delay_alu instid0(SALU_CYCLE_1)
	s_and_b32 vcc_lo, exec_lo, s2
	s_cbranch_vccz .LBB22_643
; %bb.626:
	s_cmp_lt_i32 s0, 27
	s_cbranch_scc1 .LBB22_629
; %bb.627:
	s_cmp_gt_i32 s0, 27
	s_cbranch_scc0 .LBB22_630
; %bb.628:
	s_wait_loadcnt 0x0
	global_load_b32 v1, v[4:5], off
	s_mov_b32 s1, 0
	s_wait_loadcnt 0x0
	v_cvt_f32_u32_e32 v1, v1
	s_branch .LBB22_631
.LBB22_629:
	s_mov_b32 s1, -1
                                        ; implicit-def: $vgpr1
	s_branch .LBB22_634
.LBB22_630:
	s_mov_b32 s1, -1
                                        ; implicit-def: $vgpr1
.LBB22_631:
	s_delay_alu instid0(SALU_CYCLE_1)
	s_and_not1_b32 vcc_lo, exec_lo, s1
	s_cbranch_vccnz .LBB22_633
; %bb.632:
	s_wait_loadcnt 0x0
	global_load_u16 v1, v[4:5], off
	s_wait_loadcnt 0x0
	v_cvt_f32_u32_e32 v1, v1
.LBB22_633:
	s_mov_b32 s1, 0
.LBB22_634:
	s_delay_alu instid0(SALU_CYCLE_1)
	s_and_not1_b32 vcc_lo, exec_lo, s1
	s_cbranch_vccnz .LBB22_642
; %bb.635:
	global_load_u8 v3, v[4:5], off
	s_mov_b32 s1, 0
	s_mov_b32 s2, exec_lo
	s_wait_loadcnt 0x0
	v_cmpx_lt_i16_e32 0x7f, v3
	s_xor_b32 s2, exec_lo, s2
	s_cbranch_execz .LBB22_656
; %bb.636:
	s_mov_b32 s1, -1
	s_mov_b32 s25, exec_lo
	v_cmpx_eq_u16_e32 0x80, v3
; %bb.637:
	s_xor_b32 s1, exec_lo, -1
; %bb.638:
	s_or_b32 exec_lo, exec_lo, s25
	s_delay_alu instid0(SALU_CYCLE_1)
	s_and_b32 s1, s1, exec_lo
	s_or_saveexec_b32 s2, s2
	v_mov_b32_e32 v1, 0x7f800001
	s_xor_b32 exec_lo, exec_lo, s2
	s_cbranch_execnz .LBB22_657
.LBB22_639:
	s_or_b32 exec_lo, exec_lo, s2
	s_and_saveexec_b32 s2, s1
	s_cbranch_execz .LBB22_641
.LBB22_640:
	v_and_b32_e32 v1, 0xffff, v3
	s_delay_alu instid0(VALU_DEP_1) | instskip(SKIP_1) | instid1(VALU_DEP_2)
	v_and_b32_e32 v6, 7, v1
	v_bfe_u32 v9, v1, 3, 4
	v_clz_i32_u32_e32 v7, v6
	s_delay_alu instid0(VALU_DEP_2) | instskip(NEXT) | instid1(VALU_DEP_2)
	v_cmp_eq_u32_e32 vcc_lo, 0, v9
	v_min_u32_e32 v7, 32, v7
	s_delay_alu instid0(VALU_DEP_1) | instskip(NEXT) | instid1(VALU_DEP_1)
	v_subrev_nc_u32_e32 v8, 28, v7
	v_dual_lshlrev_b32 v1, v8, v1 :: v_dual_sub_nc_u32 v7, 29, v7
	s_delay_alu instid0(VALU_DEP_1) | instskip(NEXT) | instid1(VALU_DEP_1)
	v_dual_lshlrev_b32 v3, 24, v3 :: v_dual_bitop2_b32 v1, 7, v1 bitop3:0x40
	v_dual_cndmask_b32 v1, v6, v1, vcc_lo :: v_dual_cndmask_b32 v7, v9, v7, vcc_lo
	s_delay_alu instid0(VALU_DEP_2) | instskip(NEXT) | instid1(VALU_DEP_2)
	v_and_b32_e32 v3, 0x80000000, v3
	v_lshlrev_b32_e32 v1, 20, v1
	s_delay_alu instid0(VALU_DEP_3) | instskip(NEXT) | instid1(VALU_DEP_1)
	v_lshl_add_u32 v6, v7, 23, 0x3b800000
	v_or3_b32 v1, v3, v6, v1
.LBB22_641:
	s_or_b32 exec_lo, exec_lo, s2
.LBB22_642:
	s_mov_b32 s1, -1
.LBB22_643:
	s_mov_b32 s2, 0
.LBB22_644:
	s_delay_alu instid0(SALU_CYCLE_1)
	s_and_b32 vcc_lo, exec_lo, s2
	s_cbranch_vccz .LBB22_679
; %bb.645:
	s_cmp_gt_i32 s0, 22
	s_cbranch_scc0 .LBB22_655
; %bb.646:
	s_cmp_lt_i32 s0, 24
	s_cbranch_scc1 .LBB22_658
; %bb.647:
	s_cmp_gt_i32 s0, 24
	s_cbranch_scc0 .LBB22_659
; %bb.648:
	global_load_u8 v3, v[4:5], off
	s_mov_b32 s1, 0
	s_mov_b32 s2, exec_lo
	s_wait_loadcnt 0x0
	v_cmpx_lt_i16_e32 0x7f, v3
	s_xor_b32 s2, exec_lo, s2
	s_cbranch_execz .LBB22_671
; %bb.649:
	s_mov_b32 s1, -1
	s_mov_b32 s25, exec_lo
	v_cmpx_eq_u16_e32 0x80, v3
; %bb.650:
	s_xor_b32 s1, exec_lo, -1
; %bb.651:
	s_or_b32 exec_lo, exec_lo, s25
	s_delay_alu instid0(SALU_CYCLE_1)
	s_and_b32 s1, s1, exec_lo
	s_or_saveexec_b32 s2, s2
	v_mov_b32_e32 v1, 0x7f800001
	s_xor_b32 exec_lo, exec_lo, s2
	s_cbranch_execnz .LBB22_672
.LBB22_652:
	s_or_b32 exec_lo, exec_lo, s2
	s_and_saveexec_b32 s2, s1
	s_cbranch_execz .LBB22_654
.LBB22_653:
	v_and_b32_e32 v1, 0xffff, v3
	s_delay_alu instid0(VALU_DEP_1) | instskip(SKIP_1) | instid1(VALU_DEP_2)
	v_and_b32_e32 v6, 3, v1
	v_bfe_u32 v9, v1, 2, 5
	v_clz_i32_u32_e32 v7, v6
	s_delay_alu instid0(VALU_DEP_2) | instskip(NEXT) | instid1(VALU_DEP_2)
	v_cmp_eq_u32_e32 vcc_lo, 0, v9
	v_min_u32_e32 v7, 32, v7
	s_delay_alu instid0(VALU_DEP_1) | instskip(NEXT) | instid1(VALU_DEP_1)
	v_subrev_nc_u32_e32 v8, 29, v7
	v_dual_lshlrev_b32 v1, v8, v1 :: v_dual_sub_nc_u32 v7, 30, v7
	s_delay_alu instid0(VALU_DEP_1) | instskip(NEXT) | instid1(VALU_DEP_1)
	v_dual_lshlrev_b32 v3, 24, v3 :: v_dual_bitop2_b32 v1, 3, v1 bitop3:0x40
	v_dual_cndmask_b32 v1, v6, v1, vcc_lo :: v_dual_cndmask_b32 v7, v9, v7, vcc_lo
	s_delay_alu instid0(VALU_DEP_2) | instskip(NEXT) | instid1(VALU_DEP_2)
	v_and_b32_e32 v3, 0x80000000, v3
	v_lshlrev_b32_e32 v1, 21, v1
	s_delay_alu instid0(VALU_DEP_3) | instskip(NEXT) | instid1(VALU_DEP_1)
	v_lshl_add_u32 v6, v7, 23, 0x37800000
	v_or3_b32 v1, v3, v6, v1
.LBB22_654:
	s_or_b32 exec_lo, exec_lo, s2
	s_mov_b32 s1, 0
	s_branch .LBB22_660
.LBB22_655:
	s_mov_b32 s2, -1
                                        ; implicit-def: $vgpr1
	s_branch .LBB22_666
.LBB22_656:
	s_or_saveexec_b32 s2, s2
	v_mov_b32_e32 v1, 0x7f800001
	s_xor_b32 exec_lo, exec_lo, s2
	s_cbranch_execz .LBB22_639
.LBB22_657:
	v_cmp_ne_u16_e32 vcc_lo, 0, v3
	v_mov_b32_e32 v1, 0
	s_and_not1_b32 s1, s1, exec_lo
	s_and_b32 s25, vcc_lo, exec_lo
	s_delay_alu instid0(SALU_CYCLE_1)
	s_or_b32 s1, s1, s25
	s_or_b32 exec_lo, exec_lo, s2
	s_and_saveexec_b32 s2, s1
	s_cbranch_execnz .LBB22_640
	s_branch .LBB22_641
.LBB22_658:
	s_mov_b32 s1, -1
                                        ; implicit-def: $vgpr1
	s_branch .LBB22_663
.LBB22_659:
	s_mov_b32 s1, -1
                                        ; implicit-def: $vgpr1
.LBB22_660:
	s_delay_alu instid0(SALU_CYCLE_1)
	s_and_b32 vcc_lo, exec_lo, s1
	s_cbranch_vccz .LBB22_662
; %bb.661:
	s_wait_loadcnt 0x0
	global_load_u8 v1, v[4:5], off
	s_wait_loadcnt 0x0
	v_lshlrev_b32_e32 v1, 24, v1
	s_delay_alu instid0(VALU_DEP_1) | instskip(NEXT) | instid1(VALU_DEP_1)
	v_and_b32_e32 v3, 0x7f000000, v1
	v_clz_i32_u32_e32 v6, v3
	v_cmp_ne_u32_e32 vcc_lo, 0, v3
	v_add_nc_u32_e32 v8, 0x1000000, v3
	s_delay_alu instid0(VALU_DEP_3) | instskip(NEXT) | instid1(VALU_DEP_1)
	v_min_u32_e32 v6, 32, v6
	v_sub_nc_u32_e64 v6, v6, 4 clamp
	s_delay_alu instid0(VALU_DEP_1) | instskip(NEXT) | instid1(VALU_DEP_1)
	v_dual_lshlrev_b32 v7, v6, v3 :: v_dual_lshlrev_b32 v6, 23, v6
	v_lshrrev_b32_e32 v7, 4, v7
	s_delay_alu instid0(VALU_DEP_1) | instskip(NEXT) | instid1(VALU_DEP_1)
	v_dual_sub_nc_u32 v6, v7, v6 :: v_dual_ashrrev_i32 v7, 8, v8
	v_add_nc_u32_e32 v6, 0x3c000000, v6
	s_delay_alu instid0(VALU_DEP_1) | instskip(NEXT) | instid1(VALU_DEP_1)
	v_and_or_b32 v6, 0x7f800000, v7, v6
	v_cndmask_b32_e32 v3, 0, v6, vcc_lo
	s_delay_alu instid0(VALU_DEP_1)
	v_and_or_b32 v1, 0x80000000, v1, v3
.LBB22_662:
	s_mov_b32 s1, 0
.LBB22_663:
	s_delay_alu instid0(SALU_CYCLE_1)
	s_and_not1_b32 vcc_lo, exec_lo, s1
	s_cbranch_vccnz .LBB22_665
; %bb.664:
	s_wait_loadcnt 0x0
	global_load_u8 v1, v[4:5], off
	s_wait_loadcnt 0x0
	v_lshlrev_b32_e32 v3, 25, v1
	v_lshlrev_b16 v1, 8, v1
	s_delay_alu instid0(VALU_DEP_1) | instskip(SKIP_1) | instid1(VALU_DEP_2)
	v_and_or_b32 v7, 0x7f00, v1, 0.5
	v_bfe_i32 v1, v1, 0, 16
	v_add_f32_e32 v7, -0.5, v7
	v_lshrrev_b32_e32 v6, 4, v3
	v_cmp_gt_u32_e32 vcc_lo, 0x8000000, v3
	s_delay_alu instid0(VALU_DEP_2) | instskip(NEXT) | instid1(VALU_DEP_1)
	v_or_b32_e32 v6, 0x70000000, v6
	v_mul_f32_e32 v6, 0x7800000, v6
	s_delay_alu instid0(VALU_DEP_1) | instskip(NEXT) | instid1(VALU_DEP_1)
	v_cndmask_b32_e32 v3, v6, v7, vcc_lo
	v_and_or_b32 v1, 0x80000000, v1, v3
.LBB22_665:
	s_mov_b32 s2, 0
	s_mov_b32 s1, -1
.LBB22_666:
	s_and_not1_b32 vcc_lo, exec_lo, s2
	s_cbranch_vccnz .LBB22_679
; %bb.667:
	s_cmp_gt_i32 s0, 14
	s_cbranch_scc0 .LBB22_670
; %bb.668:
	s_cmp_eq_u32 s0, 15
	s_cbranch_scc0 .LBB22_673
; %bb.669:
	s_wait_loadcnt 0x0
	global_load_u16 v1, v[4:5], off
	s_mov_b32 s1, -1
	s_mov_b32 s24, 0
	s_wait_loadcnt 0x0
	v_lshlrev_b32_e32 v1, 16, v1
	s_branch .LBB22_674
.LBB22_670:
	s_mov_b32 s2, -1
                                        ; implicit-def: $vgpr1
	s_branch .LBB22_675
.LBB22_671:
	s_or_saveexec_b32 s2, s2
	v_mov_b32_e32 v1, 0x7f800001
	s_xor_b32 exec_lo, exec_lo, s2
	s_cbranch_execz .LBB22_652
.LBB22_672:
	v_cmp_ne_u16_e32 vcc_lo, 0, v3
	v_mov_b32_e32 v1, 0
	s_and_not1_b32 s1, s1, exec_lo
	s_and_b32 s25, vcc_lo, exec_lo
	s_delay_alu instid0(SALU_CYCLE_1)
	s_or_b32 s1, s1, s25
	s_or_b32 exec_lo, exec_lo, s2
	s_and_saveexec_b32 s2, s1
	s_cbranch_execnz .LBB22_653
	s_branch .LBB22_654
.LBB22_673:
	s_mov_b32 s24, -1
                                        ; implicit-def: $vgpr1
.LBB22_674:
	s_mov_b32 s2, 0
.LBB22_675:
	s_delay_alu instid0(SALU_CYCLE_1)
	s_and_b32 vcc_lo, exec_lo, s2
	s_cbranch_vccz .LBB22_679
; %bb.676:
	s_cmp_eq_u32 s0, 11
	s_cbranch_scc0 .LBB22_678
; %bb.677:
	s_wait_loadcnt 0x0
	global_load_u8 v1, v[4:5], off
	s_mov_b32 s24, 0
	s_mov_b32 s1, -1
	s_wait_loadcnt 0x0
	v_cmp_ne_u16_e32 vcc_lo, 0, v1
	v_cndmask_b32_e64 v1, 0, 1.0, vcc_lo
	s_branch .LBB22_679
.LBB22_678:
	s_mov_b32 s24, -1
                                        ; implicit-def: $vgpr1
.LBB22_679:
	s_mov_b32 s2, 0
.LBB22_680:
	s_delay_alu instid0(SALU_CYCLE_1)
	s_and_b32 vcc_lo, exec_lo, s2
	s_cbranch_vccz .LBB22_729
; %bb.681:
	s_cmp_lt_i32 s0, 5
	s_cbranch_scc1 .LBB22_686
; %bb.682:
	s_cmp_lt_i32 s0, 8
	s_cbranch_scc1 .LBB22_687
	;; [unrolled: 3-line block ×3, first 2 shown]
; %bb.684:
	s_cmp_gt_i32 s0, 9
	s_cbranch_scc0 .LBB22_689
; %bb.685:
	global_load_b64 v[6:7], v[4:5], off
	s_mov_b32 s1, 0
	s_wait_loadcnt 0x0
	v_cvt_f32_f64_e32 v1, v[6:7]
	s_branch .LBB22_690
.LBB22_686:
	s_mov_b32 s1, -1
                                        ; implicit-def: $vgpr1
	s_branch .LBB22_708
.LBB22_687:
	s_mov_b32 s1, -1
                                        ; implicit-def: $vgpr1
	s_branch .LBB22_696
.LBB22_688:
	s_mov_b32 s1, -1
                                        ; implicit-def: $vgpr1
	s_branch .LBB22_693
.LBB22_689:
	s_mov_b32 s1, -1
                                        ; implicit-def: $vgpr1
.LBB22_690:
	s_delay_alu instid0(SALU_CYCLE_1)
	s_and_not1_b32 vcc_lo, exec_lo, s1
	s_cbranch_vccnz .LBB22_692
; %bb.691:
	s_wait_loadcnt 0x0
	global_load_b32 v1, v[4:5], off
.LBB22_692:
	s_mov_b32 s1, 0
.LBB22_693:
	s_delay_alu instid0(SALU_CYCLE_1)
	s_and_not1_b32 vcc_lo, exec_lo, s1
	s_cbranch_vccnz .LBB22_695
; %bb.694:
	s_wait_loadcnt 0x0
	global_load_b32 v1, v[4:5], off
	s_wait_loadcnt 0x0
	v_cvt_f32_f16_e32 v1, v1
.LBB22_695:
	s_mov_b32 s1, 0
.LBB22_696:
	s_delay_alu instid0(SALU_CYCLE_1)
	s_and_not1_b32 vcc_lo, exec_lo, s1
	s_cbranch_vccnz .LBB22_707
; %bb.697:
	s_cmp_lt_i32 s0, 6
	s_cbranch_scc1 .LBB22_700
; %bb.698:
	s_cmp_gt_i32 s0, 6
	s_cbranch_scc0 .LBB22_701
; %bb.699:
	global_load_b64 v[6:7], v[4:5], off
	s_mov_b32 s1, 0
	s_wait_loadcnt 0x0
	v_cvt_f32_f64_e32 v1, v[6:7]
	s_branch .LBB22_702
.LBB22_700:
	s_mov_b32 s1, -1
                                        ; implicit-def: $vgpr1
	s_branch .LBB22_705
.LBB22_701:
	s_mov_b32 s1, -1
                                        ; implicit-def: $vgpr1
.LBB22_702:
	s_delay_alu instid0(SALU_CYCLE_1)
	s_and_not1_b32 vcc_lo, exec_lo, s1
	s_cbranch_vccnz .LBB22_704
; %bb.703:
	s_wait_loadcnt 0x0
	global_load_b32 v1, v[4:5], off
.LBB22_704:
	s_mov_b32 s1, 0
.LBB22_705:
	s_delay_alu instid0(SALU_CYCLE_1)
	s_and_not1_b32 vcc_lo, exec_lo, s1
	s_cbranch_vccnz .LBB22_707
; %bb.706:
	s_wait_loadcnt 0x0
	global_load_u16 v1, v[4:5], off
	s_wait_loadcnt 0x0
	v_cvt_f32_f16_e32 v1, v1
.LBB22_707:
	s_mov_b32 s1, 0
.LBB22_708:
	s_delay_alu instid0(SALU_CYCLE_1)
	s_and_not1_b32 vcc_lo, exec_lo, s1
	s_cbranch_vccnz .LBB22_728
; %bb.709:
	s_cmp_lt_i32 s0, 2
	s_cbranch_scc1 .LBB22_713
; %bb.710:
	s_cmp_lt_i32 s0, 3
	s_cbranch_scc1 .LBB22_714
; %bb.711:
	s_cmp_gt_i32 s0, 3
	s_cbranch_scc0 .LBB22_715
; %bb.712:
	global_load_b64 v[6:7], v[4:5], off
	s_mov_b32 s1, 0
	s_wait_loadcnt 0x0
	v_xor_b32_e32 v1, v6, v7
	v_cls_i32_e32 v3, v7
	s_delay_alu instid0(VALU_DEP_2) | instskip(NEXT) | instid1(VALU_DEP_1)
	v_ashrrev_i32_e32 v1, 31, v1
	v_add_nc_u32_e32 v1, 32, v1
	s_delay_alu instid0(VALU_DEP_1) | instskip(NEXT) | instid1(VALU_DEP_1)
	v_add_min_u32_e64 v1, v3, -1, v1
	v_lshlrev_b64_e32 v[6:7], v1, v[6:7]
	v_sub_nc_u32_e32 v1, 32, v1
	s_delay_alu instid0(VALU_DEP_2) | instskip(NEXT) | instid1(VALU_DEP_1)
	v_min_u32_e32 v3, 1, v6
	v_or_b32_e32 v3, v7, v3
	s_delay_alu instid0(VALU_DEP_1) | instskip(NEXT) | instid1(VALU_DEP_1)
	v_cvt_f32_i32_e32 v3, v3
	v_ldexp_f32 v1, v3, v1
	s_branch .LBB22_716
.LBB22_713:
	s_mov_b32 s1, -1
                                        ; implicit-def: $vgpr1
	s_branch .LBB22_722
.LBB22_714:
	s_mov_b32 s1, -1
                                        ; implicit-def: $vgpr1
	s_branch .LBB22_719
.LBB22_715:
	s_mov_b32 s1, -1
                                        ; implicit-def: $vgpr1
.LBB22_716:
	s_delay_alu instid0(SALU_CYCLE_1)
	s_and_not1_b32 vcc_lo, exec_lo, s1
	s_cbranch_vccnz .LBB22_718
; %bb.717:
	s_wait_loadcnt 0x0
	global_load_b32 v1, v[4:5], off
	s_wait_loadcnt 0x0
	v_cvt_f32_i32_e32 v1, v1
.LBB22_718:
	s_mov_b32 s1, 0
.LBB22_719:
	s_delay_alu instid0(SALU_CYCLE_1)
	s_and_not1_b32 vcc_lo, exec_lo, s1
	s_cbranch_vccnz .LBB22_721
; %bb.720:
	s_wait_loadcnt 0x0
	global_load_i16 v1, v[4:5], off
	s_wait_loadcnt 0x0
	v_cvt_f32_i32_e32 v1, v1
.LBB22_721:
	s_mov_b32 s1, 0
.LBB22_722:
	s_delay_alu instid0(SALU_CYCLE_1)
	s_and_not1_b32 vcc_lo, exec_lo, s1
	s_cbranch_vccnz .LBB22_728
; %bb.723:
	s_cmp_gt_i32 s0, 0
	s_mov_b32 s0, 0
	s_cbranch_scc0 .LBB22_725
; %bb.724:
	s_wait_loadcnt 0x0
	global_load_i8 v1, v[4:5], off
	s_wait_loadcnt 0x0
	v_cvt_f32_i32_e32 v1, v1
	s_branch .LBB22_726
.LBB22_725:
	s_mov_b32 s0, -1
                                        ; implicit-def: $vgpr1
.LBB22_726:
	s_delay_alu instid0(SALU_CYCLE_1)
	s_and_not1_b32 vcc_lo, exec_lo, s0
	s_cbranch_vccnz .LBB22_728
; %bb.727:
	s_wait_loadcnt 0x0
	global_load_u8 v1, v[4:5], off
	s_wait_loadcnt 0x0
	v_cvt_f32_ubyte0_e32 v1, v1
.LBB22_728:
	s_mov_b32 s1, -1
.LBB22_729:
	s_delay_alu instid0(SALU_CYCLE_1)
	s_and_not1_b32 vcc_lo, exec_lo, s1
	s_cbranch_vccnz .LBB22_739
; %bb.730:
                                        ; implicit-def: $vgpr4
	s_mov_b32 s0, exec_lo
	s_wait_loadcnt 0x0
	s_delay_alu instid0(VALU_DEP_1)
	v_cmpx_ge_f32_e32 0x40a00000, v1
	s_xor_b32 s25, exec_lo, s0
	s_cbranch_execz .LBB22_736
; %bb.731:
	v_mov_b32_e32 v4, 0xff800000
	s_mov_b32 s26, exec_lo
	v_cmpx_neq_f32_e32 0, v1
	s_cbranch_execz .LBB22_735
; %bb.732:
	v_mov_b32_e32 v4, 0x7fc00000
	s_mov_b32 s27, exec_lo
	v_cmpx_nge_f32_e32 0, v1
	s_cbranch_execz .LBB22_734
; %bb.733:
	v_mul_f32_e32 v4, v1, v1
	v_mov_b64_e32 v[6:7], 0x4c8c277d4e9695f3
	v_mov_b64_e32 v[10:11], 0x508bc61dd316b96b
	v_mov_b64_e32 v[12:13], 0x5461faf856d04aa6
	v_div_scale_f32 v22, s2, -1.0, v1, -1.0
	v_dual_fmaak_f32 v3, 0, v4, 0x4414934d :: v_dual_mul_f32 v8, 0, v4
	v_fmaak_f32 v5, 0, v4, 0x441b3589
	v_mov_b64_e32 v[14:15], 0x548a37dcce5691e2
	v_mov_b64_e32 v[16:17], 0x5832585252d295d0
	s_delay_alu instid0(VALU_DEP_4) | instskip(SKIP_2) | instid1(VALU_DEP_3)
	v_fmaak_f32 v3, v4, v3, 0x48660b06
	v_cmp_gt_f32_e64 s0, 0x800000, v1
	v_fmaak_f32 v5, v4, v5, 0x487af6d0
	v_mul_f32_e32 v9, v4, v3
	s_delay_alu instid0(VALU_DEP_2) | instskip(NEXT) | instid1(VALU_DEP_2)
	v_fmaak_f32 v3, v4, v5, 0x4c9f4aa7
	v_pk_add_f32 v[6:7], v[8:9], v[6:7]
	s_delay_alu instid0(VALU_DEP_2) | instskip(NEXT) | instid1(VALU_DEP_2)
	v_fmaak_f32 v3, v4, v3, 0x50a509fc
	v_pk_fma_f32 v[6:7], v[4:5], v[6:7], v[10:11] op_sel_hi:[0,1,1]
	v_mov_b64_e32 v[10:11], 0x580d1937d9e700d2
	s_delay_alu instid0(VALU_DEP_3) | instskip(NEXT) | instid1(VALU_DEP_3)
	v_mul_f32_e32 v9, v4, v3
	v_pk_fma_f32 v[6:7], v[4:5], v[6:7], v[12:13] op_sel_hi:[0,1,1]
	v_mov_b64_e32 v[12:13], 0x5b741f1e5c33cd68
	s_delay_alu instid0(VALU_DEP_3) | instskip(SKIP_1) | instid1(VALU_DEP_4)
	v_pk_add_f32 v[8:9], v[8:9], v[14:15]
	v_mov_b64_e32 v[14:15], 0x5b9f0600d6845497
	v_pk_fma_f32 v[6:7], v[4:5], v[6:7], v[10:11] op_sel_hi:[0,1,1]
	v_mov_b64_e32 v[10:11], 0x5e5c878ddd2cf20b
	s_delay_alu instid0(VALU_DEP_4) | instskip(SKIP_1) | instid1(VALU_DEP_4)
	v_pk_fma_f32 v[8:9], v[4:5], v[8:9], v[16:17] op_sel_hi:[0,1,1]
	v_mov_b64_e32 v[16:17], 0x5e93bcac59515a15
	v_pk_fma_f32 v[6:7], v[4:5], v[6:7], v[12:13] op_sel_hi:[0,1,1]
	v_div_scale_f32 v13, null, v1, v1, -1.0
	s_delay_alu instid0(VALU_DEP_4) | instskip(NEXT) | instid1(VALU_DEP_3)
	v_pk_fma_f32 v[8:9], v[4:5], v[8:9], v[14:15] op_sel_hi:[0,1,1]
	v_pk_fma_f32 v[6:7], v[4:5], v[6:7], v[10:11] op_sel_hi:[0,1,1]
	v_cndmask_b32_e64 v10, 0, 32, s0
	s_delay_alu instid0(VALU_DEP_2) | instskip(NEXT) | instid1(VALU_DEP_2)
	v_div_scale_f32 v3, null, v7, v7, v6
	v_ldexp_f32 v10, v1, v10
	s_delay_alu instid0(VALU_DEP_2) | instskip(NEXT) | instid1(VALU_DEP_1)
	v_rcp_f32_e32 v11, v3
	v_log_f32_e32 v19, v10
	s_delay_alu instid0(TRANS32_DEP_2) | instskip(NEXT) | instid1(VALU_DEP_1)
	v_fma_f32 v14, -v3, v11, 1.0
	v_fmac_f32_e32 v11, v14, v11
	v_pk_fma_f32 v[8:9], v[4:5], v[8:9], v[16:17] op_sel_hi:[0,1,1]
	v_div_scale_f32 v16, vcc_lo, v6, v7, v6
	v_rcp_f32_e32 v14, v13
	s_delay_alu instid0(VALU_DEP_2) | instskip(SKIP_1) | instid1(VALU_DEP_2)
	v_div_scale_f32 v5, null, v9, v9, v8
	v_div_scale_f32 v17, s1, v8, v9, v8
	v_rcp_f32_e32 v12, v5
	s_delay_alu instid0(TRANS32_DEP_2) | instskip(NEXT) | instid1(VALU_DEP_1)
	v_fma_f32 v10, -v13, v14, 1.0
	v_fmac_f32_e32 v14, v10, v14
	s_delay_alu instid0(TRANS32_DEP_1) | instskip(NEXT) | instid1(VALU_DEP_1)
	v_fma_f32 v15, -v5, v12, 1.0
	v_dual_fmac_f32 v12, v15, v12 :: v_dual_mul_f32 v15, v16, v11
	s_delay_alu instid0(VALU_DEP_1) | instskip(NEXT) | instid1(VALU_DEP_1)
	v_dual_mul_f32 v18, v17, v12 :: v_dual_fma_f32 v20, -v3, v15, v16
	v_dual_fma_f32 v21, -v5, v18, v17 :: v_dual_fmac_f32 v15, v20, v11
	s_delay_alu instid0(VALU_DEP_1) | instskip(SKIP_1) | instid1(VALU_DEP_2)
	v_dual_fmac_f32 v18, v21, v12 :: v_dual_fma_f32 v3, -v3, v15, v16
	v_mul_f32_e32 v16, v22, v14
	v_fma_f32 v5, -v5, v18, v17
	s_delay_alu instid0(VALU_DEP_3) | instskip(SKIP_2) | instid1(VALU_DEP_3)
	v_div_fmas_f32 v3, v3, v11, v15
	s_mov_b32 vcc_lo, s1
	v_mov_b64_e32 v[10:11], 0xc16ae95ac244dfb3
	v_div_fmas_f32 v5, v5, v12, v18
	v_fma_f32 v12, -v13, v16, v22
	v_mul_f32_e32 v23, 0x3f317217, v19
	v_cmp_gt_f32_e64 vcc_lo, 0x7f800000, |v19|
	v_div_fixup_f32 v3, v3, v7, v6
	v_div_fixup_f32 v8, v5, v9, v8
	v_fmac_f32_e32 v16, v12, v14
	v_fma_f32 v20, 0x3f317217, v19, -v23
	v_pk_add_f32 v[4:5], v[4:5], v[10:11] op_sel_hi:[0,1]
	v_cndmask_b32_e64 v9, 0, 0x41b17218, s0
	v_mul_f32_e32 v8, v1, v8
	s_delay_alu instid0(VALU_DEP_1) | instskip(NEXT) | instid1(VALU_DEP_1)
	v_mul_f32_e32 v5, v5, v8
	v_dual_fmamk_f32 v15, v19, 0x3377d1cf, v20 :: v_dual_mul_f32 v4, v4, v5
	s_delay_alu instid0(VALU_DEP_1) | instskip(NEXT) | instid1(VALU_DEP_1)
	v_fmac_f32_e32 v15, 0x3f317217, v19
	v_dual_fma_f32 v10, -v13, v16, v22 :: v_dual_cndmask_b32 v11, v19, v15, vcc_lo
	s_mov_b32 vcc_lo, s2
	s_delay_alu instid0(VALU_DEP_1) | instskip(NEXT) | instid1(VALU_DEP_2)
	v_div_fmas_f32 v8, v10, v14, v16
	v_sub_f32_e32 v9, v11, v9
	s_delay_alu instid0(VALU_DEP_2) | instskip(NEXT) | instid1(VALU_DEP_1)
	v_div_fixup_f32 v5, v8, v1, -1.0
	v_fmac_f32_e32 v5, v9, v4
	s_delay_alu instid0(VALU_DEP_1) | instskip(NEXT) | instid1(VALU_DEP_1)
	v_mul_f32_e32 v4, 0x3f22f983, v5
	v_fmac_f32_e32 v4, v1, v3
.LBB22_734:
	s_or_b32 exec_lo, exec_lo, s27
.LBB22_735:
	s_delay_alu instid0(SALU_CYCLE_1)
	s_or_b32 exec_lo, exec_lo, s26
                                        ; implicit-def: $vgpr1
.LBB22_736:
	s_and_not1_saveexec_b32 s25, s25
	s_cbranch_execz .LBB22_747
; %bb.737:
	v_add_f32_e32 v3, 0xc016cbe4, v1
                                        ; implicit-def: $vgpr6
                                        ; implicit-def: $vgpr5
	s_delay_alu instid0(VALU_DEP_1) | instskip(SKIP_2) | instid1(SALU_CYCLE_1)
	v_and_b32_e32 v4, 0x7fffffff, v3
	v_cmp_ngt_f32_e64 s2, 0x48000000, |v3|
	s_and_saveexec_b32 s0, s2
	s_xor_b32 s26, exec_lo, s0
	s_cbranch_execz .LBB22_740
; %bb.738:
	s_mov_b32 s0, 0x7fffff
	v_mov_b32_e32 v7, 0
	v_and_or_b32 v6, v4, s0, 0x800000
	s_mov_b64 s[0:1], 0xfe5163ab
	v_lshrrev_b32_e32 v5, 23, v4
	s_delay_alu instid0(VALU_DEP_2) | instskip(NEXT) | instid1(VALU_DEP_1)
	v_mul_u64_e32 v[8:9], s[0:1], v[6:7]
	v_dual_mov_b32 v10, v9 :: v_dual_mov_b32 v11, v7
	v_dual_mov_b32 v13, v7 :: v_dual_mov_b32 v15, v7
	;; [unrolled: 1-line block ×3, first 2 shown]
	s_delay_alu instid0(VALU_DEP_3) | instskip(NEXT) | instid1(VALU_DEP_1)
	v_mad_nc_u64_u32 v[10:11], 0x3c439041, v6, v[10:11]
	v_mov_b32_e32 v12, v11
	s_delay_alu instid0(VALU_DEP_1) | instskip(NEXT) | instid1(VALU_DEP_1)
	v_mad_nc_u64_u32 v[12:13], 0xdb629599, v6, v[12:13]
	v_mov_b32_e32 v14, v13
	s_delay_alu instid0(VALU_DEP_1) | instskip(NEXT) | instid1(VALU_DEP_1)
	;; [unrolled: 3-line block ×3, first 2 shown]
	v_mad_nc_u64_u32 v[16:17], 0xfc2757d1, v6, v[16:17]
	v_dual_mov_b32 v19, v7 :: v_dual_mov_b32 v18, v17
	s_delay_alu instid0(VALU_DEP_1) | instskip(NEXT) | instid1(VALU_DEP_1)
	v_mad_nc_u64_u32 v[18:19], 0x4e441529, v6, v[18:19]
	v_dual_mov_b32 v20, v19 :: v_dual_add_nc_u32 v5, 0xffffff88, v5
	s_delay_alu instid0(VALU_DEP_1) | instskip(NEXT) | instid1(VALU_DEP_2)
	v_cmp_lt_u32_e32 vcc_lo, 63, v5
	v_mad_nc_u64_u32 v[6:7], 0xa2f9836e, v6, v[20:21]
	v_cndmask_b32_e64 v9, 0, 0xffffffc0, vcc_lo
	v_dual_cndmask_b32 v11, v18, v14 :: v_dual_cndmask_b32 v8, v12, v8
	s_delay_alu instid0(VALU_DEP_2) | instskip(NEXT) | instid1(VALU_DEP_1)
	v_add_nc_u32_e32 v5, v9, v5
	v_cmp_lt_u32_e64 s0, 31, v5
	v_dual_cndmask_b32 v6, v6, v16 :: v_dual_cndmask_b32 v7, v7, v18
	s_delay_alu instid0(VALU_DEP_2) | instskip(NEXT) | instid1(VALU_DEP_1)
	v_cndmask_b32_e64 v9, 0, 0xffffffe0, s0
	v_add_nc_u32_e32 v5, v9, v5
	s_delay_alu instid0(VALU_DEP_1) | instskip(NEXT) | instid1(VALU_DEP_1)
	v_cmp_lt_u32_e64 s1, 31, v5
	v_cndmask_b32_e64 v9, 0, 0xffffffe0, s1
	s_delay_alu instid0(VALU_DEP_1) | instskip(SKIP_2) | instid1(VALU_DEP_3)
	v_dual_cndmask_b32 v13, v16, v12, vcc_lo :: v_dual_add_nc_u32 v5, v9, v5
	v_cndmask_b32_e32 v9, v14, v10, vcc_lo
	v_dual_cndmask_b32 v10, v6, v11, s0 :: v_dual_cndmask_b32 v6, v7, v6, s0
	v_cndmask_b32_e64 v7, v11, v13, s0
	s_delay_alu instid0(VALU_DEP_4) | instskip(NEXT) | instid1(VALU_DEP_4)
	v_sub_nc_u32_e32 v11, 32, v5
	v_cndmask_b32_e64 v13, v13, v9, s0
	v_cmp_eq_u32_e32 vcc_lo, 0, v5
	v_cndmask_b32_e64 v6, v6, v10, s1
	s_delay_alu instid0(VALU_DEP_3) | instskip(NEXT) | instid1(VALU_DEP_1)
	v_dual_cndmask_b32 v10, v10, v7, s1 :: v_dual_cndmask_b32 v7, v7, v13, s1
	v_alignbit_b32 v14, v6, v10, v11
	s_delay_alu instid0(VALU_DEP_2) | instskip(NEXT) | instid1(VALU_DEP_2)
	v_alignbit_b32 v12, v10, v7, v11
	v_dual_cndmask_b32 v5, v14, v6, vcc_lo :: v_dual_cndmask_b32 v6, v9, v8, s0
	s_delay_alu instid0(VALU_DEP_1) | instskip(NEXT) | instid1(VALU_DEP_1)
	v_bfe_u32 v9, v5, 29, 1
	v_dual_cndmask_b32 v8, v12, v10, vcc_lo :: v_dual_sub_nc_u32 v12, 0, v9
	s_delay_alu instid0(VALU_DEP_1) | instskip(NEXT) | instid1(VALU_DEP_1)
	v_alignbit_b32 v10, v5, v8, 30
	v_dual_cndmask_b32 v6, v13, v6, s1 :: v_dual_bitop2_b32 v10, v10, v12 bitop3:0x14
	s_delay_alu instid0(VALU_DEP_1) | instskip(NEXT) | instid1(VALU_DEP_1)
	v_alignbit_b32 v11, v7, v6, v11
	v_cndmask_b32_e32 v7, v11, v7, vcc_lo
	s_delay_alu instid0(VALU_DEP_3) | instskip(NEXT) | instid1(VALU_DEP_2)
	v_clz_i32_u32_e32 v11, v10
	v_alignbit_b32 v6, v7, v6, 30
	s_delay_alu instid0(VALU_DEP_2) | instskip(NEXT) | instid1(VALU_DEP_2)
	v_min_u32_e32 v11, 32, v11
	v_xor_b32_e32 v6, v6, v12
	v_alignbit_b32 v8, v8, v7, 30
	s_delay_alu instid0(VALU_DEP_1) | instskip(SKIP_1) | instid1(VALU_DEP_1)
	v_dual_lshlrev_b32 v13, 23, v11 :: v_dual_bitop2_b32 v7, v8, v12 bitop3:0x14
	v_dual_sub_nc_u32 v8, 31, v11 :: v_dual_lshrrev_b32 v12, 29, v5
	v_alignbit_b32 v10, v10, v7, v8
	v_alignbit_b32 v6, v7, v6, v8
	s_delay_alu instid0(VALU_DEP_3) | instskip(NEXT) | instid1(VALU_DEP_2)
	v_lshlrev_b32_e32 v7, 31, v12
	v_alignbit_b32 v8, v10, v6, 9
	s_delay_alu instid0(VALU_DEP_2) | instskip(NEXT) | instid1(VALU_DEP_2)
	v_dual_lshrrev_b32 v10, 9, v10 :: v_dual_bitop2_b32 v12, 0.5, v7 bitop3:0x54
	v_clz_i32_u32_e32 v14, v8
	s_delay_alu instid0(VALU_DEP_2) | instskip(SKIP_1) | instid1(VALU_DEP_3)
	v_sub_nc_u32_e32 v12, v12, v13
	v_or_b32_e32 v7, 0x33000000, v7
	v_min_u32_e32 v13, 32, v14
	s_delay_alu instid0(VALU_DEP_1) | instskip(NEXT) | instid1(VALU_DEP_4)
	v_add_lshl_u32 v11, v13, v11, 23
	v_or_b32_e32 v10, v10, v12
	v_not_b32_e32 v12, v13
	s_delay_alu instid0(VALU_DEP_2) | instskip(NEXT) | instid1(VALU_DEP_2)
	v_dual_mul_f32 v14, 0x3fc90fda, v10 :: v_dual_sub_nc_u32 v7, v7, v11
	v_alignbit_b32 v6, v8, v6, v12
	s_delay_alu instid0(VALU_DEP_2) | instskip(NEXT) | instid1(VALU_DEP_2)
	v_fma_f32 v8, 0x3fc90fda, v10, -v14
	v_lshrrev_b32_e32 v6, 9, v6
	s_delay_alu instid0(VALU_DEP_2) | instskip(NEXT) | instid1(VALU_DEP_2)
	v_fmamk_f32 v8, v10, 0x33a22168, v8
	v_or_b32_e32 v6, v7, v6
	s_delay_alu instid0(VALU_DEP_1) | instskip(NEXT) | instid1(VALU_DEP_1)
	v_fmac_f32_e32 v8, 0x3fc90fda, v6
	v_dual_add_f32 v5, v14, v8 :: v_dual_lshrrev_b32 v6, 30, v5
	s_delay_alu instid0(VALU_DEP_1)
	v_add_nc_u32_e32 v6, v9, v6
	s_and_not1_saveexec_b32 s0, s26
	s_branch .LBB22_741
.LBB22_739:
	s_mov_b32 s1, 0
	s_mov_b32 s0, s43
	s_branch .LBB22_870
.LBB22_740:
	s_and_not1_saveexec_b32 s0, s26
.LBB22_741:
	v_mul_f32_e64 v5, 0x3f22f983, |v3|
	s_delay_alu instid0(VALU_DEP_1) | instskip(NEXT) | instid1(VALU_DEP_1)
	v_rndne_f32_e32 v6, v5
	v_fma_f32 v5, 0xbfc90fda, v6, |v3|
	s_delay_alu instid0(VALU_DEP_1) | instskip(NEXT) | instid1(VALU_DEP_1)
	v_fmamk_f32 v5, v6, 0xb3a22168, v5
	v_fmamk_f32 v5, v6, 0xa7c234c4, v5
	v_cvt_i32_f32_e32 v6, v6
; %bb.742:
	s_or_b32 exec_lo, exec_lo, s0
                                        ; implicit-def: $vgpr8
                                        ; implicit-def: $vgpr7
	s_and_saveexec_b32 s0, s2
	s_delay_alu instid0(SALU_CYCLE_1)
	s_xor_b32 s2, exec_lo, s0
	s_cbranch_execz .LBB22_744
; %bb.743:
	s_mov_b32 s0, 0x7fffff
	v_mov_b32_e32 v9, 0
	v_and_or_b32 v8, v4, s0, 0x800000
	s_mov_b64 s[0:1], 0xfe5163ab
	v_lshrrev_b32_e32 v7, 23, v4
	s_delay_alu instid0(VALU_DEP_2) | instskip(NEXT) | instid1(VALU_DEP_1)
	v_mul_u64_e32 v[10:11], s[0:1], v[8:9]
	v_dual_mov_b32 v12, v11 :: v_dual_mov_b32 v13, v9
	v_dual_mov_b32 v15, v9 :: v_dual_mov_b32 v17, v9
	;; [unrolled: 1-line block ×3, first 2 shown]
	s_delay_alu instid0(VALU_DEP_3) | instskip(NEXT) | instid1(VALU_DEP_1)
	v_mad_nc_u64_u32 v[12:13], 0x3c439041, v8, v[12:13]
	v_mov_b32_e32 v14, v13
	s_delay_alu instid0(VALU_DEP_1) | instskip(NEXT) | instid1(VALU_DEP_1)
	v_mad_nc_u64_u32 v[14:15], 0xdb629599, v8, v[14:15]
	v_mov_b32_e32 v16, v15
	s_delay_alu instid0(VALU_DEP_1) | instskip(NEXT) | instid1(VALU_DEP_1)
	v_mad_nc_u64_u32 v[16:17], 0xf534ddc0, v8, v[16:17]
	v_mov_b32_e32 v18, v17
	s_delay_alu instid0(VALU_DEP_1) | instskip(NEXT) | instid1(VALU_DEP_1)
	v_mad_nc_u64_u32 v[18:19], 0xfc2757d1, v8, v[18:19]
	v_dual_mov_b32 v21, v9 :: v_dual_mov_b32 v20, v19
	s_delay_alu instid0(VALU_DEP_1) | instskip(NEXT) | instid1(VALU_DEP_1)
	v_mad_nc_u64_u32 v[20:21], 0x4e441529, v8, v[20:21]
	v_dual_mov_b32 v22, v21 :: v_dual_add_nc_u32 v7, 0xffffff88, v7
	s_delay_alu instid0(VALU_DEP_1) | instskip(NEXT) | instid1(VALU_DEP_2)
	v_cmp_lt_u32_e32 vcc_lo, 63, v7
	v_mad_nc_u64_u32 v[8:9], 0xa2f9836e, v8, v[22:23]
	v_cndmask_b32_e64 v11, 0, 0xffffffc0, vcc_lo
	v_dual_cndmask_b32 v13, v20, v16 :: v_dual_cndmask_b32 v10, v14, v10
	s_delay_alu instid0(VALU_DEP_2) | instskip(NEXT) | instid1(VALU_DEP_1)
	v_add_nc_u32_e32 v7, v11, v7
	v_cmp_lt_u32_e64 s0, 31, v7
	v_dual_cndmask_b32 v8, v8, v18 :: v_dual_cndmask_b32 v9, v9, v20
	s_delay_alu instid0(VALU_DEP_2) | instskip(NEXT) | instid1(VALU_DEP_1)
	v_cndmask_b32_e64 v11, 0, 0xffffffe0, s0
	v_add_nc_u32_e32 v7, v11, v7
	s_delay_alu instid0(VALU_DEP_1) | instskip(NEXT) | instid1(VALU_DEP_1)
	v_cmp_lt_u32_e64 s1, 31, v7
	v_cndmask_b32_e64 v11, 0, 0xffffffe0, s1
	s_delay_alu instid0(VALU_DEP_1) | instskip(SKIP_2) | instid1(VALU_DEP_3)
	v_dual_cndmask_b32 v15, v18, v14, vcc_lo :: v_dual_add_nc_u32 v7, v11, v7
	v_cndmask_b32_e32 v11, v16, v12, vcc_lo
	v_dual_cndmask_b32 v12, v8, v13, s0 :: v_dual_cndmask_b32 v8, v9, v8, s0
	v_cndmask_b32_e64 v9, v13, v15, s0
	s_delay_alu instid0(VALU_DEP_4) | instskip(NEXT) | instid1(VALU_DEP_4)
	v_sub_nc_u32_e32 v13, 32, v7
	v_cndmask_b32_e64 v15, v15, v11, s0
	v_cmp_eq_u32_e32 vcc_lo, 0, v7
	v_cndmask_b32_e64 v8, v8, v12, s1
	s_delay_alu instid0(VALU_DEP_3) | instskip(NEXT) | instid1(VALU_DEP_1)
	v_dual_cndmask_b32 v12, v12, v9, s1 :: v_dual_cndmask_b32 v9, v9, v15, s1
	v_alignbit_b32 v16, v8, v12, v13
	s_delay_alu instid0(VALU_DEP_2) | instskip(NEXT) | instid1(VALU_DEP_2)
	v_alignbit_b32 v14, v12, v9, v13
	v_dual_cndmask_b32 v7, v16, v8, vcc_lo :: v_dual_cndmask_b32 v8, v11, v10, s0
	s_delay_alu instid0(VALU_DEP_1) | instskip(NEXT) | instid1(VALU_DEP_1)
	v_bfe_u32 v11, v7, 29, 1
	v_dual_cndmask_b32 v10, v14, v12, vcc_lo :: v_dual_sub_nc_u32 v14, 0, v11
	s_delay_alu instid0(VALU_DEP_1) | instskip(NEXT) | instid1(VALU_DEP_1)
	v_alignbit_b32 v12, v7, v10, 30
	v_dual_cndmask_b32 v8, v15, v8, s1 :: v_dual_bitop2_b32 v12, v12, v14 bitop3:0x14
	s_delay_alu instid0(VALU_DEP_1) | instskip(NEXT) | instid1(VALU_DEP_1)
	v_alignbit_b32 v13, v9, v8, v13
	v_cndmask_b32_e32 v9, v13, v9, vcc_lo
	s_delay_alu instid0(VALU_DEP_3) | instskip(NEXT) | instid1(VALU_DEP_2)
	v_clz_i32_u32_e32 v13, v12
	v_alignbit_b32 v8, v9, v8, 30
	s_delay_alu instid0(VALU_DEP_2) | instskip(NEXT) | instid1(VALU_DEP_2)
	v_min_u32_e32 v13, 32, v13
	v_xor_b32_e32 v8, v8, v14
	v_alignbit_b32 v10, v10, v9, 30
	s_delay_alu instid0(VALU_DEP_1) | instskip(SKIP_1) | instid1(VALU_DEP_1)
	v_dual_lshlrev_b32 v15, 23, v13 :: v_dual_bitop2_b32 v9, v10, v14 bitop3:0x14
	v_dual_sub_nc_u32 v10, 31, v13 :: v_dual_lshrrev_b32 v14, 29, v7
	v_alignbit_b32 v12, v12, v9, v10
	v_alignbit_b32 v8, v9, v8, v10
	s_delay_alu instid0(VALU_DEP_3) | instskip(NEXT) | instid1(VALU_DEP_2)
	v_lshlrev_b32_e32 v9, 31, v14
	v_alignbit_b32 v10, v12, v8, 9
	s_delay_alu instid0(VALU_DEP_2) | instskip(NEXT) | instid1(VALU_DEP_2)
	v_dual_lshrrev_b32 v12, 9, v12 :: v_dual_bitop2_b32 v14, 0.5, v9 bitop3:0x54
	v_clz_i32_u32_e32 v16, v10
	s_delay_alu instid0(VALU_DEP_2) | instskip(SKIP_1) | instid1(VALU_DEP_3)
	v_sub_nc_u32_e32 v14, v14, v15
	v_or_b32_e32 v9, 0x33000000, v9
	v_min_u32_e32 v15, 32, v16
	s_delay_alu instid0(VALU_DEP_1) | instskip(NEXT) | instid1(VALU_DEP_4)
	v_add_lshl_u32 v13, v15, v13, 23
	v_or_b32_e32 v12, v12, v14
	v_not_b32_e32 v14, v15
	s_delay_alu instid0(VALU_DEP_2) | instskip(NEXT) | instid1(VALU_DEP_2)
	v_dual_mul_f32 v16, 0x3fc90fda, v12 :: v_dual_sub_nc_u32 v9, v9, v13
	v_alignbit_b32 v8, v10, v8, v14
	s_delay_alu instid0(VALU_DEP_2) | instskip(NEXT) | instid1(VALU_DEP_2)
	v_fma_f32 v10, 0x3fc90fda, v12, -v16
	v_lshrrev_b32_e32 v8, 9, v8
	s_delay_alu instid0(VALU_DEP_2) | instskip(NEXT) | instid1(VALU_DEP_2)
	v_fmamk_f32 v10, v12, 0x33a22168, v10
	v_or_b32_e32 v8, v9, v8
	s_delay_alu instid0(VALU_DEP_1) | instskip(NEXT) | instid1(VALU_DEP_1)
	v_fmac_f32_e32 v10, 0x3fc90fda, v8
	v_dual_add_f32 v7, v16, v10 :: v_dual_lshrrev_b32 v8, 30, v7
	s_delay_alu instid0(VALU_DEP_1)
	v_add_nc_u32_e32 v8, v11, v8
	s_and_not1_saveexec_b32 s0, s2
	s_cbranch_execnz .LBB22_745
	s_branch .LBB22_746
.LBB22_744:
	s_and_not1_saveexec_b32 s0, s2
.LBB22_745:
	v_mul_f32_e64 v7, 0x3f22f983, |v3|
	s_delay_alu instid0(VALU_DEP_1) | instskip(NEXT) | instid1(VALU_DEP_1)
	v_rndne_f32_e32 v8, v7
	v_fma_f32 v7, 0xbfc90fda, v8, |v3|
	s_delay_alu instid0(VALU_DEP_1) | instskip(NEXT) | instid1(VALU_DEP_1)
	v_fmamk_f32 v7, v8, 0xb3a22168, v7
	v_fmamk_f32 v7, v8, 0xa7c234c4, v7
	v_cvt_i32_f32_e32 v8, v8
.LBB22_746:
	s_or_b32 exec_lo, exec_lo, s0
	v_div_scale_f32 v9, null, v1, v1, 0x40a00000
	v_div_scale_f32 v12, vcc_lo, 0x40a00000, v1, 0x40a00000
	s_mov_b32 s0, 0xb94c1982
	v_rcp_f32_e32 v10, v9
	s_mov_b32 s1, 0x37d75334
	v_xor_b32_e32 v4, v4, v3
	v_and_b32_e32 v14, 1, v8
	s_delay_alu instid0(TRANS32_DEP_1) | instskip(NEXT) | instid1(VALU_DEP_1)
	v_fma_f32 v11, -v9, v10, 1.0
	v_fmac_f32_e32 v10, v11, v10
	s_delay_alu instid0(VALU_DEP_1) | instskip(NEXT) | instid1(VALU_DEP_1)
	v_mul_f32_e32 v11, v12, v10
	v_fma_f32 v13, -v9, v11, v12
	s_delay_alu instid0(VALU_DEP_1) | instskip(NEXT) | instid1(VALU_DEP_1)
	v_dual_fmac_f32 v11, v13, v10 :: v_dual_mul_f32 v13, v7, v7
	v_fma_f32 v9, -v9, v11, v12
	s_delay_alu instid0(VALU_DEP_2) | instskip(SKIP_1) | instid1(VALU_DEP_3)
	v_fmaak_f32 v22, s0, v13, 0x3c0881c4
	v_fmaak_f32 v23, s1, v13, 0xbab64f3b
	v_div_fmas_f32 v9, v9, v10, v11
	v_dual_mul_f32 v10, v5, v5 :: v_dual_bitop2_b32 v11, 1, v6 bitop3:0x40
	s_delay_alu instid0(VALU_DEP_4) | instskip(NEXT) | instid1(VALU_DEP_4)
	v_fmaak_f32 v22, v13, v22, 0xbe2aaa9d
	v_fmaak_f32 v23, v13, v23, 0x3d2aabf7
	s_delay_alu instid0(VALU_DEP_4) | instskip(NEXT) | instid1(VALU_DEP_4)
	v_div_fixup_f32 v9, v9, v1, 0x40a00000
	v_fmaak_f32 v20, s0, v10, 0x3c0881c4
	v_cmp_gt_f32_e64 s0, 0xf800000, v1
	v_cmp_eq_u32_e64 s2, 0, v11
	v_fmaak_f32 v23, v13, v23, 0xbf000004
	v_dual_mul_f32 v12, v9, v9 :: v_dual_lshlrev_b32 v6, 30, v6
	v_fmaak_f32 v20, v10, v20, 0xbe2aaa9d
	v_dual_mul_f32 v19, 0x4f800000, v1 :: v_dual_mul_f32 v22, v13, v22
	s_delay_alu instid0(VALU_DEP_3) | instskip(SKIP_1) | instid1(VALU_DEP_3)
	v_fmaak_f32 v15, 0, v12, 0x3d513fd3
	v_fmaak_f32 v16, 0, v12, 0x3a15c4d9
	v_dual_mul_f32 v20, v10, v20 :: v_dual_cndmask_b32 v1, v1, v19, s0
	s_delay_alu instid0(VALU_DEP_3) | instskip(NEXT) | instid1(VALU_DEP_3)
	v_dual_fmaak_f32 v15, v12, v15, 0x409f6dae :: v_dual_lshlrev_b32 v8, 30, v8
	v_dual_fmaak_f32 v16, v12, v16, 0x3d8cfeeb :: v_dual_fmac_f32 v7, v7, v22
	s_delay_alu instid0(VALU_DEP_3) | instskip(SKIP_2) | instid1(VALU_DEP_3)
	v_sqrt_f32_e32 v26, v1
	v_fmaak_f32 v18, 0, v12, 0x3a47c962
	v_fmaak_f32 v17, 0, v12, 0x42947983
	;; [unrolled: 1-line block ×3, first 2 shown]
	v_fmac_f32_e32 v5, v5, v20
	v_fma_f32 v13, v13, v23, 1.0
	v_and_b32_e32 v6, 0x80000000, v6
	v_add_nc_u32_e32 v31, 1, v26
	v_fmaak_f32 v18, v12, v18, 0x3d95ca45
	v_fmaak_f32 v16, v12, v16, 0x40a25d18
	v_fmaak_f32 v17, v12, v17, 0x44840e5d
	s_delay_alu instid0(VALU_DEP_3) | instskip(NEXT) | instid1(VALU_DEP_3)
	v_fmaak_f32 v18, v12, v18, 0x3f9047f6
	v_fmaak_f32 v16, v12, v16, 0x410665cf
	s_delay_alu instid0(VALU_DEP_3) | instskip(NEXT) | instid1(VALU_DEP_3)
	v_fmaak_f32 v17, v12, v17, 0x459bd349
	v_fmaak_f32 v18, v12, v18, 0x40a39628
	;; [unrolled: 3-line block ×3, first 2 shown]
	s_delay_alu instid0(VALU_DEP_3) | instskip(NEXT) | instid1(VALU_DEP_3)
	v_fmaak_f32 v18, v12, v18, 0x4106c8e4
	v_fma_f32 v16, v12, v16, 1.0
	s_delay_alu instid0(VALU_DEP_3) | instskip(NEXT) | instid1(VALU_DEP_3)
	v_fmaak_f32 v17, v12, v17, 0x45f9e855
	v_fmaak_f32 v18, v12, v18, 0x40a6dd51
	s_delay_alu instid0(VALU_DEP_2) | instskip(NEXT) | instid1(VALU_DEP_2)
	v_fmaak_f32 v17, v12, v17, 0x4530a316
	v_fma_f32 v18, v12, v18, 1.0
	s_delay_alu instid0(VALU_DEP_2) | instskip(NEXT) | instid1(VALU_DEP_2)
	v_fmaak_f32 v17, v12, v17, 0x43a80bfb
	v_div_scale_f32 v29, vcc_lo, v18, v16, v18
	v_fmaak_f32 v15, v12, v15, 0x4297a5cd
	s_delay_alu instid0(VALU_DEP_1) | instskip(NEXT) | instid1(VALU_DEP_1)
	v_fmaak_f32 v15, v12, v15, 0x43b763ca
	v_fmaak_f32 v15, v12, v15, 0x4431b6ce
	s_delay_alu instid0(VALU_DEP_1) | instskip(NEXT) | instid1(VALU_DEP_1)
	v_fmaak_f32 v15, v12, v15, 0x44155f56
	v_fmaak_f32 v15, v12, v15, 0x4353b052
	s_delay_alu instid0(VALU_DEP_1) | instskip(SKIP_1) | instid1(VALU_DEP_2)
	v_fmaak_f32 v12, v12, v15, 0x41c9a7fa
	v_div_scale_f32 v15, null, v16, v16, v18
	v_div_scale_f32 v19, null, v17, v17, v12
	s_delay_alu instid0(VALU_DEP_2) | instskip(NEXT) | instid1(VALU_DEP_1)
	v_rcp_f32_e32 v24, v15
	v_rcp_f32_e32 v25, v19
	s_delay_alu instid0(TRANS32_DEP_2) | instskip(NEXT) | instid1(TRANS32_DEP_1)
	v_fma_f32 v27, -v15, v24, 1.0
	v_fma_f32 v28, -v19, v25, 1.0
	s_delay_alu instid0(VALU_DEP_1) | instskip(NEXT) | instid1(VALU_DEP_1)
	v_dual_fmac_f32 v24, v27, v24 :: v_dual_fmac_f32 v25, v28, v25
	v_dual_add_nc_u32 v28, -1, v26 :: v_dual_mul_f32 v30, v29, v24
	s_delay_alu instid0(VALU_DEP_1) | instskip(SKIP_2) | instid1(VALU_DEP_4)
	v_fma_f32 v20, -v15, v30, v29
	v_fmaak_f32 v21, s1, v10, 0xbab64f3b
	v_div_scale_f32 v27, s1, v12, v17, v12
	v_fma_f32 v22, -v28, v26, v1
	s_delay_alu instid0(VALU_DEP_3) | instskip(NEXT) | instid1(VALU_DEP_3)
	v_dual_fmac_f32 v30, v20, v24 :: v_dual_fmaak_f32 v21, v10, v21, 0x3d2aabf7
	v_mul_f32_e32 v32, v27, v25
	s_delay_alu instid0(VALU_DEP_2) | instskip(NEXT) | instid1(VALU_DEP_1)
	v_fmaak_f32 v21, v10, v21, 0xbf000004
	v_fma_f32 v10, v10, v21, 1.0
	s_delay_alu instid0(VALU_DEP_3) | instskip(NEXT) | instid1(VALU_DEP_2)
	v_fma_f32 v21, -v19, v32, v27
	v_dual_fma_f32 v20, -v31, v26, v1 :: v_dual_cndmask_b32 v5, v10, v5, s2
	s_delay_alu instid0(VALU_DEP_2) | instskip(SKIP_1) | instid1(VALU_DEP_3)
	v_dual_fmac_f32 v32, v21, v25 :: v_dual_fma_f32 v10, -v15, v30, v29
	v_cmp_eq_u32_e64 s2, 0, v14
	v_xor3_b32 v4, v4, v6, v5
	s_delay_alu instid0(VALU_DEP_3) | instskip(NEXT) | instid1(VALU_DEP_4)
	v_fma_f32 v11, -v19, v32, v27
	v_div_fmas_f32 v10, v10, v24, v30
	s_mov_b32 vcc_lo, s1
	v_cndmask_b32_e64 v7, -v7, v13, s2
	v_cmp_lt_f32_e64 s1, 0, v20
	v_div_fmas_f32 v11, v11, v25, v32
	v_cmp_ge_f32_e32 vcc_lo, 0, v22
	s_delay_alu instid0(VALU_DEP_2)
	v_div_fixup_f32 v5, v11, v17, v12
	v_cndmask_b32_e32 v13, v26, v28, vcc_lo
	v_cmp_class_f32_e64 vcc_lo, v3, 0x1f8
	v_bitop3_b32 v3, v8, v7, 0x80000000 bitop3:0x6c
	v_div_fixup_f32 v8, v10, v16, v18
	v_mul_f32_e32 v5, v9, v5
	v_cndmask_b32_e64 v6, v13, v31, s1
	v_cndmask_b32_e32 v4, 0x7fc00000, v4, vcc_lo
	v_cndmask_b32_e32 v3, 0x7fc00000, v3, vcc_lo
	v_cmp_class_f32_e64 vcc_lo, v1, 0x260
	s_delay_alu instid0(VALU_DEP_4) | instskip(NEXT) | instid1(VALU_DEP_3)
	v_mul_f32_e32 v7, 0x37800000, v6
	v_mul_f32_e32 v3, v5, v3
	s_delay_alu instid0(VALU_DEP_1) | instskip(NEXT) | instid1(VALU_DEP_1)
	v_dual_cndmask_b32 v5, v6, v7, s0 :: v_dual_fmac_f32 v3, v8, v4
	v_cndmask_b32_e32 v1, v5, v1, vcc_lo
	s_delay_alu instid0(VALU_DEP_2) | instskip(NEXT) | instid1(VALU_DEP_1)
	v_mul_f32_e32 v3, 0x3f4c422a, v3
	v_div_scale_f32 v4, null, v1, v1, v3
	s_delay_alu instid0(VALU_DEP_1) | instskip(SKIP_1) | instid1(TRANS32_DEP_1)
	v_rcp_f32_e32 v5, v4
	v_nop
	v_fma_f32 v6, -v4, v5, 1.0
	s_delay_alu instid0(VALU_DEP_1) | instskip(SKIP_1) | instid1(VALU_DEP_1)
	v_fmac_f32_e32 v5, v6, v5
	v_div_scale_f32 v6, vcc_lo, v3, v1, v3
	v_mul_f32_e32 v7, v6, v5
	s_delay_alu instid0(VALU_DEP_1) | instskip(NEXT) | instid1(VALU_DEP_1)
	v_fma_f32 v8, -v4, v7, v6
	v_fmac_f32_e32 v7, v8, v5
	s_delay_alu instid0(VALU_DEP_1) | instskip(NEXT) | instid1(VALU_DEP_1)
	v_fma_f32 v4, -v4, v7, v6
	v_div_fmas_f32 v4, v4, v5, v7
	s_delay_alu instid0(VALU_DEP_1)
	v_div_fixup_f32 v4, v4, v1, v3
.LBB22_747:
	s_or_b32 exec_lo, exec_lo, s25
	v_mov_b32_e32 v3, 0
	s_and_b32 s1, s34, 0xff
	s_delay_alu instid0(SALU_CYCLE_1) | instskip(NEXT) | instid1(VALU_DEP_1)
	s_cmp_lt_i32 s1, 11
	v_add_nc_u64_e32 v[2:3], s[4:5], v[2:3]
	s_cbranch_scc1 .LBB22_754
; %bb.748:
	s_and_b32 s2, 0xffff, s1
	s_delay_alu instid0(SALU_CYCLE_1)
	s_cmp_gt_i32 s2, 25
	s_cbranch_scc0 .LBB22_755
; %bb.749:
	s_cmp_gt_i32 s2, 28
	s_cbranch_scc0 .LBB22_756
; %bb.750:
	;; [unrolled: 3-line block ×4, first 2 shown]
	s_mov_b32 s26, 0
	s_mov_b32 s0, -1
	s_cmp_eq_u32 s2, 46
	s_mov_b32 s25, 0
	s_cbranch_scc0 .LBB22_759
; %bb.753:
	v_bfe_u32 v1, v4, 16, 1
	v_cmp_o_f32_e32 vcc_lo, v4, v4
	s_mov_b32 s25, -1
	s_mov_b32 s0, 0
	s_delay_alu instid0(VALU_DEP_2) | instskip(NEXT) | instid1(VALU_DEP_1)
	v_add3_u32 v1, v4, v1, 0x7fff
	v_lshrrev_b32_e32 v1, 16, v1
	s_delay_alu instid0(VALU_DEP_1)
	v_cndmask_b32_e32 v1, 0x7fc0, v1, vcc_lo
	global_store_b32 v[2:3], v1, off
	s_branch .LBB22_759
.LBB22_754:
	s_mov_b32 s2, -1
	s_mov_b32 s25, 0
	s_mov_b32 s0, s43
	s_branch .LBB22_828
.LBB22_755:
	s_mov_b32 s26, -1
	s_mov_b32 s25, 0
	s_mov_b32 s0, s43
	s_branch .LBB22_786
.LBB22_756:
	s_mov_b32 s26, -1
	s_mov_b32 s25, 0
	s_mov_b32 s0, s43
	s_branch .LBB22_769
.LBB22_757:
	s_mov_b32 s26, -1
	s_mov_b32 s25, 0
	s_mov_b32 s0, s43
	s_branch .LBB22_765
.LBB22_758:
	s_mov_b32 s26, -1
	s_mov_b32 s25, 0
	s_mov_b32 s0, s43
.LBB22_759:
	s_and_b32 vcc_lo, exec_lo, s26
	s_cbranch_vccz .LBB22_764
; %bb.760:
	s_cmp_eq_u32 s2, 44
	s_mov_b32 s0, -1
	s_cbranch_scc0 .LBB22_764
; %bb.761:
	v_bfe_u32 v5, v4, 23, 8
	s_wait_xcnt 0x0
	v_mov_b32_e32 v1, 0xff
	s_mov_b32 s25, exec_lo
	s_delay_alu instid0(VALU_DEP_2)
	v_cmpx_ne_u32_e32 0xff, v5
	s_cbranch_execz .LBB22_763
; %bb.762:
	v_and_b32_e32 v1, 0x400000, v4
	v_and_or_b32 v5, 0x3fffff, v4, v5
	s_delay_alu instid0(VALU_DEP_2) | instskip(NEXT) | instid1(VALU_DEP_2)
	v_cmp_ne_u32_e32 vcc_lo, 0, v1
	v_cmp_ne_u32_e64 s0, 0, v5
	v_lshrrev_b32_e32 v1, 23, v4
	s_and_b32 s0, vcc_lo, s0
	s_delay_alu instid0(SALU_CYCLE_1) | instskip(NEXT) | instid1(VALU_DEP_1)
	v_cndmask_b32_e64 v5, 0, 1, s0
	v_add_nc_u32_e32 v1, v1, v5
.LBB22_763:
	s_or_b32 exec_lo, exec_lo, s25
	s_mov_b32 s25, -1
	s_mov_b32 s0, 0
	global_store_b8 v[2:3], v1, off
.LBB22_764:
	s_mov_b32 s26, 0
.LBB22_765:
	s_delay_alu instid0(SALU_CYCLE_1)
	s_and_b32 vcc_lo, exec_lo, s26
	s_cbranch_vccz .LBB22_768
; %bb.766:
	s_cmp_eq_u32 s2, 29
	s_mov_b32 s0, -1
	s_cbranch_scc0 .LBB22_768
; %bb.767:
	s_wait_xcnt 0x0
	v_trunc_f32_e32 v1, v4
	s_mov_b32 s25, -1
	s_mov_b32 s0, 0
	s_mov_b32 s26, 0
	s_delay_alu instid0(VALU_DEP_1) | instskip(NEXT) | instid1(VALU_DEP_1)
	v_mul_f32_e32 v5, 0x2f800000, v1
	v_floor_f32_e32 v5, v5
	s_delay_alu instid0(VALU_DEP_1) | instskip(SKIP_1) | instid1(VALU_DEP_2)
	v_fmamk_f32 v1, v5, 0xcf800000, v1
	v_cvt_u32_f32_e32 v7, v5
	v_cvt_u32_f32_e32 v6, v1
	global_store_b64 v[2:3], v[6:7], off
	s_branch .LBB22_769
.LBB22_768:
	s_mov_b32 s26, 0
.LBB22_769:
	s_delay_alu instid0(SALU_CYCLE_1)
	s_and_b32 vcc_lo, exec_lo, s26
	s_cbranch_vccz .LBB22_785
; %bb.770:
	s_cmp_lt_i32 s2, 27
	s_mov_b32 s25, -1
	s_cbranch_scc1 .LBB22_776
; %bb.771:
	s_wait_xcnt 0x0
	v_cvt_u32_f32_e32 v1, v4
	s_cmp_gt_i32 s2, 27
	s_cbranch_scc0 .LBB22_773
; %bb.772:
	s_mov_b32 s25, 0
	global_store_b32 v[2:3], v1, off
.LBB22_773:
	s_and_not1_b32 vcc_lo, exec_lo, s25
	s_cbranch_vccnz .LBB22_775
; %bb.774:
	global_store_b16 v[2:3], v1, off
.LBB22_775:
	s_mov_b32 s25, 0
.LBB22_776:
	s_delay_alu instid0(SALU_CYCLE_1)
	s_and_not1_b32 vcc_lo, exec_lo, s25
	s_cbranch_vccnz .LBB22_784
; %bb.777:
	s_wait_xcnt 0x0
	v_and_b32_e32 v1, 0x7fffffff, v4
	v_mov_b32_e32 v5, 0x80
	s_mov_b32 s25, exec_lo
	s_delay_alu instid0(VALU_DEP_2)
	v_cmpx_gt_u32_e32 0x43800000, v1
	s_cbranch_execz .LBB22_783
; %bb.778:
	v_cmp_lt_u32_e32 vcc_lo, 0x3bffffff, v1
	s_mov_b32 s26, 0
                                        ; implicit-def: $vgpr1
	s_and_saveexec_b32 s27, vcc_lo
	s_delay_alu instid0(SALU_CYCLE_1)
	s_xor_b32 s27, exec_lo, s27
	s_cbranch_execz .LBB22_902
; %bb.779:
	v_bfe_u32 v1, v4, 20, 1
	s_mov_b32 s26, exec_lo
	s_delay_alu instid0(VALU_DEP_1) | instskip(NEXT) | instid1(VALU_DEP_1)
	v_add3_u32 v1, v4, v1, 0x487ffff
	v_lshrrev_b32_e32 v1, 20, v1
	s_and_not1_saveexec_b32 s27, s27
	s_cbranch_execnz .LBB22_903
.LBB22_780:
	s_or_b32 exec_lo, exec_lo, s27
	v_mov_b32_e32 v5, 0
	s_and_saveexec_b32 s27, s26
.LBB22_781:
	v_lshrrev_b32_e32 v5, 24, v4
	s_delay_alu instid0(VALU_DEP_1)
	v_and_or_b32 v5, 0x80, v5, v1
.LBB22_782:
	s_or_b32 exec_lo, exec_lo, s27
.LBB22_783:
	s_delay_alu instid0(SALU_CYCLE_1)
	s_or_b32 exec_lo, exec_lo, s25
	global_store_b8 v[2:3], v5, off
.LBB22_784:
	s_mov_b32 s25, -1
.LBB22_785:
	s_mov_b32 s26, 0
.LBB22_786:
	s_delay_alu instid0(SALU_CYCLE_1)
	s_and_b32 vcc_lo, exec_lo, s26
	s_cbranch_vccz .LBB22_827
; %bb.787:
	s_cmp_gt_i32 s2, 22
	s_mov_b32 s26, -1
	s_cbranch_scc0 .LBB22_819
; %bb.788:
	s_cmp_lt_i32 s2, 24
	s_mov_b32 s25, -1
	s_cbranch_scc1 .LBB22_808
; %bb.789:
	s_cmp_gt_i32 s2, 24
	s_cbranch_scc0 .LBB22_797
; %bb.790:
	s_wait_xcnt 0x0
	v_and_b32_e32 v1, 0x7fffffff, v4
	v_mov_b32_e32 v5, 0x80
	s_mov_b32 s25, exec_lo
	s_delay_alu instid0(VALU_DEP_2)
	v_cmpx_gt_u32_e32 0x47800000, v1
	s_cbranch_execz .LBB22_796
; %bb.791:
	v_cmp_lt_u32_e32 vcc_lo, 0x37ffffff, v1
	s_mov_b32 s26, 0
                                        ; implicit-def: $vgpr1
	s_and_saveexec_b32 s27, vcc_lo
	s_delay_alu instid0(SALU_CYCLE_1)
	s_xor_b32 s27, exec_lo, s27
	s_cbranch_execz .LBB22_905
; %bb.792:
	v_bfe_u32 v1, v4, 21, 1
	s_mov_b32 s26, exec_lo
	s_delay_alu instid0(VALU_DEP_1) | instskip(NEXT) | instid1(VALU_DEP_1)
	v_add3_u32 v1, v4, v1, 0x88fffff
	v_lshrrev_b32_e32 v1, 21, v1
	s_and_not1_saveexec_b32 s27, s27
	s_cbranch_execnz .LBB22_906
.LBB22_793:
	s_or_b32 exec_lo, exec_lo, s27
	v_mov_b32_e32 v5, 0
	s_and_saveexec_b32 s27, s26
.LBB22_794:
	v_lshrrev_b32_e32 v5, 24, v4
	s_delay_alu instid0(VALU_DEP_1)
	v_and_or_b32 v5, 0x80, v5, v1
.LBB22_795:
	s_or_b32 exec_lo, exec_lo, s27
.LBB22_796:
	s_delay_alu instid0(SALU_CYCLE_1)
	s_or_b32 exec_lo, exec_lo, s25
	s_mov_b32 s25, 0
	global_store_b8 v[2:3], v5, off
.LBB22_797:
	s_and_b32 vcc_lo, exec_lo, s25
	s_cbranch_vccz .LBB22_807
; %bb.798:
	s_wait_xcnt 0x0
	v_and_b32_e32 v5, 0x7fffffff, v4
	s_mov_b32 s25, exec_lo
                                        ; implicit-def: $vgpr1
	s_delay_alu instid0(VALU_DEP_1)
	v_cmpx_gt_u32_e32 0x43f00000, v5
	s_xor_b32 s25, exec_lo, s25
	s_cbranch_execz .LBB22_804
; %bb.799:
	s_mov_b32 s26, exec_lo
                                        ; implicit-def: $vgpr1
	v_cmpx_lt_u32_e32 0x3c7fffff, v5
	s_xor_b32 s26, exec_lo, s26
; %bb.800:
	v_bfe_u32 v1, v4, 20, 1
	s_delay_alu instid0(VALU_DEP_1) | instskip(NEXT) | instid1(VALU_DEP_1)
	v_add3_u32 v1, v4, v1, 0x407ffff
	v_and_b32_e32 v5, 0xff00000, v1
	v_lshrrev_b32_e32 v1, 20, v1
	s_delay_alu instid0(VALU_DEP_2) | instskip(NEXT) | instid1(VALU_DEP_2)
	v_cmp_ne_u32_e32 vcc_lo, 0x7f00000, v5
	v_cndmask_b32_e32 v1, 0x7e, v1, vcc_lo
; %bb.801:
	s_and_not1_saveexec_b32 s26, s26
; %bb.802:
	v_add_f32_e64 v1, 0x46800000, |v4|
; %bb.803:
	s_or_b32 exec_lo, exec_lo, s26
                                        ; implicit-def: $vgpr5
.LBB22_804:
	s_and_not1_saveexec_b32 s25, s25
; %bb.805:
	v_mov_b32_e32 v1, 0x7f
	v_cmp_lt_u32_e32 vcc_lo, 0x7f800000, v5
	s_delay_alu instid0(VALU_DEP_2)
	v_cndmask_b32_e32 v1, 0x7e, v1, vcc_lo
; %bb.806:
	s_or_b32 exec_lo, exec_lo, s25
	v_lshrrev_b32_e32 v5, 24, v4
	s_delay_alu instid0(VALU_DEP_1)
	v_and_or_b32 v1, 0x80, v5, v1
	global_store_b8 v[2:3], v1, off
.LBB22_807:
	s_mov_b32 s25, 0
.LBB22_808:
	s_delay_alu instid0(SALU_CYCLE_1)
	s_and_not1_b32 vcc_lo, exec_lo, s25
	s_cbranch_vccnz .LBB22_818
; %bb.809:
	s_wait_xcnt 0x0
	v_and_b32_e32 v5, 0x7fffffff, v4
	s_mov_b32 s25, exec_lo
                                        ; implicit-def: $vgpr1
	s_delay_alu instid0(VALU_DEP_1)
	v_cmpx_gt_u32_e32 0x47800000, v5
	s_xor_b32 s25, exec_lo, s25
	s_cbranch_execz .LBB22_815
; %bb.810:
	s_mov_b32 s26, exec_lo
                                        ; implicit-def: $vgpr1
	v_cmpx_lt_u32_e32 0x387fffff, v5
	s_xor_b32 s26, exec_lo, s26
; %bb.811:
	v_bfe_u32 v1, v4, 21, 1
	s_delay_alu instid0(VALU_DEP_1) | instskip(NEXT) | instid1(VALU_DEP_1)
	v_add3_u32 v1, v4, v1, 0x80fffff
	v_lshrrev_b32_e32 v1, 21, v1
; %bb.812:
	s_and_not1_saveexec_b32 s26, s26
; %bb.813:
	v_add_f32_e64 v1, 0x43000000, |v4|
; %bb.814:
	s_or_b32 exec_lo, exec_lo, s26
                                        ; implicit-def: $vgpr5
.LBB22_815:
	s_and_not1_saveexec_b32 s25, s25
; %bb.816:
	v_mov_b32_e32 v1, 0x7f
	v_cmp_lt_u32_e32 vcc_lo, 0x7f800000, v5
	s_delay_alu instid0(VALU_DEP_2)
	v_cndmask_b32_e32 v1, 0x7c, v1, vcc_lo
; %bb.817:
	s_or_b32 exec_lo, exec_lo, s25
	v_lshrrev_b32_e32 v5, 24, v4
	s_delay_alu instid0(VALU_DEP_1)
	v_and_or_b32 v1, 0x80, v5, v1
	global_store_b8 v[2:3], v1, off
.LBB22_818:
	s_mov_b32 s26, 0
	s_mov_b32 s25, -1
.LBB22_819:
	s_and_not1_b32 vcc_lo, exec_lo, s26
	s_cbranch_vccnz .LBB22_827
; %bb.820:
	s_cmp_gt_i32 s2, 14
	s_mov_b32 s26, -1
	s_cbranch_scc0 .LBB22_824
; %bb.821:
	s_cmp_eq_u32 s2, 15
	s_mov_b32 s0, -1
	s_cbranch_scc0 .LBB22_823
; %bb.822:
	s_wait_xcnt 0x0
	v_bfe_u32 v1, v4, 16, 1
	v_cmp_o_f32_e32 vcc_lo, v4, v4
	s_mov_b32 s25, -1
	s_mov_b32 s0, 0
	s_delay_alu instid0(VALU_DEP_2) | instskip(NEXT) | instid1(VALU_DEP_1)
	v_add3_u32 v1, v4, v1, 0x7fff
	v_lshrrev_b32_e32 v1, 16, v1
	s_delay_alu instid0(VALU_DEP_1)
	v_cndmask_b32_e32 v1, 0x7fc0, v1, vcc_lo
	global_store_b16 v[2:3], v1, off
.LBB22_823:
	s_mov_b32 s26, 0
.LBB22_824:
	s_delay_alu instid0(SALU_CYCLE_1)
	s_and_b32 vcc_lo, exec_lo, s26
	s_cbranch_vccz .LBB22_827
; %bb.825:
	s_cmp_eq_u32 s2, 11
	s_mov_b32 s0, -1
	s_cbranch_scc0 .LBB22_827
; %bb.826:
	v_cmp_neq_f32_e32 vcc_lo, 0, v4
	s_mov_b32 s0, 0
	s_mov_b32 s25, -1
	s_wait_xcnt 0x0
	v_cndmask_b32_e64 v1, 0, 1, vcc_lo
	global_store_b8 v[2:3], v1, off
.LBB22_827:
	s_mov_b32 s2, 0
.LBB22_828:
	s_delay_alu instid0(SALU_CYCLE_1)
	s_and_b32 vcc_lo, exec_lo, s2
	s_cbranch_vccz .LBB22_867
; %bb.829:
	s_and_b32 s1, 0xffff, s1
	s_mov_b32 s2, -1
	s_cmp_lt_i32 s1, 5
	s_cbranch_scc1 .LBB22_850
; %bb.830:
	s_cmp_lt_i32 s1, 8
	s_cbranch_scc1 .LBB22_840
; %bb.831:
	;; [unrolled: 3-line block ×3, first 2 shown]
	s_cmp_gt_i32 s1, 9
	s_cbranch_scc0 .LBB22_834
; %bb.833:
	s_wait_xcnt 0x0
	v_cvt_f64_f32_e32 v[6:7], v4
	v_mov_b32_e32 v8, 0
	s_mov_b32 s2, 0
	s_delay_alu instid0(VALU_DEP_1)
	v_mov_b32_e32 v9, v8
	global_store_b128 v[2:3], v[6:9], off
.LBB22_834:
	s_and_not1_b32 vcc_lo, exec_lo, s2
	s_cbranch_vccnz .LBB22_836
; %bb.835:
	s_wait_xcnt 0x0
	v_mov_b32_e32 v5, 0
	global_store_b64 v[2:3], v[4:5], off
.LBB22_836:
	s_mov_b32 s2, 0
.LBB22_837:
	s_delay_alu instid0(SALU_CYCLE_1)
	s_and_not1_b32 vcc_lo, exec_lo, s2
	s_cbranch_vccnz .LBB22_839
; %bb.838:
	s_wait_xcnt 0x0
	v_cvt_f16_f32_e32 v1, v4
	s_delay_alu instid0(VALU_DEP_1)
	v_and_b32_e32 v1, 0xffff, v1
	global_store_b32 v[2:3], v1, off
.LBB22_839:
	s_mov_b32 s2, 0
.LBB22_840:
	s_delay_alu instid0(SALU_CYCLE_1)
	s_and_not1_b32 vcc_lo, exec_lo, s2
	s_cbranch_vccnz .LBB22_849
; %bb.841:
	s_cmp_lt_i32 s1, 6
	s_mov_b32 s2, -1
	s_cbranch_scc1 .LBB22_847
; %bb.842:
	s_cmp_gt_i32 s1, 6
	s_cbranch_scc0 .LBB22_844
; %bb.843:
	s_wait_xcnt 0x0
	v_cvt_f64_f32_e32 v[6:7], v4
	s_mov_b32 s2, 0
	global_store_b64 v[2:3], v[6:7], off
.LBB22_844:
	s_and_not1_b32 vcc_lo, exec_lo, s2
	s_cbranch_vccnz .LBB22_846
; %bb.845:
	global_store_b32 v[2:3], v4, off
.LBB22_846:
	s_mov_b32 s2, 0
.LBB22_847:
	s_delay_alu instid0(SALU_CYCLE_1)
	s_and_not1_b32 vcc_lo, exec_lo, s2
	s_cbranch_vccnz .LBB22_849
; %bb.848:
	s_wait_xcnt 0x0
	v_cvt_f16_f32_e32 v1, v4
	global_store_b16 v[2:3], v1, off
.LBB22_849:
	s_mov_b32 s2, 0
.LBB22_850:
	s_delay_alu instid0(SALU_CYCLE_1)
	s_and_not1_b32 vcc_lo, exec_lo, s2
	s_cbranch_vccnz .LBB22_866
; %bb.851:
	s_cmp_lt_i32 s1, 2
	s_mov_b32 s2, -1
	s_cbranch_scc1 .LBB22_861
; %bb.852:
	s_cmp_lt_i32 s1, 3
	s_cbranch_scc1 .LBB22_858
; %bb.853:
	s_cmp_gt_i32 s1, 3
	s_cbranch_scc0 .LBB22_855
; %bb.854:
	s_wait_xcnt 0x0
	v_trunc_f32_e32 v1, v4
	s_mov_b32 s2, 0
	s_delay_alu instid0(VALU_DEP_1) | instskip(SKIP_1) | instid1(VALU_DEP_2)
	v_mul_f32_e64 v5, 0x2f800000, |v1|
	v_ashrrev_i32_e32 v6, 31, v1
	v_floor_f32_e32 v5, v5
	s_delay_alu instid0(VALU_DEP_1) | instskip(SKIP_1) | instid1(VALU_DEP_2)
	v_fma_f32 v7, 0xcf800000, v5, |v1|
	v_cvt_u32_f32_e32 v1, v5
	v_cvt_u32_f32_e32 v5, v7
	s_delay_alu instid0(VALU_DEP_2) | instskip(NEXT) | instid1(VALU_DEP_2)
	v_dual_mov_b32 v7, v6 :: v_dual_bitop2_b32 v9, v1, v6 bitop3:0x14
	v_xor_b32_e32 v8, v5, v6
	s_delay_alu instid0(VALU_DEP_1)
	v_sub_nc_u64_e32 v[6:7], v[8:9], v[6:7]
	global_store_b64 v[2:3], v[6:7], off
.LBB22_855:
	s_and_not1_b32 vcc_lo, exec_lo, s2
	s_cbranch_vccnz .LBB22_857
; %bb.856:
	s_wait_xcnt 0x0
	v_cvt_i32_f32_e32 v1, v4
	global_store_b32 v[2:3], v1, off
.LBB22_857:
	s_mov_b32 s2, 0
.LBB22_858:
	s_delay_alu instid0(SALU_CYCLE_1)
	s_and_not1_b32 vcc_lo, exec_lo, s2
	s_cbranch_vccnz .LBB22_860
; %bb.859:
	s_wait_xcnt 0x0
	v_cvt_i32_f32_e32 v1, v4
	global_store_b16 v[2:3], v1, off
.LBB22_860:
	s_mov_b32 s2, 0
.LBB22_861:
	s_delay_alu instid0(SALU_CYCLE_1)
	s_and_not1_b32 vcc_lo, exec_lo, s2
	s_cbranch_vccnz .LBB22_866
; %bb.862:
	s_cmp_gt_i32 s1, 0
	s_mov_b32 s1, -1
	s_cbranch_scc0 .LBB22_864
; %bb.863:
	s_wait_xcnt 0x0
	v_cvt_i32_f32_e32 v1, v4
	s_mov_b32 s1, 0
	global_store_b8 v[2:3], v1, off
.LBB22_864:
	s_and_not1_b32 vcc_lo, exec_lo, s1
	s_cbranch_vccnz .LBB22_866
; %bb.865:
	s_wait_xcnt 0x0
	v_trunc_f32_e32 v1, v4
	s_delay_alu instid0(VALU_DEP_1) | instskip(NEXT) | instid1(VALU_DEP_1)
	v_mul_f32_e64 v4, 0x2f800000, |v1|
	v_floor_f32_e32 v4, v4
	s_delay_alu instid0(VALU_DEP_1) | instskip(SKIP_1) | instid1(VALU_DEP_2)
	v_fma_f32 v4, 0xcf800000, v4, |v1|
	v_ashrrev_i32_e32 v1, 31, v1
	v_cvt_u32_f32_e32 v4, v4
	s_delay_alu instid0(VALU_DEP_1) | instskip(NEXT) | instid1(VALU_DEP_1)
	v_xor_b32_e32 v4, v4, v1
	v_sub_nc_u32_e32 v1, v4, v1
	global_store_b8 v[2:3], v1, off
.LBB22_866:
	s_mov_b32 s25, -1
.LBB22_867:
	s_delay_alu instid0(SALU_CYCLE_1)
	s_and_not1_b32 vcc_lo, exec_lo, s25
	s_cbranch_vccnz .LBB22_869
; %bb.868:
	v_add_nc_u32_e32 v0, 0x80, v0
	s_mov_b32 s1, -1
	s_branch .LBB22_871
.LBB22_869:
	s_mov_b32 s1, 0
.LBB22_870:
                                        ; implicit-def: $vgpr0
.LBB22_871:
	s_and_not1_b32 s2, s43, exec_lo
	s_and_b32 s0, s0, exec_lo
	s_and_not1_b32 s25, s42, exec_lo
	s_and_b32 s24, s24, exec_lo
	s_or_b32 s26, s2, s0
	s_or_b32 s2, s25, s24
	s_or_not1_b32 s25, s1, exec_lo
.LBB22_872:
	s_wait_xcnt 0x0
	s_or_b32 exec_lo, exec_lo, s45
	s_mov_b32 s0, 0
	s_mov_b32 s1, 0
	;; [unrolled: 1-line block ×3, first 2 shown]
                                        ; implicit-def: $vgpr4_vgpr5
                                        ; implicit-def: $vgpr2
                                        ; implicit-def: $vgpr1
	s_and_saveexec_b32 s27, s25
	s_cbranch_execz .LBB22_974
; %bb.873:
	v_cmp_gt_i32_e32 vcc_lo, s36, v0
	s_mov_b32 s45, s2
	s_mov_b32 s25, 0
                                        ; implicit-def: $vgpr4_vgpr5
                                        ; implicit-def: $vgpr2
                                        ; implicit-def: $vgpr1
	s_and_saveexec_b32 s36, vcc_lo
	s_cbranch_execz .LBB22_973
; %bb.874:
	s_and_not1_b32 vcc_lo, exec_lo, s31
	s_cbranch_vccnz .LBB22_880
; %bb.875:
	s_and_not1_b32 vcc_lo, exec_lo, s38
	s_cbranch_vccnz .LBB22_881
; %bb.876:
	s_add_co_i32 s37, s37, 1
	s_cmp_eq_u32 s29, 2
	s_cbranch_scc1 .LBB22_882
; %bb.877:
	v_dual_mov_b32 v2, 0 :: v_dual_mov_b32 v4, 0
	s_wait_loadcnt 0x0
	v_mov_b32_e32 v1, v0
	s_and_b32 s0, s37, 28
	s_mov_b64 s[24:25], s[16:17]
.LBB22_878:                             ; =>This Inner Loop Header: Depth=1
	s_clause 0x1
	s_load_b256 s[48:55], s[24:25], 0x4
	s_load_b128 s[64:67], s[24:25], 0x24
	s_load_b256 s[56:63], s[22:23], 0x0
	s_add_co_i32 s1, s1, 4
	s_wait_xcnt 0x0
	s_add_nc_u64 s[24:25], s[24:25], 48
	s_cmp_eq_u32 s0, s1
	s_add_nc_u64 s[22:23], s[22:23], 32
	s_wait_kmcnt 0x0
	v_mul_hi_u32 v3, s49, v1
	s_delay_alu instid0(VALU_DEP_1) | instskip(NEXT) | instid1(VALU_DEP_1)
	v_add_nc_u32_e32 v3, v1, v3
	v_lshrrev_b32_e32 v3, s50, v3
	s_delay_alu instid0(VALU_DEP_1) | instskip(NEXT) | instid1(VALU_DEP_1)
	v_mul_hi_u32 v5, s52, v3
	v_add_nc_u32_e32 v5, v3, v5
	s_delay_alu instid0(VALU_DEP_1) | instskip(NEXT) | instid1(VALU_DEP_1)
	v_lshrrev_b32_e32 v5, s53, v5
	v_mul_hi_u32 v6, s55, v5
	s_delay_alu instid0(VALU_DEP_1) | instskip(SKIP_1) | instid1(VALU_DEP_1)
	v_add_nc_u32_e32 v6, v5, v6
	v_mul_lo_u32 v7, v3, s48
	v_sub_nc_u32_e32 v1, v1, v7
	v_mul_lo_u32 v7, v5, s51
	s_delay_alu instid0(VALU_DEP_4) | instskip(NEXT) | instid1(VALU_DEP_3)
	v_lshrrev_b32_e32 v6, s64, v6
	v_mad_u32 v4, v1, s57, v4
	v_mad_u32 v1, v1, s56, v2
	s_delay_alu instid0(VALU_DEP_4) | instskip(NEXT) | instid1(VALU_DEP_4)
	v_sub_nc_u32_e32 v2, v3, v7
	v_mul_hi_u32 v8, s66, v6
	v_mul_lo_u32 v3, v6, s54
	s_delay_alu instid0(VALU_DEP_3) | instskip(SKIP_1) | instid1(VALU_DEP_3)
	v_mad_u32 v4, v2, s59, v4
	v_mad_u32 v2, v2, s58, v1
	v_dual_add_nc_u32 v7, v6, v8 :: v_dual_sub_nc_u32 v3, v5, v3
	s_delay_alu instid0(VALU_DEP_1) | instskip(NEXT) | instid1(VALU_DEP_2)
	v_lshrrev_b32_e32 v1, s67, v7
	v_mad_u32 v4, v3, s61, v4
	s_delay_alu instid0(VALU_DEP_4) | instskip(NEXT) | instid1(VALU_DEP_3)
	v_mad_u32 v2, v3, s60, v2
	v_mul_lo_u32 v5, v1, s65
	s_delay_alu instid0(VALU_DEP_1) | instskip(NEXT) | instid1(VALU_DEP_1)
	v_sub_nc_u32_e32 v3, v6, v5
	v_mad_u32 v4, v3, s63, v4
	s_delay_alu instid0(VALU_DEP_4)
	v_mad_u32 v2, v3, s62, v2
	s_cbranch_scc0 .LBB22_878
; %bb.879:
	s_delay_alu instid0(VALU_DEP_2)
	v_mov_b32_e32 v3, v4
	s_branch .LBB22_883
.LBB22_880:
	s_mov_b32 s0, -1
                                        ; implicit-def: $vgpr4
                                        ; implicit-def: $vgpr2
	s_branch .LBB22_888
.LBB22_881:
	v_dual_mov_b32 v4, 0 :: v_dual_mov_b32 v2, 0
	s_branch .LBB22_887
.LBB22_882:
	v_mov_b64_e32 v[2:3], 0
	s_wait_loadcnt 0x0
	v_mov_b32_e32 v1, v0
                                        ; implicit-def: $vgpr4
.LBB22_883:
	s_and_b32 s24, s37, 3
	s_mov_b32 s1, 0
	s_cmp_eq_u32 s24, 0
	s_cbranch_scc1 .LBB22_887
; %bb.884:
	s_lshl_b32 s22, s0, 3
	s_mov_b32 s23, s1
	s_mul_u64 s[46:47], s[0:1], 12
	s_add_nc_u64 s[22:23], s[16:17], s[22:23]
	s_delay_alu instid0(SALU_CYCLE_1)
	s_add_nc_u64 s[0:1], s[22:23], 0xc4
	s_add_nc_u64 s[22:23], s[16:17], s[46:47]
.LBB22_885:                             ; =>This Inner Loop Header: Depth=1
	s_load_b96 s[48:50], s[22:23], 0x4
	s_load_b64 s[46:47], s[0:1], 0x0
	s_add_co_i32 s24, s24, -1
	s_wait_xcnt 0x0
	s_add_nc_u64 s[22:23], s[22:23], 12
	s_cmp_lg_u32 s24, 0
	s_add_nc_u64 s[0:1], s[0:1], 8
	s_wait_kmcnt 0x0
	v_mul_hi_u32 v4, s49, v1
	s_delay_alu instid0(VALU_DEP_1) | instskip(NEXT) | instid1(VALU_DEP_1)
	v_add_nc_u32_e32 v4, v1, v4
	v_lshrrev_b32_e32 v4, s50, v4
	s_delay_alu instid0(VALU_DEP_1) | instskip(NEXT) | instid1(VALU_DEP_1)
	v_mul_lo_u32 v5, v4, s48
	v_sub_nc_u32_e32 v1, v1, v5
	s_delay_alu instid0(VALU_DEP_1)
	v_mad_u32 v3, v1, s47, v3
	v_mad_u32 v2, v1, s46, v2
	v_mov_b32_e32 v1, v4
	s_cbranch_scc1 .LBB22_885
; %bb.886:
	s_delay_alu instid0(VALU_DEP_3)
	v_mov_b32_e32 v4, v3
.LBB22_887:
	s_mov_b32 s0, 0
.LBB22_888:
	s_delay_alu instid0(SALU_CYCLE_1)
	s_and_not1_b32 vcc_lo, exec_lo, s0
	s_cbranch_vccnz .LBB22_891
; %bb.889:
	s_wait_loadcnt 0x0
	v_mov_b32_e32 v1, 0
	s_and_not1_b32 vcc_lo, exec_lo, s35
	s_delay_alu instid0(VALU_DEP_1) | instskip(NEXT) | instid1(VALU_DEP_1)
	v_mul_u64_e32 v[2:3], s[18:19], v[0:1]
	v_add_nc_u32_e32 v2, v0, v3
	s_delay_alu instid0(VALU_DEP_1) | instskip(NEXT) | instid1(VALU_DEP_1)
	v_lshrrev_b32_e32 v6, s14, v2
	v_mul_lo_u32 v2, v6, s12
	s_delay_alu instid0(VALU_DEP_1) | instskip(NEXT) | instid1(VALU_DEP_1)
	v_sub_nc_u32_e32 v0, v0, v2
	v_mul_lo_u32 v4, v0, s9
	v_mul_lo_u32 v2, v0, s8
	s_cbranch_vccnz .LBB22_891
; %bb.890:
	v_mov_b32_e32 v7, v1
	s_delay_alu instid0(VALU_DEP_1) | instskip(NEXT) | instid1(VALU_DEP_1)
	v_mul_u64_e32 v[0:1], s[20:21], v[6:7]
	v_add_nc_u32_e32 v0, v6, v1
	s_delay_alu instid0(VALU_DEP_1) | instskip(NEXT) | instid1(VALU_DEP_1)
	v_lshrrev_b32_e32 v0, s3, v0
	v_mul_lo_u32 v0, v0, s15
	s_delay_alu instid0(VALU_DEP_1) | instskip(NEXT) | instid1(VALU_DEP_1)
	v_sub_nc_u32_e32 v0, v6, v0
	v_mad_u32 v2, v0, s10, v2
	v_mad_u32 v4, v0, s11, v4
.LBB22_891:
	v_mov_b32_e32 v5, 0
	s_and_b32 s0, 0xffff, s13
	s_delay_alu instid0(SALU_CYCLE_1) | instskip(NEXT) | instid1(VALU_DEP_1)
	s_cmp_lt_i32 s0, 11
	v_add_nc_u64_e32 v[4:5], s[6:7], v[4:5]
	s_cbranch_scc1 .LBB22_898
; %bb.892:
	s_cmp_gt_i32 s0, 25
	s_mov_b32 s3, 0
	s_cbranch_scc0 .LBB22_899
; %bb.893:
	s_cmp_gt_i32 s0, 28
	s_cbranch_scc0 .LBB22_900
; %bb.894:
	s_cmp_gt_i32 s0, 43
	;; [unrolled: 3-line block ×3, first 2 shown]
	s_cbranch_scc0 .LBB22_904
; %bb.896:
	s_cmp_eq_u32 s0, 46
	s_mov_b32 s7, 0
	s_cbranch_scc0 .LBB22_907
; %bb.897:
	global_load_b32 v0, v[4:5], off
	s_mov_b32 s1, 0
	s_mov_b32 s6, -1
	s_wait_loadcnt 0x0
	v_lshlrev_b32_e32 v1, 16, v0
	s_branch .LBB22_909
.LBB22_898:
	s_mov_b32 s0, -1
	s_mov_b32 s6, 0
	s_mov_b32 s3, 0
	;; [unrolled: 1-line block ×3, first 2 shown]
                                        ; implicit-def: $vgpr1
	s_branch .LBB22_972
.LBB22_899:
	s_mov_b32 s7, -1
	s_mov_b32 s6, 0
	s_mov_b32 s1, s2
                                        ; implicit-def: $vgpr1
	s_branch .LBB22_938
.LBB22_900:
	s_mov_b32 s7, -1
	s_mov_b32 s6, 0
	s_mov_b32 s1, s2
                                        ; implicit-def: $vgpr1
	s_branch .LBB22_919
.LBB22_901:
	s_mov_b32 s7, -1
	s_mov_b32 s6, 0
	s_mov_b32 s1, s2
                                        ; implicit-def: $vgpr1
	s_branch .LBB22_914
.LBB22_902:
	s_and_not1_saveexec_b32 s27, s27
	s_cbranch_execz .LBB22_780
.LBB22_903:
	v_add_f32_e64 v1, 0x46000000, |v4|
	s_and_not1_b32 s26, s26, exec_lo
	s_delay_alu instid0(VALU_DEP_1) | instskip(NEXT) | instid1(VALU_DEP_1)
	v_and_b32_e32 v1, 0xff, v1
	v_cmp_ne_u32_e32 vcc_lo, 0, v1
	s_and_b32 s46, vcc_lo, exec_lo
	s_delay_alu instid0(SALU_CYCLE_1)
	s_or_b32 s26, s26, s46
	s_or_b32 exec_lo, exec_lo, s27
	v_mov_b32_e32 v5, 0
	s_and_saveexec_b32 s27, s26
	s_cbranch_execnz .LBB22_781
	s_branch .LBB22_782
.LBB22_904:
	s_mov_b32 s7, -1
	s_mov_b32 s6, 0
	s_mov_b32 s1, s2
	s_branch .LBB22_908
.LBB22_905:
	s_and_not1_saveexec_b32 s27, s27
	s_cbranch_execz .LBB22_793
.LBB22_906:
	v_add_f32_e64 v1, 0x42800000, |v4|
	s_and_not1_b32 s26, s26, exec_lo
	s_delay_alu instid0(VALU_DEP_1) | instskip(NEXT) | instid1(VALU_DEP_1)
	v_and_b32_e32 v1, 0xff, v1
	v_cmp_ne_u32_e32 vcc_lo, 0, v1
	s_and_b32 s46, vcc_lo, exec_lo
	s_delay_alu instid0(SALU_CYCLE_1)
	s_or_b32 s26, s26, s46
	s_or_b32 exec_lo, exec_lo, s27
	v_mov_b32_e32 v5, 0
	s_and_saveexec_b32 s27, s26
	s_cbranch_execnz .LBB22_794
	s_branch .LBB22_795
.LBB22_907:
	s_mov_b32 s1, -1
	s_mov_b32 s6, 0
.LBB22_908:
                                        ; implicit-def: $vgpr1
.LBB22_909:
	s_and_b32 vcc_lo, exec_lo, s7
	s_cbranch_vccz .LBB22_913
; %bb.910:
	s_cmp_eq_u32 s0, 44
	s_cbranch_scc0 .LBB22_912
; %bb.911:
	global_load_u8 v0, v[4:5], off
	s_mov_b32 s1, 0
	s_mov_b32 s6, -1
	s_wait_loadcnt 0x0
	v_lshlrev_b32_e32 v1, 23, v0
	v_cmp_ne_u32_e32 vcc_lo, 0xff, v0
	s_delay_alu instid0(VALU_DEP_2) | instskip(SKIP_1) | instid1(VALU_DEP_2)
	v_cndmask_b32_e32 v1, 0x7f800001, v1, vcc_lo
	v_cmp_ne_u32_e32 vcc_lo, 0, v0
	v_cndmask_b32_e32 v1, 0x400000, v1, vcc_lo
	s_branch .LBB22_913
.LBB22_912:
	s_mov_b32 s1, -1
                                        ; implicit-def: $vgpr1
.LBB22_913:
	s_mov_b32 s7, 0
.LBB22_914:
	s_delay_alu instid0(SALU_CYCLE_1)
	s_and_b32 vcc_lo, exec_lo, s7
	s_cbranch_vccz .LBB22_918
; %bb.915:
	s_cmp_eq_u32 s0, 29
	s_cbranch_scc0 .LBB22_917
; %bb.916:
	s_wait_loadcnt 0x0
	global_load_b64 v[0:1], v[4:5], off
	s_mov_b32 s1, 0
	s_mov_b32 s6, -1
	s_mov_b32 s7, 0
	s_wait_loadcnt 0x0
	v_clz_i32_u32_e32 v3, v1
	s_delay_alu instid0(VALU_DEP_1) | instskip(NEXT) | instid1(VALU_DEP_1)
	v_min_u32_e32 v3, 32, v3
	v_lshlrev_b64_e32 v[0:1], v3, v[0:1]
	s_delay_alu instid0(VALU_DEP_1) | instskip(NEXT) | instid1(VALU_DEP_1)
	v_min_u32_e32 v0, 1, v0
	v_dual_sub_nc_u32 v1, 32, v3 :: v_dual_bitop2_b32 v0, v1, v0 bitop3:0x54
	s_delay_alu instid0(VALU_DEP_1) | instskip(NEXT) | instid1(VALU_DEP_1)
	v_cvt_f32_u32_e32 v0, v0
	v_ldexp_f32 v1, v0, v1
	s_branch .LBB22_919
.LBB22_917:
	s_mov_b32 s1, -1
                                        ; implicit-def: $vgpr1
.LBB22_918:
	s_mov_b32 s7, 0
.LBB22_919:
	s_delay_alu instid0(SALU_CYCLE_1)
	s_and_b32 vcc_lo, exec_lo, s7
	s_cbranch_vccz .LBB22_937
; %bb.920:
	s_cmp_lt_i32 s0, 27
	s_cbranch_scc1 .LBB22_923
; %bb.921:
	s_cmp_gt_i32 s0, 27
	s_cbranch_scc0 .LBB22_924
; %bb.922:
	global_load_b32 v0, v[4:5], off
	s_mov_b32 s6, 0
	s_wait_loadcnt 0x0
	v_cvt_f32_u32_e32 v1, v0
	s_branch .LBB22_925
.LBB22_923:
	s_mov_b32 s6, -1
                                        ; implicit-def: $vgpr1
	s_branch .LBB22_928
.LBB22_924:
	s_mov_b32 s6, -1
                                        ; implicit-def: $vgpr1
.LBB22_925:
	s_delay_alu instid0(SALU_CYCLE_1)
	s_and_not1_b32 vcc_lo, exec_lo, s6
	s_cbranch_vccnz .LBB22_927
; %bb.926:
	global_load_u16 v0, v[4:5], off
	s_wait_loadcnt 0x0
	v_cvt_f32_u32_e32 v1, v0
.LBB22_927:
	s_mov_b32 s6, 0
.LBB22_928:
	s_delay_alu instid0(SALU_CYCLE_1)
	s_and_not1_b32 vcc_lo, exec_lo, s6
	s_cbranch_vccnz .LBB22_936
; %bb.929:
	global_load_u8 v0, v[4:5], off
	s_mov_b32 s6, 0
	s_mov_b32 s7, exec_lo
	s_wait_loadcnt 0x0
	v_cmpx_lt_i16_e32 0x7f, v0
	s_xor_b32 s7, exec_lo, s7
	s_cbranch_execz .LBB22_950
; %bb.930:
	s_mov_b32 s6, -1
	s_mov_b32 s8, exec_lo
	v_cmpx_eq_u16_e32 0x80, v0
; %bb.931:
	s_xor_b32 s6, exec_lo, -1
; %bb.932:
	s_or_b32 exec_lo, exec_lo, s8
	s_delay_alu instid0(SALU_CYCLE_1)
	s_and_b32 s6, s6, exec_lo
	s_or_saveexec_b32 s7, s7
	v_mov_b32_e32 v1, 0x7f800001
	s_xor_b32 exec_lo, exec_lo, s7
	s_cbranch_execnz .LBB22_951
.LBB22_933:
	s_or_b32 exec_lo, exec_lo, s7
	s_and_saveexec_b32 s7, s6
	s_cbranch_execz .LBB22_935
.LBB22_934:
	v_and_b32_e32 v1, 0xffff, v0
	s_delay_alu instid0(VALU_DEP_1) | instskip(SKIP_1) | instid1(VALU_DEP_2)
	v_and_b32_e32 v3, 7, v1
	v_bfe_u32 v8, v1, 3, 4
	v_clz_i32_u32_e32 v6, v3
	s_delay_alu instid0(VALU_DEP_2) | instskip(NEXT) | instid1(VALU_DEP_2)
	v_cmp_eq_u32_e32 vcc_lo, 0, v8
	v_min_u32_e32 v6, 32, v6
	s_delay_alu instid0(VALU_DEP_1) | instskip(NEXT) | instid1(VALU_DEP_1)
	v_subrev_nc_u32_e32 v7, 28, v6
	v_dual_lshlrev_b32 v1, v7, v1 :: v_dual_sub_nc_u32 v6, 29, v6
	s_delay_alu instid0(VALU_DEP_1) | instskip(NEXT) | instid1(VALU_DEP_1)
	v_dual_lshlrev_b32 v0, 24, v0 :: v_dual_bitop2_b32 v1, 7, v1 bitop3:0x40
	v_dual_cndmask_b32 v6, v8, v6 :: v_dual_cndmask_b32 v1, v3, v1
	s_delay_alu instid0(VALU_DEP_2) | instskip(NEXT) | instid1(VALU_DEP_2)
	v_and_b32_e32 v0, 0x80000000, v0
	v_lshl_add_u32 v3, v6, 23, 0x3b800000
	s_delay_alu instid0(VALU_DEP_3) | instskip(NEXT) | instid1(VALU_DEP_1)
	v_lshlrev_b32_e32 v1, 20, v1
	v_or3_b32 v1, v0, v3, v1
.LBB22_935:
	s_or_b32 exec_lo, exec_lo, s7
.LBB22_936:
	s_mov_b32 s6, -1
.LBB22_937:
	s_mov_b32 s7, 0
.LBB22_938:
	s_delay_alu instid0(SALU_CYCLE_1)
	s_and_b32 vcc_lo, exec_lo, s7
	s_cbranch_vccz .LBB22_971
; %bb.939:
	s_cmp_gt_i32 s0, 22
	s_cbranch_scc0 .LBB22_949
; %bb.940:
	s_cmp_lt_i32 s0, 24
	s_cbranch_scc1 .LBB22_952
; %bb.941:
	s_cmp_gt_i32 s0, 24
	s_cbranch_scc0 .LBB22_953
; %bb.942:
	global_load_u8 v0, v[4:5], off
	s_mov_b32 s6, exec_lo
	s_wait_loadcnt 0x0
	v_cmpx_lt_i16_e32 0x7f, v0
	s_xor_b32 s6, exec_lo, s6
	s_cbranch_execz .LBB22_965
; %bb.943:
	s_mov_b32 s3, -1
	s_mov_b32 s7, exec_lo
	v_cmpx_eq_u16_e32 0x80, v0
; %bb.944:
	s_xor_b32 s3, exec_lo, -1
; %bb.945:
	s_or_b32 exec_lo, exec_lo, s7
	s_delay_alu instid0(SALU_CYCLE_1)
	s_and_b32 s3, s3, exec_lo
	s_or_saveexec_b32 s6, s6
	v_mov_b32_e32 v1, 0x7f800001
	s_xor_b32 exec_lo, exec_lo, s6
	s_cbranch_execnz .LBB22_966
.LBB22_946:
	s_or_b32 exec_lo, exec_lo, s6
	s_and_saveexec_b32 s6, s3
	s_cbranch_execz .LBB22_948
.LBB22_947:
	v_and_b32_e32 v1, 0xffff, v0
	s_delay_alu instid0(VALU_DEP_1) | instskip(SKIP_1) | instid1(VALU_DEP_2)
	v_and_b32_e32 v3, 3, v1
	v_bfe_u32 v8, v1, 2, 5
	v_clz_i32_u32_e32 v6, v3
	s_delay_alu instid0(VALU_DEP_2) | instskip(NEXT) | instid1(VALU_DEP_2)
	v_cmp_eq_u32_e32 vcc_lo, 0, v8
	v_min_u32_e32 v6, 32, v6
	s_delay_alu instid0(VALU_DEP_1) | instskip(NEXT) | instid1(VALU_DEP_1)
	v_subrev_nc_u32_e32 v7, 29, v6
	v_dual_lshlrev_b32 v1, v7, v1 :: v_dual_sub_nc_u32 v6, 30, v6
	s_delay_alu instid0(VALU_DEP_1) | instskip(NEXT) | instid1(VALU_DEP_1)
	v_dual_lshlrev_b32 v0, 24, v0 :: v_dual_bitop2_b32 v1, 3, v1 bitop3:0x40
	v_dual_cndmask_b32 v6, v8, v6 :: v_dual_cndmask_b32 v1, v3, v1
	s_delay_alu instid0(VALU_DEP_2) | instskip(NEXT) | instid1(VALU_DEP_2)
	v_and_b32_e32 v0, 0x80000000, v0
	v_lshl_add_u32 v3, v6, 23, 0x37800000
	s_delay_alu instid0(VALU_DEP_3) | instskip(NEXT) | instid1(VALU_DEP_1)
	v_lshlrev_b32_e32 v1, 21, v1
	v_or3_b32 v1, v0, v3, v1
.LBB22_948:
	s_or_b32 exec_lo, exec_lo, s6
	s_mov_b32 s3, 0
	s_branch .LBB22_954
.LBB22_949:
	s_mov_b32 s3, -1
                                        ; implicit-def: $vgpr1
	s_branch .LBB22_960
.LBB22_950:
	s_or_saveexec_b32 s7, s7
	v_mov_b32_e32 v1, 0x7f800001
	s_xor_b32 exec_lo, exec_lo, s7
	s_cbranch_execz .LBB22_933
.LBB22_951:
	v_cmp_ne_u16_e32 vcc_lo, 0, v0
	v_mov_b32_e32 v1, 0
	s_and_not1_b32 s6, s6, exec_lo
	s_and_b32 s8, vcc_lo, exec_lo
	s_delay_alu instid0(SALU_CYCLE_1)
	s_or_b32 s6, s6, s8
	s_or_b32 exec_lo, exec_lo, s7
	s_and_saveexec_b32 s7, s6
	s_cbranch_execnz .LBB22_934
	s_branch .LBB22_935
.LBB22_952:
	s_mov_b32 s3, -1
                                        ; implicit-def: $vgpr1
	s_branch .LBB22_957
.LBB22_953:
	s_mov_b32 s3, -1
                                        ; implicit-def: $vgpr1
.LBB22_954:
	s_delay_alu instid0(SALU_CYCLE_1)
	s_and_b32 vcc_lo, exec_lo, s3
	s_cbranch_vccz .LBB22_956
; %bb.955:
	global_load_u8 v0, v[4:5], off
	s_wait_loadcnt 0x0
	v_lshlrev_b32_e32 v0, 24, v0
	s_delay_alu instid0(VALU_DEP_1) | instskip(NEXT) | instid1(VALU_DEP_1)
	v_and_b32_e32 v1, 0x7f000000, v0
	v_clz_i32_u32_e32 v3, v1
	v_add_nc_u32_e32 v7, 0x1000000, v1
	v_cmp_ne_u32_e32 vcc_lo, 0, v1
	s_delay_alu instid0(VALU_DEP_3) | instskip(NEXT) | instid1(VALU_DEP_1)
	v_min_u32_e32 v3, 32, v3
	v_sub_nc_u32_e64 v3, v3, 4 clamp
	s_delay_alu instid0(VALU_DEP_1) | instskip(NEXT) | instid1(VALU_DEP_1)
	v_dual_lshlrev_b32 v6, v3, v1 :: v_dual_lshlrev_b32 v3, 23, v3
	v_lshrrev_b32_e32 v6, 4, v6
	s_delay_alu instid0(VALU_DEP_1) | instskip(SKIP_1) | instid1(VALU_DEP_2)
	v_sub_nc_u32_e32 v3, v6, v3
	v_ashrrev_i32_e32 v6, 8, v7
	v_add_nc_u32_e32 v3, 0x3c000000, v3
	s_delay_alu instid0(VALU_DEP_1) | instskip(NEXT) | instid1(VALU_DEP_1)
	v_and_or_b32 v3, 0x7f800000, v6, v3
	v_cndmask_b32_e32 v1, 0, v3, vcc_lo
	s_delay_alu instid0(VALU_DEP_1)
	v_and_or_b32 v1, 0x80000000, v0, v1
.LBB22_956:
	s_mov_b32 s3, 0
.LBB22_957:
	s_delay_alu instid0(SALU_CYCLE_1)
	s_and_not1_b32 vcc_lo, exec_lo, s3
	s_cbranch_vccnz .LBB22_959
; %bb.958:
	global_load_u8 v0, v[4:5], off
	s_wait_loadcnt 0x0
	v_lshlrev_b32_e32 v1, 25, v0
	v_lshlrev_b16 v0, 8, v0
	s_delay_alu instid0(VALU_DEP_1) | instskip(SKIP_1) | instid1(VALU_DEP_2)
	v_and_or_b32 v6, 0x7f00, v0, 0.5
	v_bfe_i32 v0, v0, 0, 16
	v_dual_add_f32 v6, -0.5, v6 :: v_dual_lshrrev_b32 v3, 4, v1
	v_cmp_gt_u32_e32 vcc_lo, 0x8000000, v1
	s_delay_alu instid0(VALU_DEP_2) | instskip(NEXT) | instid1(VALU_DEP_1)
	v_or_b32_e32 v3, 0x70000000, v3
	v_mul_f32_e32 v3, 0x7800000, v3
	s_delay_alu instid0(VALU_DEP_1) | instskip(NEXT) | instid1(VALU_DEP_1)
	v_cndmask_b32_e32 v1, v3, v6, vcc_lo
	v_and_or_b32 v1, 0x80000000, v0, v1
.LBB22_959:
	s_mov_b32 s3, 0
	s_mov_b32 s6, -1
.LBB22_960:
	s_and_not1_b32 vcc_lo, exec_lo, s3
	s_mov_b32 s3, 0
	s_cbranch_vccnz .LBB22_971
; %bb.961:
	s_cmp_gt_i32 s0, 14
	s_cbranch_scc0 .LBB22_964
; %bb.962:
	s_cmp_eq_u32 s0, 15
	s_cbranch_scc0 .LBB22_967
; %bb.963:
	global_load_u16 v0, v[4:5], off
	s_mov_b32 s1, 0
	s_mov_b32 s6, -1
	s_wait_loadcnt 0x0
	v_lshlrev_b32_e32 v1, 16, v0
	s_branch .LBB22_969
.LBB22_964:
	s_mov_b32 s3, -1
	s_branch .LBB22_968
.LBB22_965:
	s_or_saveexec_b32 s6, s6
	v_mov_b32_e32 v1, 0x7f800001
	s_xor_b32 exec_lo, exec_lo, s6
	s_cbranch_execz .LBB22_946
.LBB22_966:
	v_cmp_ne_u16_e32 vcc_lo, 0, v0
	v_mov_b32_e32 v1, 0
	s_and_not1_b32 s3, s3, exec_lo
	s_and_b32 s7, vcc_lo, exec_lo
	s_delay_alu instid0(SALU_CYCLE_1)
	s_or_b32 s3, s3, s7
	s_or_b32 exec_lo, exec_lo, s6
	s_and_saveexec_b32 s6, s3
	s_cbranch_execnz .LBB22_947
	s_branch .LBB22_948
.LBB22_967:
	s_mov_b32 s1, -1
.LBB22_968:
                                        ; implicit-def: $vgpr1
.LBB22_969:
	s_and_b32 vcc_lo, exec_lo, s3
	s_mov_b32 s3, 0
	s_cbranch_vccz .LBB22_971
; %bb.970:
	s_cmp_lg_u32 s0, 11
	s_mov_b32 s3, -1
	s_cselect_b32 s0, -1, 0
	s_and_not1_b32 s1, s1, exec_lo
	s_and_b32 s0, s0, exec_lo
	s_delay_alu instid0(SALU_CYCLE_1)
	s_or_b32 s1, s1, s0
.LBB22_971:
	s_mov_b32 s0, 0
.LBB22_972:
	s_and_b32 s24, s6, exec_lo
	s_and_not1_b32 s6, s2, exec_lo
	s_and_b32 s1, s1, exec_lo
	s_and_b32 s25, s0, exec_lo
	;; [unrolled: 1-line block ×3, first 2 shown]
	s_or_b32 s45, s6, s1
.LBB22_973:
	s_wait_xcnt 0x0
	s_or_b32 exec_lo, exec_lo, s36
	s_delay_alu instid0(SALU_CYCLE_1)
	s_and_not1_b32 s2, s2, exec_lo
	s_and_b32 s3, s45, exec_lo
	s_and_b32 s24, s24, exec_lo
	;; [unrolled: 1-line block ×4, first 2 shown]
	s_or_b32 s2, s2, s3
.LBB22_974:
	s_or_b32 exec_lo, exec_lo, s27
	s_delay_alu instid0(SALU_CYCLE_1)
	s_and_not1_b32 s3, s43, exec_lo
	s_and_b32 s6, s26, exec_lo
	s_and_b32 s2, s2, exec_lo
	s_or_b32 s43, s3, s6
	s_and_not1_b32 s3, s42, exec_lo
	s_and_b32 s25, s24, exec_lo
	s_and_b32 s24, s1, exec_lo
	;; [unrolled: 1-line block ×3, first 2 shown]
	s_or_b32 s42, s3, s2
.LBB22_975:
	s_or_b32 exec_lo, exec_lo, s44
	s_delay_alu instid0(SALU_CYCLE_1)
	s_and_not1_b32 s0, s39, exec_lo
	s_and_b32 s2, s43, exec_lo
	s_and_not1_b32 s3, s40, exec_lo
	s_and_b32 s6, s42, exec_lo
	s_or_b32 s39, s0, s2
	s_and_b32 s0, s25, exec_lo
	s_and_b32 s2, s24, exec_lo
	s_and_b32 s19, s1, exec_lo
	s_or_b32 s40, s3, s6
	s_or_b32 exec_lo, exec_lo, s41
	s_mov_b32 s3, 0
	s_and_saveexec_b32 s1, s40
	s_cbranch_execz .LBB22_292
.LBB22_976:
	s_mov_b32 s3, exec_lo
	s_and_not1_b32 s19, s19, exec_lo
	s_trap 2
	s_or_b32 exec_lo, exec_lo, s1
	s_and_saveexec_b32 s1, s19
	s_delay_alu instid0(SALU_CYCLE_1)
	s_xor_b32 s1, exec_lo, s1
	s_cbranch_execnz .LBB22_293
.LBB22_977:
	s_or_b32 exec_lo, exec_lo, s1
	s_and_saveexec_b32 s1, s2
	s_cbranch_execz .LBB22_1023
.LBB22_978:
	s_sext_i32_i16 s2, s13
	s_delay_alu instid0(SALU_CYCLE_1)
	s_cmp_lt_i32 s2, 5
	s_cbranch_scc1 .LBB22_983
; %bb.979:
	s_cmp_lt_i32 s2, 8
	s_cbranch_scc1 .LBB22_984
; %bb.980:
	;; [unrolled: 3-line block ×3, first 2 shown]
	s_cmp_gt_i32 s2, 9
	s_cbranch_scc0 .LBB22_986
; %bb.982:
	s_wait_loadcnt 0x0
	global_load_b64 v[0:1], v[4:5], off
	s_mov_b32 s2, 0
	s_wait_loadcnt 0x0
	v_cvt_f32_f64_e32 v1, v[0:1]
	s_branch .LBB22_987
.LBB22_983:
                                        ; implicit-def: $vgpr1
	s_branch .LBB22_1004
.LBB22_984:
                                        ; implicit-def: $vgpr1
	s_branch .LBB22_993
.LBB22_985:
	s_mov_b32 s2, -1
                                        ; implicit-def: $vgpr1
	s_branch .LBB22_990
.LBB22_986:
	s_mov_b32 s2, -1
                                        ; implicit-def: $vgpr1
.LBB22_987:
	s_delay_alu instid0(SALU_CYCLE_1)
	s_and_not1_b32 vcc_lo, exec_lo, s2
	s_cbranch_vccnz .LBB22_989
; %bb.988:
	s_wait_loadcnt 0x0
	global_load_b32 v1, v[4:5], off
.LBB22_989:
	s_mov_b32 s2, 0
.LBB22_990:
	s_delay_alu instid0(SALU_CYCLE_1)
	s_and_not1_b32 vcc_lo, exec_lo, s2
	s_cbranch_vccnz .LBB22_992
; %bb.991:
	global_load_b32 v0, v[4:5], off
	s_wait_loadcnt 0x0
	v_cvt_f32_f16_e32 v1, v0
.LBB22_992:
	s_cbranch_execnz .LBB22_1003
.LBB22_993:
	s_sext_i32_i16 s2, s13
	s_delay_alu instid0(SALU_CYCLE_1)
	s_cmp_lt_i32 s2, 6
	s_cbranch_scc1 .LBB22_996
; %bb.994:
	s_cmp_gt_i32 s2, 6
	s_cbranch_scc0 .LBB22_997
; %bb.995:
	s_wait_loadcnt 0x0
	global_load_b64 v[0:1], v[4:5], off
	s_mov_b32 s2, 0
	s_wait_loadcnt 0x0
	v_cvt_f32_f64_e32 v1, v[0:1]
	s_branch .LBB22_998
.LBB22_996:
	s_mov_b32 s2, -1
                                        ; implicit-def: $vgpr1
	s_branch .LBB22_1001
.LBB22_997:
	s_mov_b32 s2, -1
                                        ; implicit-def: $vgpr1
.LBB22_998:
	s_delay_alu instid0(SALU_CYCLE_1)
	s_and_not1_b32 vcc_lo, exec_lo, s2
	s_cbranch_vccnz .LBB22_1000
; %bb.999:
	s_wait_loadcnt 0x0
	global_load_b32 v1, v[4:5], off
.LBB22_1000:
	s_mov_b32 s2, 0
.LBB22_1001:
	s_delay_alu instid0(SALU_CYCLE_1)
	s_and_not1_b32 vcc_lo, exec_lo, s2
	s_cbranch_vccnz .LBB22_1003
; %bb.1002:
	global_load_u16 v0, v[4:5], off
	s_wait_loadcnt 0x0
	v_cvt_f32_f16_e32 v1, v0
.LBB22_1003:
	s_cbranch_execnz .LBB22_1022
.LBB22_1004:
	s_sext_i32_i16 s2, s13
	s_delay_alu instid0(SALU_CYCLE_1)
	s_cmp_lt_i32 s2, 2
	s_cbranch_scc1 .LBB22_1008
; %bb.1005:
	s_cmp_lt_i32 s2, 3
	s_cbranch_scc1 .LBB22_1009
; %bb.1006:
	s_cmp_gt_i32 s2, 3
	s_cbranch_scc0 .LBB22_1010
; %bb.1007:
	s_wait_loadcnt 0x0
	global_load_b64 v[0:1], v[4:5], off
	s_mov_b32 s2, 0
	s_wait_loadcnt 0x0
	v_xor_b32_e32 v3, v0, v1
	v_cls_i32_e32 v6, v1
	s_delay_alu instid0(VALU_DEP_2) | instskip(NEXT) | instid1(VALU_DEP_1)
	v_ashrrev_i32_e32 v3, 31, v3
	v_add_nc_u32_e32 v3, 32, v3
	s_delay_alu instid0(VALU_DEP_1) | instskip(NEXT) | instid1(VALU_DEP_1)
	v_add_min_u32_e64 v3, v6, -1, v3
	v_lshlrev_b64_e32 v[0:1], v3, v[0:1]
	s_delay_alu instid0(VALU_DEP_1) | instskip(NEXT) | instid1(VALU_DEP_1)
	v_min_u32_e32 v0, 1, v0
	v_dual_sub_nc_u32 v1, 32, v3 :: v_dual_bitop2_b32 v0, v1, v0 bitop3:0x54
	s_delay_alu instid0(VALU_DEP_1) | instskip(NEXT) | instid1(VALU_DEP_1)
	v_cvt_f32_i32_e32 v0, v0
	v_ldexp_f32 v1, v0, v1
	s_branch .LBB22_1011
.LBB22_1008:
                                        ; implicit-def: $vgpr1
	s_branch .LBB22_1017
.LBB22_1009:
	s_mov_b32 s2, -1
                                        ; implicit-def: $vgpr1
	s_branch .LBB22_1014
.LBB22_1010:
	s_mov_b32 s2, -1
                                        ; implicit-def: $vgpr1
.LBB22_1011:
	s_delay_alu instid0(SALU_CYCLE_1)
	s_and_not1_b32 vcc_lo, exec_lo, s2
	s_cbranch_vccnz .LBB22_1013
; %bb.1012:
	global_load_b32 v0, v[4:5], off
	s_wait_loadcnt 0x0
	v_cvt_f32_i32_e32 v1, v0
.LBB22_1013:
	s_mov_b32 s2, 0
.LBB22_1014:
	s_delay_alu instid0(SALU_CYCLE_1)
	s_and_not1_b32 vcc_lo, exec_lo, s2
	s_cbranch_vccnz .LBB22_1016
; %bb.1015:
	global_load_i16 v0, v[4:5], off
	s_wait_loadcnt 0x0
	v_cvt_f32_i32_e32 v1, v0
.LBB22_1016:
	s_cbranch_execnz .LBB22_1022
.LBB22_1017:
	s_sext_i32_i16 s2, s13
	s_delay_alu instid0(SALU_CYCLE_1)
	s_cmp_gt_i32 s2, 0
	s_mov_b32 s2, 0
	s_cbranch_scc0 .LBB22_1019
; %bb.1018:
	global_load_i8 v0, v[4:5], off
	s_wait_loadcnt 0x0
	v_cvt_f32_i32_e32 v1, v0
	s_branch .LBB22_1020
.LBB22_1019:
	s_mov_b32 s2, -1
                                        ; implicit-def: $vgpr1
.LBB22_1020:
	s_delay_alu instid0(SALU_CYCLE_1)
	s_and_not1_b32 vcc_lo, exec_lo, s2
	s_cbranch_vccnz .LBB22_1022
; %bb.1021:
	global_load_u8 v0, v[4:5], off
	s_wait_loadcnt 0x0
	v_cvt_f32_ubyte0_e32 v1, v0
.LBB22_1022:
	s_or_b32 s0, s0, exec_lo
.LBB22_1023:
	s_wait_xcnt 0x0
	s_or_b32 exec_lo, exec_lo, s1
	s_mov_b32 s7, 0
	s_mov_b32 s2, 0
                                        ; implicit-def: $sgpr1
                                        ; implicit-def: $vgpr4_vgpr5
                                        ; implicit-def: $vgpr0
	s_and_saveexec_b32 s6, s0
	s_cbranch_execz .LBB22_1033
; %bb.1024:
                                        ; implicit-def: $vgpr0
	s_mov_b32 s0, exec_lo
	s_wait_loadcnt 0x0
	s_delay_alu instid0(VALU_DEP_1)
	v_cmpx_ge_f32_e32 0x40a00000, v1
	s_xor_b32 s7, exec_lo, s0
	s_cbranch_execz .LBB22_1030
; %bb.1025:
	v_mov_b32_e32 v0, 0xff800000
	s_mov_b32 s8, exec_lo
	v_cmpx_neq_f32_e32 0, v1
	s_cbranch_execz .LBB22_1029
; %bb.1026:
	v_mov_b32_e32 v0, 0x7fc00000
	s_mov_b32 s9, exec_lo
	v_cmpx_nge_f32_e32 0, v1
	s_cbranch_execz .LBB22_1028
; %bb.1027:
	v_mul_f32_e32 v0, v1, v1
	v_mov_b64_e32 v[10:11], 0x5461faf856d04aa6
	v_mov_b64_e32 v[12:13], 0x548a37dcce5691e2
	;; [unrolled: 1-line block ×3, first 2 shown]
	v_cmp_gt_f32_e64 s0, 0x800000, v1
	v_dual_fmaak_f32 v3, 0, v0, 0x4414934d :: v_dual_mul_f32 v6, 0, v0
	v_div_scale_f32 v21, s2, -1.0, v1, -1.0
	s_delay_alu instid0(VALU_DEP_2) | instskip(NEXT) | instid1(VALU_DEP_1)
	v_fmaak_f32 v3, v0, v3, 0x48660b06
	v_dual_fmaak_f32 v4, 0, v0, 0x441b3589 :: v_dual_mul_f32 v7, v0, v3
	s_delay_alu instid0(VALU_DEP_1) | instskip(SKIP_1) | instid1(VALU_DEP_2)
	v_fmaak_f32 v8, v0, v4, 0x487af6d0
	v_mov_b64_e32 v[4:5], 0x4c8c277d4e9695f3
	v_fmaak_f32 v3, v0, v8, 0x4c9f4aa7
	v_mov_b64_e32 v[8:9], 0x508bc61dd316b96b
	s_delay_alu instid0(VALU_DEP_3) | instskip(NEXT) | instid1(VALU_DEP_3)
	v_pk_add_f32 v[4:5], v[6:7], v[4:5]
	v_fmaak_f32 v3, v0, v3, 0x50a509fc
	s_delay_alu instid0(VALU_DEP_2) | instskip(SKIP_1) | instid1(VALU_DEP_3)
	v_pk_fma_f32 v[4:5], v[0:1], v[4:5], v[8:9] op_sel_hi:[0,1,1]
	v_mov_b64_e32 v[8:9], 0x580d1937d9e700d2
	v_mul_f32_e32 v7, v0, v3
	s_delay_alu instid0(VALU_DEP_3) | instskip(SKIP_1) | instid1(VALU_DEP_3)
	v_pk_fma_f32 v[4:5], v[0:1], v[4:5], v[10:11] op_sel_hi:[0,1,1]
	v_mov_b64_e32 v[10:11], 0x5b741f1e5c33cd68
	v_pk_add_f32 v[6:7], v[6:7], v[12:13]
	v_mov_b64_e32 v[12:13], 0x5b9f0600d6845497
	s_delay_alu instid0(VALU_DEP_4) | instskip(SKIP_1) | instid1(VALU_DEP_4)
	v_pk_fma_f32 v[4:5], v[0:1], v[4:5], v[8:9] op_sel_hi:[0,1,1]
	v_mov_b64_e32 v[8:9], 0x5e5c878ddd2cf20b
	v_pk_fma_f32 v[6:7], v[0:1], v[6:7], v[14:15] op_sel_hi:[0,1,1]
	v_mov_b64_e32 v[14:15], 0x5e93bcac59515a15
	s_delay_alu instid0(VALU_DEP_4) | instskip(NEXT) | instid1(VALU_DEP_3)
	v_pk_fma_f32 v[4:5], v[0:1], v[4:5], v[10:11] op_sel_hi:[0,1,1]
	v_pk_fma_f32 v[6:7], v[0:1], v[6:7], v[12:13] op_sel_hi:[0,1,1]
	v_div_scale_f32 v12, null, v1, v1, -1.0
	s_delay_alu instid0(VALU_DEP_3) | instskip(SKIP_1) | instid1(VALU_DEP_4)
	v_pk_fma_f32 v[4:5], v[0:1], v[4:5], v[8:9] op_sel_hi:[0,1,1]
	v_cndmask_b32_e64 v9, 0, 32, s0
	v_pk_fma_f32 v[6:7], v[0:1], v[6:7], v[14:15] op_sel_hi:[0,1,1]
	s_delay_alu instid0(VALU_DEP_3) | instskip(NEXT) | instid1(VALU_DEP_2)
	v_div_scale_f32 v3, null, v5, v5, v4
	v_div_scale_f32 v8, null, v7, v7, v6
	v_div_scale_f32 v15, vcc_lo, v4, v5, v4
	s_delay_alu instid0(VALU_DEP_3) | instskip(NEXT) | instid1(VALU_DEP_2)
	v_rcp_f32_e32 v10, v3
	v_rcp_f32_e32 v11, v8
	v_div_scale_f32 v16, s1, v6, v7, v6
	v_ldexp_f32 v9, v1, v9
	s_delay_alu instid0(TRANS32_DEP_2) | instskip(NEXT) | instid1(TRANS32_DEP_1)
	v_fma_f32 v13, -v3, v10, 1.0
	v_fma_f32 v14, -v8, v11, 1.0
	s_delay_alu instid0(VALU_DEP_3) | instskip(NEXT) | instid1(VALU_DEP_1)
	v_log_f32_e32 v18, v9
	v_dual_fmac_f32 v10, v13, v10 :: v_dual_fmac_f32 v11, v14, v11
	v_rcp_f32_e32 v13, v12
	s_delay_alu instid0(VALU_DEP_1) | instskip(NEXT) | instid1(TRANS32_DEP_1)
	v_dual_mul_f32 v14, v15, v10 :: v_dual_mul_f32 v17, v16, v11
	v_fma_f32 v9, -v12, v13, 1.0
	s_delay_alu instid0(VALU_DEP_2)
	v_fma_f32 v19, -v3, v14, v15
	s_delay_alu instid0(TRANS32_DEP_2) | instid1(VALU_DEP_2)
	v_dual_mul_f32 v22, 0x3f317217, v18 :: v_dual_fmac_f32 v13, v9, v13
	s_delay_alu instid0(VALU_DEP_2) | instskip(NEXT) | instid1(VALU_DEP_2)
	v_dual_fmac_f32 v14, v19, v10 :: v_dual_fma_f32 v20, -v8, v17, v16
	v_fma_f32 v19, 0x3f317217, v18, -v22
	s_delay_alu instid0(VALU_DEP_2) | instskip(NEXT) | instid1(VALU_DEP_4)
	v_dual_fma_f32 v3, -v3, v14, v15 :: v_dual_fmac_f32 v17, v20, v11
	v_mul_f32_e32 v15, v21, v13
	s_delay_alu instid0(VALU_DEP_2) | instskip(NEXT) | instid1(VALU_DEP_3)
	v_div_fmas_f32 v3, v3, v10, v14
	v_fma_f32 v8, -v8, v17, v16
	s_mov_b32 vcc_lo, s1
	v_fmamk_f32 v14, v18, 0x3377d1cf, v19
	s_delay_alu instid0(VALU_DEP_3) | instskip(NEXT) | instid1(VALU_DEP_3)
	v_div_fixup_f32 v3, v3, v5, v4
	v_div_fmas_f32 v10, v8, v11, v17
	v_fma_f32 v11, -v12, v15, v21
	v_mov_b64_e32 v[8:9], 0xc16ae95ac244dfb3
	v_fmac_f32_e32 v14, 0x3f317217, v18
	v_cmp_gt_f32_e64 vcc_lo, 0x7f800000, |v18|
	v_div_fixup_f32 v10, v10, v7, v6
	v_fmac_f32_e32 v15, v11, v13
	v_pk_add_f32 v[6:7], v[0:1], v[8:9] op_sel_hi:[0,1]
	s_delay_alu instid0(VALU_DEP_2) | instskip(SKIP_3) | instid1(VALU_DEP_3)
	v_dual_mul_f32 v0, v1, v10 :: v_dual_fma_f32 v9, -v12, v15, v21
	v_cndmask_b32_e32 v10, v18, v14, vcc_lo
	s_mov_b32 vcc_lo, s2
	v_cndmask_b32_e64 v8, 0, 0x41b17218, s0
	v_mul_f32_e32 v0, v7, v0
	v_div_fmas_f32 v7, v9, v13, v15
	s_delay_alu instid0(VALU_DEP_3) | instskip(NEXT) | instid1(VALU_DEP_3)
	v_sub_f32_e32 v8, v10, v8
	v_mul_f32_e32 v0, v6, v0
	s_delay_alu instid0(VALU_DEP_3) | instskip(NEXT) | instid1(VALU_DEP_1)
	v_div_fixup_f32 v6, v7, v1, -1.0
	v_fmac_f32_e32 v6, v8, v0
	s_delay_alu instid0(VALU_DEP_1) | instskip(NEXT) | instid1(VALU_DEP_1)
	v_mul_f32_e32 v0, 0x3f22f983, v6
	v_fmac_f32_e32 v0, v1, v3
.LBB22_1028:
	s_or_b32 exec_lo, exec_lo, s9
.LBB22_1029:
	s_delay_alu instid0(SALU_CYCLE_1)
	s_or_b32 exec_lo, exec_lo, s8
                                        ; implicit-def: $vgpr1
.LBB22_1030:
	s_and_not1_saveexec_b32 s7, s7
	s_cbranch_execz .LBB22_1043
; %bb.1031:
	v_add_f32_e32 v0, 0xc016cbe4, v1
                                        ; implicit-def: $vgpr5
                                        ; implicit-def: $vgpr4
	s_delay_alu instid0(VALU_DEP_1) | instskip(SKIP_2) | instid1(SALU_CYCLE_1)
	v_and_b32_e32 v3, 0x7fffffff, v0
	v_cmp_ngt_f32_e64 s2, 0x48000000, |v0|
	s_and_saveexec_b32 s0, s2
	s_xor_b32 s8, exec_lo, s0
	s_cbranch_execz .LBB22_1036
; %bb.1032:
	s_mov_b32 s0, 0x7fffff
	v_mov_b32_e32 v5, 0
	v_and_or_b32 v4, v3, s0, 0x800000
	s_mov_b64 s[0:1], 0xfe5163ab
	s_delay_alu instid0(VALU_DEP_1) | instid1(SALU_CYCLE_1)
	v_mul_u64_e32 v[6:7], s[0:1], v[4:5]
	s_delay_alu instid0(VALU_DEP_1) | instskip(SKIP_2) | instid1(VALU_DEP_3)
	v_dual_mov_b32 v8, v7 :: v_dual_mov_b32 v9, v5
	v_dual_mov_b32 v11, v5 :: v_dual_mov_b32 v13, v5
	v_dual_mov_b32 v15, v5 :: v_dual_lshrrev_b32 v7, 23, v3
	v_mad_nc_u64_u32 v[8:9], 0x3c439041, v4, v[8:9]
	s_delay_alu instid0(VALU_DEP_1) | instskip(NEXT) | instid1(VALU_DEP_1)
	v_mov_b32_e32 v10, v9
	v_mad_nc_u64_u32 v[10:11], 0xdb629599, v4, v[10:11]
	s_delay_alu instid0(VALU_DEP_1) | instskip(NEXT) | instid1(VALU_DEP_1)
	v_mov_b32_e32 v12, v11
	;; [unrolled: 3-line block ×3, first 2 shown]
	v_mad_nc_u64_u32 v[14:15], 0xfc2757d1, v4, v[14:15]
	s_delay_alu instid0(VALU_DEP_1) | instskip(NEXT) | instid1(VALU_DEP_1)
	v_dual_mov_b32 v17, v5 :: v_dual_mov_b32 v16, v15
	v_mad_nc_u64_u32 v[16:17], 0x4e441529, v4, v[16:17]
	s_delay_alu instid0(VALU_DEP_1) | instskip(NEXT) | instid1(VALU_DEP_1)
	v_dual_mov_b32 v18, v17 :: v_dual_add_nc_u32 v7, 0xffffff88, v7
	v_cmp_lt_u32_e32 vcc_lo, 63, v7
	v_mov_b32_e32 v19, v5
	v_cndmask_b32_e64 v9, 0, 0xffffffc0, vcc_lo
	s_delay_alu instid0(VALU_DEP_2) | instskip(SKIP_1) | instid1(VALU_DEP_3)
	v_mad_nc_u64_u32 v[4:5], 0xa2f9836e, v4, v[18:19]
	v_dual_cndmask_b32 v11, v16, v12, vcc_lo :: v_dual_cndmask_b32 v13, v14, v10, vcc_lo
	v_dual_cndmask_b32 v8, v12, v8 :: v_dual_add_nc_u32 v7, v9, v7
	v_cndmask_b32_e32 v6, v10, v6, vcc_lo
	s_delay_alu instid0(VALU_DEP_2) | instskip(SKIP_1) | instid1(VALU_DEP_2)
	v_cmp_lt_u32_e64 s0, 31, v7
	v_dual_cndmask_b32 v4, v4, v14 :: v_dual_cndmask_b32 v5, v5, v16
	v_cndmask_b32_e64 v9, 0, 0xffffffe0, s0
	s_delay_alu instid0(VALU_DEP_4) | instskip(NEXT) | instid1(VALU_DEP_2)
	v_dual_cndmask_b32 v12, v13, v8, s0 :: v_dual_cndmask_b32 v6, v8, v6, s0
	v_add_nc_u32_e32 v7, v9, v7
	s_delay_alu instid0(VALU_DEP_1) | instskip(NEXT) | instid1(VALU_DEP_1)
	v_cmp_lt_u32_e64 s1, 31, v7
	v_cndmask_b32_e64 v9, 0, 0xffffffe0, s1
	s_delay_alu instid0(VALU_DEP_1) | instskip(SKIP_1) | instid1(VALU_DEP_2)
	v_dual_cndmask_b32 v6, v12, v6, s1 :: v_dual_add_nc_u32 v7, v9, v7
	v_dual_cndmask_b32 v9, v4, v11, s0 :: v_dual_cndmask_b32 v4, v5, v4, s0
	v_dual_cndmask_b32 v5, v11, v13, s0 :: v_dual_sub_nc_u32 v11, 32, v7
	v_cmp_eq_u32_e32 vcc_lo, 0, v7
	s_delay_alu instid0(VALU_DEP_3) | instskip(NEXT) | instid1(VALU_DEP_3)
	v_cndmask_b32_e64 v4, v4, v9, s1
	v_cndmask_b32_e64 v9, v9, v5, s1
	;; [unrolled: 1-line block ×3, first 2 shown]
	s_delay_alu instid0(VALU_DEP_2) | instskip(NEXT) | instid1(VALU_DEP_2)
	v_alignbit_b32 v13, v4, v9, v11
	v_alignbit_b32 v10, v9, v5, v11
	;; [unrolled: 1-line block ×3, first 2 shown]
	s_delay_alu instid0(VALU_DEP_2) | instskip(NEXT) | instid1(VALU_DEP_2)
	v_dual_cndmask_b32 v4, v13, v4 :: v_dual_cndmask_b32 v7, v10, v9
	v_cndmask_b32_e32 v5, v11, v5, vcc_lo
	s_delay_alu instid0(VALU_DEP_2) | instskip(NEXT) | instid1(VALU_DEP_3)
	v_bfe_u32 v8, v4, 29, 1
	v_alignbit_b32 v9, v4, v7, 30
	s_delay_alu instid0(VALU_DEP_3) | instskip(SKIP_1) | instid1(VALU_DEP_4)
	v_alignbit_b32 v7, v7, v5, 30
	v_alignbit_b32 v5, v5, v6, 30
	v_sub_nc_u32_e32 v10, 0, v8
	s_delay_alu instid0(VALU_DEP_1) | instskip(NEXT) | instid1(VALU_DEP_4)
	v_xor_b32_e32 v9, v9, v10
	v_xor_b32_e32 v6, v7, v10
	s_delay_alu instid0(VALU_DEP_4) | instskip(NEXT) | instid1(VALU_DEP_3)
	v_dual_lshrrev_b32 v10, 29, v4 :: v_dual_bitop2_b32 v5, v5, v10 bitop3:0x14
	v_clz_i32_u32_e32 v11, v9
	s_delay_alu instid0(VALU_DEP_1) | instskip(NEXT) | instid1(VALU_DEP_1)
	v_min_u32_e32 v11, 32, v11
	v_dual_sub_nc_u32 v7, 31, v11 :: v_dual_lshlrev_b32 v12, 23, v11
	s_delay_alu instid0(VALU_DEP_1) | instskip(SKIP_2) | instid1(VALU_DEP_2)
	v_alignbit_b32 v9, v9, v6, v7
	v_alignbit_b32 v5, v6, v5, v7
	v_lshlrev_b32_e32 v6, 31, v10
	v_alignbit_b32 v7, v9, v5, 9
	s_delay_alu instid0(VALU_DEP_2) | instskip(SKIP_1) | instid1(VALU_DEP_3)
	v_dual_lshrrev_b32 v9, 9, v9 :: v_dual_bitop2_b32 v10, 0.5, v6 bitop3:0x54
	v_or_b32_e32 v6, 0x33000000, v6
	v_clz_i32_u32_e32 v13, v7
	s_delay_alu instid0(VALU_DEP_3) | instskip(NEXT) | instid1(VALU_DEP_2)
	v_sub_nc_u32_e32 v10, v10, v12
	v_min_u32_e32 v12, 32, v13
	s_delay_alu instid0(VALU_DEP_1) | instskip(NEXT) | instid1(VALU_DEP_3)
	v_add_lshl_u32 v11, v12, v11, 23
	v_or_b32_e32 v9, v9, v10
	v_not_b32_e32 v10, v12
	s_delay_alu instid0(VALU_DEP_2) | instskip(NEXT) | instid1(VALU_DEP_2)
	v_dual_mul_f32 v13, 0x3fc90fda, v9 :: v_dual_sub_nc_u32 v6, v6, v11
	v_alignbit_b32 v5, v7, v5, v10
	s_delay_alu instid0(VALU_DEP_2) | instskip(NEXT) | instid1(VALU_DEP_2)
	v_fma_f32 v7, 0x3fc90fda, v9, -v13
	v_lshrrev_b32_e32 v5, 9, v5
	s_delay_alu instid0(VALU_DEP_2) | instskip(NEXT) | instid1(VALU_DEP_2)
	v_fmamk_f32 v7, v9, 0x33a22168, v7
	v_or_b32_e32 v5, v6, v5
	s_delay_alu instid0(VALU_DEP_1) | instskip(NEXT) | instid1(VALU_DEP_1)
	v_fmac_f32_e32 v7, 0x3fc90fda, v5
	v_dual_add_f32 v4, v13, v7 :: v_dual_lshrrev_b32 v5, 30, v4
	s_delay_alu instid0(VALU_DEP_1)
	v_add_nc_u32_e32 v5, v8, v5
	s_and_not1_saveexec_b32 s0, s8
	s_branch .LBB22_1037
.LBB22_1033:
	s_or_b32 exec_lo, exec_lo, s6
	s_and_saveexec_b32 s0, s39
	s_cbranch_execnz .LBB22_1120
.LBB22_1034:
	s_or_b32 exec_lo, exec_lo, s0
	s_and_saveexec_b32 s0, s7
	s_delay_alu instid0(SALU_CYCLE_1)
	s_xor_b32 s0, exec_lo, s0
	s_cbranch_execz .LBB22_1121
.LBB22_1035:
	v_cmp_neq_f32_e32 vcc_lo, 0, v0
	s_wait_loadcnt 0x0
	v_cndmask_b32_e64 v1, 0, 1, vcc_lo
	global_store_b8 v[4:5], v1, off
	s_wait_xcnt 0x0
	s_or_b32 exec_lo, exec_lo, s0
	s_and_saveexec_b32 s0, s2
	s_delay_alu instid0(SALU_CYCLE_1)
	s_xor_b32 s0, exec_lo, s0
	s_cbranch_execz .LBB22_1159
	s_branch .LBB22_1122
.LBB22_1036:
	s_and_not1_saveexec_b32 s0, s8
.LBB22_1037:
	v_mul_f32_e64 v4, 0x3f22f983, |v0|
	s_delay_alu instid0(VALU_DEP_1) | instskip(NEXT) | instid1(VALU_DEP_1)
	v_rndne_f32_e32 v5, v4
	v_fma_f32 v4, 0xbfc90fda, v5, |v0|
	s_delay_alu instid0(VALU_DEP_1) | instskip(NEXT) | instid1(VALU_DEP_1)
	v_fmamk_f32 v4, v5, 0xb3a22168, v4
	v_fmamk_f32 v4, v5, 0xa7c234c4, v4
	v_cvt_i32_f32_e32 v5, v5
; %bb.1038:
	s_or_b32 exec_lo, exec_lo, s0
                                        ; implicit-def: $vgpr7
                                        ; implicit-def: $vgpr6
	s_and_saveexec_b32 s0, s2
	s_delay_alu instid0(SALU_CYCLE_1)
	s_xor_b32 s2, exec_lo, s0
	s_cbranch_execz .LBB22_1040
; %bb.1039:
	s_mov_b32 s0, 0x7fffff
	v_mov_b32_e32 v7, 0
	v_and_or_b32 v6, v3, s0, 0x800000
	s_mov_b64 s[0:1], 0xfe5163ab
	s_delay_alu instid0(VALU_DEP_1) | instid1(SALU_CYCLE_1)
	v_mul_u64_e32 v[8:9], s[0:1], v[6:7]
	s_delay_alu instid0(VALU_DEP_1) | instskip(SKIP_2) | instid1(VALU_DEP_3)
	v_dual_mov_b32 v10, v9 :: v_dual_mov_b32 v11, v7
	v_dual_mov_b32 v13, v7 :: v_dual_mov_b32 v15, v7
	v_dual_mov_b32 v17, v7 :: v_dual_lshrrev_b32 v9, 23, v3
	v_mad_nc_u64_u32 v[10:11], 0x3c439041, v6, v[10:11]
	s_delay_alu instid0(VALU_DEP_1) | instskip(NEXT) | instid1(VALU_DEP_1)
	v_mov_b32_e32 v12, v11
	v_mad_nc_u64_u32 v[12:13], 0xdb629599, v6, v[12:13]
	s_delay_alu instid0(VALU_DEP_1) | instskip(NEXT) | instid1(VALU_DEP_1)
	v_mov_b32_e32 v14, v13
	;; [unrolled: 3-line block ×3, first 2 shown]
	v_mad_nc_u64_u32 v[16:17], 0xfc2757d1, v6, v[16:17]
	s_delay_alu instid0(VALU_DEP_1) | instskip(NEXT) | instid1(VALU_DEP_1)
	v_dual_mov_b32 v19, v7 :: v_dual_mov_b32 v18, v17
	v_mad_nc_u64_u32 v[18:19], 0x4e441529, v6, v[18:19]
	s_delay_alu instid0(VALU_DEP_1) | instskip(NEXT) | instid1(VALU_DEP_1)
	v_dual_mov_b32 v20, v19 :: v_dual_add_nc_u32 v9, 0xffffff88, v9
	v_cmp_lt_u32_e32 vcc_lo, 63, v9
	v_mov_b32_e32 v21, v7
	v_cndmask_b32_e64 v11, 0, 0xffffffc0, vcc_lo
	s_delay_alu instid0(VALU_DEP_2) | instskip(SKIP_1) | instid1(VALU_DEP_3)
	v_mad_nc_u64_u32 v[6:7], 0xa2f9836e, v6, v[20:21]
	v_dual_cndmask_b32 v13, v18, v14, vcc_lo :: v_dual_cndmask_b32 v15, v16, v12, vcc_lo
	v_dual_cndmask_b32 v10, v14, v10 :: v_dual_add_nc_u32 v9, v11, v9
	v_cndmask_b32_e32 v8, v12, v8, vcc_lo
	s_delay_alu instid0(VALU_DEP_2) | instskip(SKIP_1) | instid1(VALU_DEP_2)
	v_cmp_lt_u32_e64 s0, 31, v9
	v_dual_cndmask_b32 v6, v6, v16 :: v_dual_cndmask_b32 v7, v7, v18
	v_cndmask_b32_e64 v11, 0, 0xffffffe0, s0
	s_delay_alu instid0(VALU_DEP_4) | instskip(NEXT) | instid1(VALU_DEP_2)
	v_dual_cndmask_b32 v14, v15, v10, s0 :: v_dual_cndmask_b32 v8, v10, v8, s0
	v_add_nc_u32_e32 v9, v11, v9
	s_delay_alu instid0(VALU_DEP_1) | instskip(NEXT) | instid1(VALU_DEP_1)
	v_cmp_lt_u32_e64 s1, 31, v9
	v_cndmask_b32_e64 v11, 0, 0xffffffe0, s1
	s_delay_alu instid0(VALU_DEP_1) | instskip(SKIP_1) | instid1(VALU_DEP_2)
	v_dual_cndmask_b32 v8, v14, v8, s1 :: v_dual_add_nc_u32 v9, v11, v9
	v_dual_cndmask_b32 v11, v6, v13, s0 :: v_dual_cndmask_b32 v6, v7, v6, s0
	v_dual_cndmask_b32 v7, v13, v15, s0 :: v_dual_sub_nc_u32 v13, 32, v9
	v_cmp_eq_u32_e32 vcc_lo, 0, v9
	s_delay_alu instid0(VALU_DEP_3) | instskip(NEXT) | instid1(VALU_DEP_3)
	v_cndmask_b32_e64 v6, v6, v11, s1
	v_cndmask_b32_e64 v11, v11, v7, s1
	;; [unrolled: 1-line block ×3, first 2 shown]
	s_delay_alu instid0(VALU_DEP_2) | instskip(NEXT) | instid1(VALU_DEP_2)
	v_alignbit_b32 v15, v6, v11, v13
	v_alignbit_b32 v12, v11, v7, v13
	;; [unrolled: 1-line block ×3, first 2 shown]
	s_delay_alu instid0(VALU_DEP_2) | instskip(NEXT) | instid1(VALU_DEP_2)
	v_dual_cndmask_b32 v6, v15, v6 :: v_dual_cndmask_b32 v9, v12, v11
	v_cndmask_b32_e32 v7, v13, v7, vcc_lo
	s_delay_alu instid0(VALU_DEP_2) | instskip(NEXT) | instid1(VALU_DEP_3)
	v_bfe_u32 v10, v6, 29, 1
	v_alignbit_b32 v11, v6, v9, 30
	s_delay_alu instid0(VALU_DEP_3) | instskip(SKIP_1) | instid1(VALU_DEP_4)
	v_alignbit_b32 v9, v9, v7, 30
	v_alignbit_b32 v7, v7, v8, 30
	v_sub_nc_u32_e32 v12, 0, v10
	s_delay_alu instid0(VALU_DEP_1) | instskip(NEXT) | instid1(VALU_DEP_4)
	v_xor_b32_e32 v11, v11, v12
	v_xor_b32_e32 v8, v9, v12
	s_delay_alu instid0(VALU_DEP_4) | instskip(NEXT) | instid1(VALU_DEP_3)
	v_dual_lshrrev_b32 v12, 29, v6 :: v_dual_bitop2_b32 v7, v7, v12 bitop3:0x14
	v_clz_i32_u32_e32 v13, v11
	s_delay_alu instid0(VALU_DEP_1) | instskip(NEXT) | instid1(VALU_DEP_1)
	v_min_u32_e32 v13, 32, v13
	v_dual_sub_nc_u32 v9, 31, v13 :: v_dual_lshlrev_b32 v14, 23, v13
	s_delay_alu instid0(VALU_DEP_1) | instskip(SKIP_2) | instid1(VALU_DEP_2)
	v_alignbit_b32 v11, v11, v8, v9
	v_alignbit_b32 v7, v8, v7, v9
	v_lshlrev_b32_e32 v8, 31, v12
	v_alignbit_b32 v9, v11, v7, 9
	s_delay_alu instid0(VALU_DEP_2) | instskip(SKIP_1) | instid1(VALU_DEP_3)
	v_dual_lshrrev_b32 v11, 9, v11 :: v_dual_bitop2_b32 v12, 0.5, v8 bitop3:0x54
	v_or_b32_e32 v8, 0x33000000, v8
	v_clz_i32_u32_e32 v15, v9
	s_delay_alu instid0(VALU_DEP_3) | instskip(NEXT) | instid1(VALU_DEP_2)
	v_sub_nc_u32_e32 v12, v12, v14
	v_min_u32_e32 v14, 32, v15
	s_delay_alu instid0(VALU_DEP_1) | instskip(NEXT) | instid1(VALU_DEP_3)
	v_add_lshl_u32 v13, v14, v13, 23
	v_or_b32_e32 v11, v11, v12
	v_not_b32_e32 v12, v14
	s_delay_alu instid0(VALU_DEP_2) | instskip(NEXT) | instid1(VALU_DEP_2)
	v_dual_mul_f32 v15, 0x3fc90fda, v11 :: v_dual_sub_nc_u32 v8, v8, v13
	v_alignbit_b32 v7, v9, v7, v12
	s_delay_alu instid0(VALU_DEP_2) | instskip(NEXT) | instid1(VALU_DEP_2)
	v_fma_f32 v9, 0x3fc90fda, v11, -v15
	v_lshrrev_b32_e32 v7, 9, v7
	s_delay_alu instid0(VALU_DEP_2) | instskip(NEXT) | instid1(VALU_DEP_2)
	v_fmamk_f32 v9, v11, 0x33a22168, v9
	v_or_b32_e32 v7, v8, v7
	s_delay_alu instid0(VALU_DEP_1) | instskip(NEXT) | instid1(VALU_DEP_1)
	v_fmac_f32_e32 v9, 0x3fc90fda, v7
	v_dual_add_f32 v6, v15, v9 :: v_dual_lshrrev_b32 v7, 30, v6
	s_delay_alu instid0(VALU_DEP_1)
	v_add_nc_u32_e32 v7, v10, v7
	s_and_not1_saveexec_b32 s0, s2
	s_cbranch_execnz .LBB22_1041
	s_branch .LBB22_1042
.LBB22_1040:
	s_and_not1_saveexec_b32 s0, s2
.LBB22_1041:
	v_mul_f32_e64 v6, 0x3f22f983, |v0|
	s_delay_alu instid0(VALU_DEP_1) | instskip(NEXT) | instid1(VALU_DEP_1)
	v_rndne_f32_e32 v7, v6
	v_fma_f32 v6, 0xbfc90fda, v7, |v0|
	s_delay_alu instid0(VALU_DEP_1) | instskip(NEXT) | instid1(VALU_DEP_1)
	v_fmamk_f32 v6, v7, 0xb3a22168, v6
	v_fmamk_f32 v6, v7, 0xa7c234c4, v6
	v_cvt_i32_f32_e32 v7, v7
.LBB22_1042:
	s_or_b32 exec_lo, exec_lo, s0
	v_div_scale_f32 v8, null, v1, v1, 0x40a00000
	v_div_scale_f32 v11, vcc_lo, 0x40a00000, v1, 0x40a00000
	s_mov_b32 s0, 0xb94c1982
	v_rcp_f32_e32 v9, v8
	s_mov_b32 s1, 0x37d75334
	v_xor_b32_e32 v3, v3, v0
	v_and_b32_e32 v13, 1, v7
	s_delay_alu instid0(TRANS32_DEP_1) | instskip(NEXT) | instid1(VALU_DEP_1)
	v_fma_f32 v10, -v8, v9, 1.0
	v_fmac_f32_e32 v9, v10, v9
	s_delay_alu instid0(VALU_DEP_1) | instskip(NEXT) | instid1(VALU_DEP_1)
	v_mul_f32_e32 v10, v11, v9
	v_fma_f32 v12, -v8, v10, v11
	s_delay_alu instid0(VALU_DEP_1) | instskip(NEXT) | instid1(VALU_DEP_1)
	v_dual_fmac_f32 v10, v12, v9 :: v_dual_mul_f32 v12, v6, v6
	v_fma_f32 v8, -v8, v10, v11
	s_delay_alu instid0(VALU_DEP_2) | instskip(SKIP_1) | instid1(VALU_DEP_3)
	v_fmaak_f32 v21, s0, v12, 0x3c0881c4
	v_fmaak_f32 v22, s1, v12, 0xbab64f3b
	v_div_fmas_f32 v8, v8, v9, v10
	v_dual_mul_f32 v9, v4, v4 :: v_dual_bitop2_b32 v10, 1, v5 bitop3:0x40
	s_delay_alu instid0(VALU_DEP_4) | instskip(NEXT) | instid1(VALU_DEP_4)
	v_fmaak_f32 v21, v12, v21, 0xbe2aaa9d
	v_fmaak_f32 v22, v12, v22, 0x3d2aabf7
	s_delay_alu instid0(VALU_DEP_4) | instskip(NEXT) | instid1(VALU_DEP_4)
	v_div_fixup_f32 v8, v8, v1, 0x40a00000
	v_fmaak_f32 v19, s0, v9, 0x3c0881c4
	v_cmp_gt_f32_e64 s0, 0xf800000, v1
	v_cmp_eq_u32_e64 s2, 0, v10
	v_fmaak_f32 v22, v12, v22, 0xbf000004
	v_dual_mul_f32 v11, v8, v8 :: v_dual_lshlrev_b32 v5, 30, v5
	v_fmaak_f32 v19, v9, v19, 0xbe2aaa9d
	v_mul_f32_e32 v18, 0x4f800000, v1
	s_delay_alu instid0(VALU_DEP_3) | instskip(SKIP_1) | instid1(VALU_DEP_4)
	v_dual_mul_f32 v21, v12, v21 :: v_dual_fmaak_f32 v14, 0, v11, 0x3d513fd3
	v_fmaak_f32 v15, 0, v11, 0x3a15c4d9
	v_mul_f32_e32 v19, v9, v19
	s_delay_alu instid0(VALU_DEP_4) | instskip(NEXT) | instid1(VALU_DEP_4)
	v_dual_cndmask_b32 v1, v1, v18, s0 :: v_dual_lshlrev_b32 v7, 30, v7
	v_fmaak_f32 v14, v11, v14, 0x409f6dae
	s_delay_alu instid0(VALU_DEP_4) | instskip(NEXT) | instid1(VALU_DEP_3)
	v_dual_fmaak_f32 v15, v11, v15, 0x3d8cfeeb :: v_dual_fmac_f32 v6, v6, v21
	v_sqrt_f32_e32 v25, v1
	v_fmaak_f32 v17, 0, v11, 0x3a47c962
	v_fmaak_f32 v16, 0, v11, 0x42947983
	s_delay_alu instid0(VALU_DEP_3)
	v_fmaak_f32 v15, v11, v15, 0x3f8d754e
	v_fmac_f32_e32 v4, v4, v19
	v_fma_f32 v12, v12, v22, 1.0
	v_and_b32_e32 v5, 0x80000000, v5
	v_add_nc_u32_e32 v30, 1, v25
	v_fmaak_f32 v17, v11, v17, 0x3d95ca45
	v_fmaak_f32 v15, v11, v15, 0x40a25d18
	;; [unrolled: 1-line block ×3, first 2 shown]
	s_delay_alu instid0(VALU_DEP_3) | instskip(NEXT) | instid1(VALU_DEP_3)
	v_fmaak_f32 v17, v11, v17, 0x3f9047f6
	v_fmaak_f32 v15, v11, v15, 0x410665cf
	s_delay_alu instid0(VALU_DEP_3) | instskip(NEXT) | instid1(VALU_DEP_3)
	v_fmaak_f32 v16, v11, v16, 0x459bd349
	v_fmaak_f32 v17, v11, v17, 0x40a39628
	;; [unrolled: 3-line block ×3, first 2 shown]
	s_delay_alu instid0(VALU_DEP_3) | instskip(NEXT) | instid1(VALU_DEP_3)
	v_fmaak_f32 v17, v11, v17, 0x4106c8e4
	v_fma_f32 v15, v11, v15, 1.0
	s_delay_alu instid0(VALU_DEP_3) | instskip(NEXT) | instid1(VALU_DEP_3)
	v_fmaak_f32 v16, v11, v16, 0x45f9e855
	v_fmaak_f32 v17, v11, v17, 0x40a6dd51
	s_delay_alu instid0(VALU_DEP_2) | instskip(NEXT) | instid1(VALU_DEP_2)
	v_fmaak_f32 v16, v11, v16, 0x4530a316
	v_fma_f32 v17, v11, v17, 1.0
	s_delay_alu instid0(VALU_DEP_2) | instskip(NEXT) | instid1(VALU_DEP_2)
	v_fmaak_f32 v16, v11, v16, 0x43a80bfb
	v_div_scale_f32 v28, vcc_lo, v17, v15, v17
	v_fmaak_f32 v14, v11, v14, 0x4297a5cd
	s_delay_alu instid0(VALU_DEP_1) | instskip(NEXT) | instid1(VALU_DEP_1)
	v_fmaak_f32 v14, v11, v14, 0x43b763ca
	v_fmaak_f32 v14, v11, v14, 0x4431b6ce
	s_delay_alu instid0(VALU_DEP_1) | instskip(NEXT) | instid1(VALU_DEP_1)
	v_fmaak_f32 v14, v11, v14, 0x44155f56
	v_fmaak_f32 v14, v11, v14, 0x4353b052
	s_delay_alu instid0(VALU_DEP_1) | instskip(SKIP_1) | instid1(VALU_DEP_2)
	v_fmaak_f32 v11, v11, v14, 0x41c9a7fa
	v_div_scale_f32 v14, null, v15, v15, v17
	v_div_scale_f32 v18, null, v16, v16, v11
	s_delay_alu instid0(VALU_DEP_2) | instskip(NEXT) | instid1(VALU_DEP_1)
	v_rcp_f32_e32 v23, v14
	v_rcp_f32_e32 v24, v18
	s_delay_alu instid0(TRANS32_DEP_2) | instskip(NEXT) | instid1(TRANS32_DEP_1)
	v_fma_f32 v26, -v14, v23, 1.0
	v_fma_f32 v27, -v18, v24, 1.0
	s_delay_alu instid0(VALU_DEP_1) | instskip(NEXT) | instid1(VALU_DEP_1)
	v_dual_fmac_f32 v23, v26, v23 :: v_dual_fmac_f32 v24, v27, v24
	v_dual_add_nc_u32 v27, -1, v25 :: v_dual_mul_f32 v29, v28, v23
	s_delay_alu instid0(VALU_DEP_1) | instskip(SKIP_2) | instid1(VALU_DEP_4)
	v_fma_f32 v19, -v14, v29, v28
	v_fmaak_f32 v20, s1, v9, 0xbab64f3b
	v_div_scale_f32 v26, s1, v11, v16, v11
	v_fma_f32 v21, -v27, v25, v1
	s_delay_alu instid0(VALU_DEP_3) | instskip(NEXT) | instid1(VALU_DEP_3)
	v_dual_fmac_f32 v29, v19, v23 :: v_dual_fmaak_f32 v20, v9, v20, 0x3d2aabf7
	v_mul_f32_e32 v31, v26, v24
	s_delay_alu instid0(VALU_DEP_2) | instskip(NEXT) | instid1(VALU_DEP_1)
	v_fmaak_f32 v20, v9, v20, 0xbf000004
	v_fma_f32 v9, v9, v20, 1.0
	s_delay_alu instid0(VALU_DEP_3) | instskip(NEXT) | instid1(VALU_DEP_2)
	v_fma_f32 v20, -v18, v31, v26
	v_dual_fma_f32 v19, -v30, v25, v1 :: v_dual_cndmask_b32 v4, v9, v4, s2
	s_delay_alu instid0(VALU_DEP_2) | instskip(SKIP_1) | instid1(VALU_DEP_3)
	v_dual_fmac_f32 v31, v20, v24 :: v_dual_fma_f32 v9, -v14, v29, v28
	v_cmp_eq_u32_e64 s2, 0, v13
	v_xor3_b32 v3, v3, v5, v4
	s_delay_alu instid0(VALU_DEP_3) | instskip(NEXT) | instid1(VALU_DEP_4)
	v_fma_f32 v10, -v18, v31, v26
	v_div_fmas_f32 v9, v9, v23, v29
	s_mov_b32 vcc_lo, s1
	v_cndmask_b32_e64 v6, -v6, v12, s2
	v_cmp_lt_f32_e64 s1, 0, v19
	v_div_fmas_f32 v10, v10, v24, v31
	v_cmp_ge_f32_e32 vcc_lo, 0, v21
	s_delay_alu instid0(VALU_DEP_2)
	v_div_fixup_f32 v4, v10, v16, v11
	v_cndmask_b32_e32 v12, v25, v27, vcc_lo
	v_cmp_class_f32_e64 vcc_lo, v0, 0x1f8
	v_bitop3_b32 v0, v7, v6, 0x80000000 bitop3:0x6c
	v_div_fixup_f32 v7, v9, v15, v17
	v_mul_f32_e32 v4, v8, v4
	v_cndmask_b32_e64 v5, v12, v30, s1
	v_cndmask_b32_e32 v3, 0x7fc00000, v3, vcc_lo
	v_cndmask_b32_e32 v0, 0x7fc00000, v0, vcc_lo
	v_cmp_class_f32_e64 vcc_lo, v1, 0x260
	s_delay_alu instid0(VALU_DEP_4) | instskip(NEXT) | instid1(VALU_DEP_1)
	v_mul_f32_e32 v6, 0x37800000, v5
	v_dual_mul_f32 v0, v4, v0 :: v_dual_cndmask_b32 v4, v5, v6, s0
	s_delay_alu instid0(VALU_DEP_1) | instskip(NEXT) | instid1(VALU_DEP_1)
	v_dual_fmac_f32 v0, v7, v3 :: v_dual_cndmask_b32 v1, v4, v1
	v_mul_f32_e32 v0, 0x3f4c422a, v0
	s_delay_alu instid0(VALU_DEP_1) | instskip(NEXT) | instid1(VALU_DEP_1)
	v_div_scale_f32 v3, null, v1, v1, v0
	v_rcp_f32_e32 v4, v3
	v_nop
	s_delay_alu instid0(TRANS32_DEP_1) | instskip(NEXT) | instid1(VALU_DEP_1)
	v_fma_f32 v5, -v3, v4, 1.0
	v_fmac_f32_e32 v4, v5, v4
	v_div_scale_f32 v5, vcc_lo, v0, v1, v0
	s_delay_alu instid0(VALU_DEP_1) | instskip(NEXT) | instid1(VALU_DEP_1)
	v_mul_f32_e32 v6, v5, v4
	v_fma_f32 v7, -v3, v6, v5
	s_delay_alu instid0(VALU_DEP_1) | instskip(NEXT) | instid1(VALU_DEP_1)
	v_fmac_f32_e32 v6, v7, v4
	v_fma_f32 v3, -v3, v6, v5
	s_delay_alu instid0(VALU_DEP_1) | instskip(NEXT) | instid1(VALU_DEP_1)
	v_div_fmas_f32 v3, v3, v4, v6
	v_div_fixup_f32 v0, v3, v1, v0
.LBB22_1043:
	s_or_b32 exec_lo, exec_lo, s7
	v_mov_b32_e32 v3, 0
	s_and_b32 s1, s34, 0xff
	s_delay_alu instid0(SALU_CYCLE_1) | instskip(NEXT) | instid1(VALU_DEP_1)
	s_cmp_lt_i32 s1, 11
	v_add_nc_u64_e32 v[4:5], s[4:5], v[2:3]
	s_cbranch_scc1 .LBB22_1050
; %bb.1044:
	s_and_b32 s2, 0xffff, s1
	s_mov_b32 s4, -1
	s_cmp_gt_i32 s2, 25
	s_mov_b32 s0, s39
	s_cbranch_scc0 .LBB22_1078
; %bb.1045:
	s_cmp_gt_i32 s2, 28
	s_mov_b32 s0, s39
	s_cbranch_scc0 .LBB22_1062
; %bb.1046:
	;; [unrolled: 4-line block ×4, first 2 shown]
	s_cmp_eq_u32 s2, 46
	s_mov_b32 s0, -1
	s_cbranch_scc0 .LBB22_1051
; %bb.1049:
	v_bfe_u32 v1, v0, 16, 1
	v_cmp_o_f32_e32 vcc_lo, v0, v0
	s_mov_b32 s0, 0
	s_mov_b32 s4, 0
	s_delay_alu instid0(VALU_DEP_2) | instskip(NEXT) | instid1(VALU_DEP_1)
	v_add3_u32 v1, v0, v1, 0x7fff
	v_lshrrev_b32_e32 v1, 16, v1
	s_delay_alu instid0(VALU_DEP_1)
	v_cndmask_b32_e32 v1, 0x7fc0, v1, vcc_lo
	global_store_b32 v[4:5], v1, off
	s_branch .LBB22_1052
.LBB22_1050:
	s_mov_b32 s5, 0
	s_mov_b32 s4, -1
	s_mov_b32 s0, s39
	s_branch .LBB22_1119
.LBB22_1051:
	s_mov_b32 s4, 0
.LBB22_1052:
	s_delay_alu instid0(SALU_CYCLE_1)
	s_and_b32 vcc_lo, exec_lo, s4
	s_cbranch_vccz .LBB22_1057
; %bb.1053:
	s_cmp_eq_u32 s2, 44
	s_mov_b32 s0, -1
	s_cbranch_scc0 .LBB22_1057
; %bb.1054:
	v_bfe_u32 v2, v0, 23, 8
	s_wait_xcnt 0x0
	v_mov_b32_e32 v1, 0xff
	s_mov_b32 s4, exec_lo
	s_delay_alu instid0(VALU_DEP_2)
	v_cmpx_ne_u32_e32 0xff, v2
	s_cbranch_execz .LBB22_1056
; %bb.1055:
	v_and_b32_e32 v1, 0x400000, v0
	v_and_or_b32 v2, 0x3fffff, v0, v2
	s_delay_alu instid0(VALU_DEP_2) | instskip(NEXT) | instid1(VALU_DEP_2)
	v_cmp_ne_u32_e32 vcc_lo, 0, v1
	v_cmp_ne_u32_e64 s0, 0, v2
	v_lshrrev_b32_e32 v1, 23, v0
	s_and_b32 s0, vcc_lo, s0
	s_delay_alu instid0(SALU_CYCLE_1) | instskip(NEXT) | instid1(VALU_DEP_1)
	v_cndmask_b32_e64 v2, 0, 1, s0
	v_add_nc_u32_e32 v1, v1, v2
.LBB22_1056:
	s_or_b32 exec_lo, exec_lo, s4
	s_mov_b32 s0, 0
	global_store_b8 v[4:5], v1, off
.LBB22_1057:
	s_mov_b32 s4, 0
.LBB22_1058:
	s_delay_alu instid0(SALU_CYCLE_1)
	s_and_b32 vcc_lo, exec_lo, s4
	s_cbranch_vccz .LBB22_1061
; %bb.1059:
	s_cmp_eq_u32 s2, 29
	s_mov_b32 s0, -1
	s_cbranch_scc0 .LBB22_1061
; %bb.1060:
	s_wait_xcnt 0x0
	v_trunc_f32_e32 v1, v0
	s_mov_b32 s0, 0
	s_mov_b32 s4, 0
	s_delay_alu instid0(VALU_DEP_1) | instskip(NEXT) | instid1(VALU_DEP_1)
	v_mul_f32_e32 v2, 0x2f800000, v1
	v_floor_f32_e32 v2, v2
	s_delay_alu instid0(VALU_DEP_1) | instskip(SKIP_1) | instid1(VALU_DEP_2)
	v_fmamk_f32 v1, v2, 0xcf800000, v1
	v_cvt_u32_f32_e32 v3, v2
	v_cvt_u32_f32_e32 v2, v1
	global_store_b64 v[4:5], v[2:3], off
	s_branch .LBB22_1062
.LBB22_1061:
	s_mov_b32 s4, 0
.LBB22_1062:
	s_delay_alu instid0(SALU_CYCLE_1)
	s_and_b32 vcc_lo, exec_lo, s4
	s_cbranch_vccz .LBB22_1077
; %bb.1063:
	s_cmp_lt_i32 s2, 27
	s_mov_b32 s4, -1
	s_cbranch_scc1 .LBB22_1069
; %bb.1064:
	s_cmp_gt_i32 s2, 27
	s_cbranch_scc0 .LBB22_1066
; %bb.1065:
	s_wait_xcnt 0x0
	v_cvt_u32_f32_e32 v1, v0
	s_mov_b32 s4, 0
	global_store_b32 v[4:5], v1, off
.LBB22_1066:
	s_and_not1_b32 vcc_lo, exec_lo, s4
	s_cbranch_vccnz .LBB22_1068
; %bb.1067:
	s_wait_xcnt 0x0
	v_cvt_u32_f32_e32 v1, v0
	global_store_b16 v[4:5], v1, off
.LBB22_1068:
	s_mov_b32 s4, 0
.LBB22_1069:
	s_delay_alu instid0(SALU_CYCLE_1)
	s_and_not1_b32 vcc_lo, exec_lo, s4
	s_cbranch_vccnz .LBB22_1077
; %bb.1070:
	s_wait_xcnt 0x0
	v_and_b32_e32 v1, 0x7fffffff, v0
	v_mov_b32_e32 v2, 0x80
	s_mov_b32 s4, exec_lo
	s_delay_alu instid0(VALU_DEP_2)
	v_cmpx_gt_u32_e32 0x43800000, v1
	s_cbranch_execz .LBB22_1076
; %bb.1071:
	v_cmp_lt_u32_e32 vcc_lo, 0x3bffffff, v1
	s_mov_b32 s5, 0
                                        ; implicit-def: $vgpr1
	s_and_saveexec_b32 s7, vcc_lo
	s_delay_alu instid0(SALU_CYCLE_1)
	s_xor_b32 s7, exec_lo, s7
	s_cbranch_execz .LBB22_1234
; %bb.1072:
	v_bfe_u32 v1, v0, 20, 1
	s_mov_b32 s5, exec_lo
	s_delay_alu instid0(VALU_DEP_1) | instskip(NEXT) | instid1(VALU_DEP_1)
	v_add3_u32 v1, v0, v1, 0x487ffff
	v_lshrrev_b32_e32 v1, 20, v1
	s_and_not1_saveexec_b32 s7, s7
	s_cbranch_execnz .LBB22_1235
.LBB22_1073:
	s_or_b32 exec_lo, exec_lo, s7
	v_mov_b32_e32 v2, 0
	s_and_saveexec_b32 s7, s5
.LBB22_1074:
	v_lshrrev_b32_e32 v2, 24, v0
	s_delay_alu instid0(VALU_DEP_1)
	v_and_or_b32 v2, 0x80, v2, v1
.LBB22_1075:
	s_or_b32 exec_lo, exec_lo, s7
.LBB22_1076:
	s_delay_alu instid0(SALU_CYCLE_1)
	s_or_b32 exec_lo, exec_lo, s4
	global_store_b8 v[4:5], v2, off
.LBB22_1077:
	s_mov_b32 s4, 0
.LBB22_1078:
	s_delay_alu instid0(SALU_CYCLE_1)
	s_and_b32 vcc_lo, exec_lo, s4
	s_mov_b32 s4, 0
	s_cbranch_vccz .LBB22_1118
; %bb.1079:
	s_cmp_gt_i32 s2, 22
	s_mov_b32 s5, -1
	s_cbranch_scc0 .LBB22_1111
; %bb.1080:
	s_cmp_lt_i32 s2, 24
	s_cbranch_scc1 .LBB22_1100
; %bb.1081:
	s_cmp_gt_i32 s2, 24
	s_cbranch_scc0 .LBB22_1089
; %bb.1082:
	s_wait_xcnt 0x0
	v_and_b32_e32 v1, 0x7fffffff, v0
	v_mov_b32_e32 v2, 0x80
	s_mov_b32 s5, exec_lo
	s_delay_alu instid0(VALU_DEP_2)
	v_cmpx_gt_u32_e32 0x47800000, v1
	s_cbranch_execz .LBB22_1088
; %bb.1083:
	v_cmp_lt_u32_e32 vcc_lo, 0x37ffffff, v1
	s_mov_b32 s7, 0
                                        ; implicit-def: $vgpr1
	s_and_saveexec_b32 s8, vcc_lo
	s_delay_alu instid0(SALU_CYCLE_1)
	s_xor_b32 s8, exec_lo, s8
	s_cbranch_execz .LBB22_1376
; %bb.1084:
	v_bfe_u32 v1, v0, 21, 1
	s_mov_b32 s7, exec_lo
	s_delay_alu instid0(VALU_DEP_1) | instskip(NEXT) | instid1(VALU_DEP_1)
	v_add3_u32 v1, v0, v1, 0x88fffff
	v_lshrrev_b32_e32 v1, 21, v1
	s_and_not1_saveexec_b32 s8, s8
	s_cbranch_execnz .LBB22_1377
.LBB22_1085:
	s_or_b32 exec_lo, exec_lo, s8
	v_mov_b32_e32 v2, 0
	s_and_saveexec_b32 s8, s7
.LBB22_1086:
	v_lshrrev_b32_e32 v2, 24, v0
	s_delay_alu instid0(VALU_DEP_1)
	v_and_or_b32 v2, 0x80, v2, v1
.LBB22_1087:
	s_or_b32 exec_lo, exec_lo, s8
.LBB22_1088:
	s_delay_alu instid0(SALU_CYCLE_1)
	s_or_b32 exec_lo, exec_lo, s5
	s_mov_b32 s5, 0
	global_store_b8 v[4:5], v2, off
.LBB22_1089:
	s_and_b32 vcc_lo, exec_lo, s5
	s_cbranch_vccz .LBB22_1099
; %bb.1090:
	s_wait_xcnt 0x0
	v_and_b32_e32 v2, 0x7fffffff, v0
	s_mov_b32 s5, exec_lo
                                        ; implicit-def: $vgpr1
	s_delay_alu instid0(VALU_DEP_1)
	v_cmpx_gt_u32_e32 0x43f00000, v2
	s_xor_b32 s5, exec_lo, s5
	s_cbranch_execz .LBB22_1096
; %bb.1091:
	s_mov_b32 s7, exec_lo
                                        ; implicit-def: $vgpr1
	v_cmpx_lt_u32_e32 0x3c7fffff, v2
	s_xor_b32 s7, exec_lo, s7
; %bb.1092:
	v_bfe_u32 v1, v0, 20, 1
	s_delay_alu instid0(VALU_DEP_1) | instskip(NEXT) | instid1(VALU_DEP_1)
	v_add3_u32 v1, v0, v1, 0x407ffff
	v_and_b32_e32 v2, 0xff00000, v1
	v_lshrrev_b32_e32 v1, 20, v1
	s_delay_alu instid0(VALU_DEP_2) | instskip(NEXT) | instid1(VALU_DEP_2)
	v_cmp_ne_u32_e32 vcc_lo, 0x7f00000, v2
	v_cndmask_b32_e32 v1, 0x7e, v1, vcc_lo
; %bb.1093:
	s_and_not1_saveexec_b32 s7, s7
; %bb.1094:
	v_add_f32_e64 v1, 0x46800000, |v0|
; %bb.1095:
	s_or_b32 exec_lo, exec_lo, s7
                                        ; implicit-def: $vgpr2
.LBB22_1096:
	s_and_not1_saveexec_b32 s5, s5
; %bb.1097:
	v_mov_b32_e32 v1, 0x7f
	v_cmp_lt_u32_e32 vcc_lo, 0x7f800000, v2
	s_delay_alu instid0(VALU_DEP_2)
	v_cndmask_b32_e32 v1, 0x7e, v1, vcc_lo
; %bb.1098:
	s_or_b32 exec_lo, exec_lo, s5
	v_lshrrev_b32_e32 v2, 24, v0
	s_delay_alu instid0(VALU_DEP_1)
	v_and_or_b32 v1, 0x80, v2, v1
	global_store_b8 v[4:5], v1, off
.LBB22_1099:
	s_mov_b32 s5, 0
.LBB22_1100:
	s_delay_alu instid0(SALU_CYCLE_1)
	s_and_not1_b32 vcc_lo, exec_lo, s5
	s_cbranch_vccnz .LBB22_1110
; %bb.1101:
	s_wait_xcnt 0x0
	v_and_b32_e32 v2, 0x7fffffff, v0
	s_mov_b32 s5, exec_lo
                                        ; implicit-def: $vgpr1
	s_delay_alu instid0(VALU_DEP_1)
	v_cmpx_gt_u32_e32 0x47800000, v2
	s_xor_b32 s5, exec_lo, s5
	s_cbranch_execz .LBB22_1107
; %bb.1102:
	s_mov_b32 s7, exec_lo
                                        ; implicit-def: $vgpr1
	v_cmpx_lt_u32_e32 0x387fffff, v2
	s_xor_b32 s7, exec_lo, s7
; %bb.1103:
	v_bfe_u32 v1, v0, 21, 1
	s_delay_alu instid0(VALU_DEP_1) | instskip(NEXT) | instid1(VALU_DEP_1)
	v_add3_u32 v1, v0, v1, 0x80fffff
	v_lshrrev_b32_e32 v1, 21, v1
; %bb.1104:
	s_and_not1_saveexec_b32 s7, s7
; %bb.1105:
	v_add_f32_e64 v1, 0x43000000, |v0|
; %bb.1106:
	s_or_b32 exec_lo, exec_lo, s7
                                        ; implicit-def: $vgpr2
.LBB22_1107:
	s_and_not1_saveexec_b32 s5, s5
; %bb.1108:
	v_mov_b32_e32 v1, 0x7f
	v_cmp_lt_u32_e32 vcc_lo, 0x7f800000, v2
	s_delay_alu instid0(VALU_DEP_2)
	v_cndmask_b32_e32 v1, 0x7c, v1, vcc_lo
; %bb.1109:
	s_or_b32 exec_lo, exec_lo, s5
	v_lshrrev_b32_e32 v2, 24, v0
	s_delay_alu instid0(VALU_DEP_1)
	v_and_or_b32 v1, 0x80, v2, v1
	global_store_b8 v[4:5], v1, off
.LBB22_1110:
	s_mov_b32 s5, 0
.LBB22_1111:
	s_delay_alu instid0(SALU_CYCLE_1)
	s_and_not1_b32 vcc_lo, exec_lo, s5
	s_mov_b32 s5, 0
	s_cbranch_vccnz .LBB22_1119
; %bb.1112:
	s_cmp_gt_i32 s2, 14
	s_mov_b32 s5, -1
	s_cbranch_scc0 .LBB22_1116
; %bb.1113:
	s_cmp_eq_u32 s2, 15
	s_mov_b32 s0, -1
	s_cbranch_scc0 .LBB22_1115
; %bb.1114:
	s_wait_xcnt 0x0
	v_bfe_u32 v1, v0, 16, 1
	v_cmp_o_f32_e32 vcc_lo, v0, v0
	s_mov_b32 s0, 0
	s_delay_alu instid0(VALU_DEP_2) | instskip(NEXT) | instid1(VALU_DEP_1)
	v_add3_u32 v1, v0, v1, 0x7fff
	v_lshrrev_b32_e32 v1, 16, v1
	s_delay_alu instid0(VALU_DEP_1)
	v_cndmask_b32_e32 v1, 0x7fc0, v1, vcc_lo
	global_store_b16 v[4:5], v1, off
.LBB22_1115:
	s_mov_b32 s5, 0
.LBB22_1116:
	s_delay_alu instid0(SALU_CYCLE_1)
	s_and_b32 vcc_lo, exec_lo, s5
	s_mov_b32 s5, 0
	s_cbranch_vccz .LBB22_1119
; %bb.1117:
	s_cmp_lg_u32 s2, 11
	s_mov_b32 s5, -1
	s_cselect_b32 s2, -1, 0
	s_and_not1_b32 s0, s0, exec_lo
	s_and_b32 s2, s2, exec_lo
	s_delay_alu instid0(SALU_CYCLE_1)
	s_or_b32 s0, s0, s2
	s_branch .LBB22_1119
.LBB22_1118:
	s_mov_b32 s5, 0
.LBB22_1119:
	s_and_b32 s2, s4, exec_lo
	s_and_not1_b32 s4, s39, exec_lo
	s_and_b32 s0, s0, exec_lo
	s_and_b32 s7, s5, exec_lo
	s_or_b32 s39, s4, s0
	s_wait_xcnt 0x0
	s_or_b32 exec_lo, exec_lo, s6
	s_and_saveexec_b32 s0, s39
	s_cbranch_execz .LBB22_1034
.LBB22_1120:
	s_or_b32 s3, s3, exec_lo
	s_and_not1_b32 s7, s7, exec_lo
	s_trap 2
	s_or_b32 exec_lo, exec_lo, s0
	s_and_saveexec_b32 s0, s7
	s_delay_alu instid0(SALU_CYCLE_1)
	s_xor_b32 s0, exec_lo, s0
	s_cbranch_execnz .LBB22_1035
.LBB22_1121:
	s_or_b32 exec_lo, exec_lo, s0
	s_and_saveexec_b32 s0, s2
	s_delay_alu instid0(SALU_CYCLE_1)
	s_xor_b32 s0, exec_lo, s0
	s_cbranch_execz .LBB22_1159
.LBB22_1122:
	s_sext_i32_i16 s4, s1
	s_mov_b32 s2, -1
	s_cmp_lt_i32 s4, 5
	s_cbranch_scc1 .LBB22_1143
; %bb.1123:
	s_cmp_lt_i32 s4, 8
	s_cbranch_scc1 .LBB22_1133
; %bb.1124:
	;; [unrolled: 3-line block ×3, first 2 shown]
	s_cmp_gt_i32 s4, 9
	s_cbranch_scc0 .LBB22_1127
; %bb.1126:
	v_cvt_f64_f32_e32 v[6:7], v0
	v_mov_b32_e32 v8, 0
	s_mov_b32 s2, 0
	s_delay_alu instid0(VALU_DEP_1)
	v_mov_b32_e32 v9, v8
	global_store_b128 v[4:5], v[6:9], off
.LBB22_1127:
	s_and_not1_b32 vcc_lo, exec_lo, s2
	s_cbranch_vccnz .LBB22_1129
; %bb.1128:
	s_wait_loadcnt 0x0
	v_mov_b32_e32 v1, 0
	global_store_b64 v[4:5], v[0:1], off
.LBB22_1129:
	s_mov_b32 s2, 0
.LBB22_1130:
	s_delay_alu instid0(SALU_CYCLE_1)
	s_and_not1_b32 vcc_lo, exec_lo, s2
	s_cbranch_vccnz .LBB22_1132
; %bb.1131:
	s_wait_loadcnt 0x0
	v_cvt_f16_f32_e32 v1, v0
	s_delay_alu instid0(VALU_DEP_1)
	v_and_b32_e32 v1, 0xffff, v1
	global_store_b32 v[4:5], v1, off
.LBB22_1132:
	s_mov_b32 s2, 0
.LBB22_1133:
	s_delay_alu instid0(SALU_CYCLE_1)
	s_and_not1_b32 vcc_lo, exec_lo, s2
	s_cbranch_vccnz .LBB22_1142
; %bb.1134:
	s_sext_i32_i16 s4, s1
	s_mov_b32 s2, -1
	s_cmp_lt_i32 s4, 6
	s_cbranch_scc1 .LBB22_1140
; %bb.1135:
	s_cmp_gt_i32 s4, 6
	s_cbranch_scc0 .LBB22_1137
; %bb.1136:
	v_cvt_f64_f32_e32 v[2:3], v0
	s_mov_b32 s2, 0
	global_store_b64 v[4:5], v[2:3], off
.LBB22_1137:
	s_and_not1_b32 vcc_lo, exec_lo, s2
	s_cbranch_vccnz .LBB22_1139
; %bb.1138:
	global_store_b32 v[4:5], v0, off
.LBB22_1139:
	s_mov_b32 s2, 0
.LBB22_1140:
	s_delay_alu instid0(SALU_CYCLE_1)
	s_and_not1_b32 vcc_lo, exec_lo, s2
	s_cbranch_vccnz .LBB22_1142
; %bb.1141:
	s_wait_loadcnt 0x0
	v_cvt_f16_f32_e32 v1, v0
	global_store_b16 v[4:5], v1, off
.LBB22_1142:
	s_mov_b32 s2, 0
.LBB22_1143:
	s_delay_alu instid0(SALU_CYCLE_1)
	s_and_not1_b32 vcc_lo, exec_lo, s2
	s_cbranch_vccnz .LBB22_1159
; %bb.1144:
	s_sext_i32_i16 s4, s1
	s_mov_b32 s2, -1
	s_cmp_lt_i32 s4, 2
	s_cbranch_scc1 .LBB22_1154
; %bb.1145:
	s_cmp_lt_i32 s4, 3
	s_cbranch_scc1 .LBB22_1151
; %bb.1146:
	s_cmp_gt_i32 s4, 3
	s_cbranch_scc0 .LBB22_1148
; %bb.1147:
	s_wait_loadcnt 0x0
	v_trunc_f32_e32 v1, v0
	s_mov_b32 s2, 0
	s_delay_alu instid0(VALU_DEP_1) | instskip(NEXT) | instid1(VALU_DEP_1)
	v_mul_f32_e64 v2, 0x2f800000, |v1|
	v_floor_f32_e32 v3, v2
	v_ashrrev_i32_e32 v2, 31, v1
	s_delay_alu instid0(VALU_DEP_2) | instskip(SKIP_1) | instid1(VALU_DEP_3)
	v_fma_f32 v6, 0xcf800000, v3, |v1|
	v_cvt_u32_f32_e32 v1, v3
	v_mov_b32_e32 v3, v2
	s_delay_alu instid0(VALU_DEP_3) | instskip(NEXT) | instid1(VALU_DEP_3)
	v_cvt_u32_f32_e32 v6, v6
	v_xor_b32_e32 v7, v1, v2
	s_delay_alu instid0(VALU_DEP_2) | instskip(NEXT) | instid1(VALU_DEP_1)
	v_xor_b32_e32 v6, v6, v2
	v_sub_nc_u64_e32 v[2:3], v[6:7], v[2:3]
	global_store_b64 v[4:5], v[2:3], off
.LBB22_1148:
	s_and_not1_b32 vcc_lo, exec_lo, s2
	s_cbranch_vccnz .LBB22_1150
; %bb.1149:
	s_wait_loadcnt 0x0
	v_cvt_i32_f32_e32 v1, v0
	global_store_b32 v[4:5], v1, off
.LBB22_1150:
	s_mov_b32 s2, 0
.LBB22_1151:
	s_delay_alu instid0(SALU_CYCLE_1)
	s_and_not1_b32 vcc_lo, exec_lo, s2
	s_cbranch_vccnz .LBB22_1153
; %bb.1152:
	s_wait_loadcnt 0x0
	v_cvt_i32_f32_e32 v1, v0
	global_store_b16 v[4:5], v1, off
.LBB22_1153:
	s_mov_b32 s2, 0
.LBB22_1154:
	s_delay_alu instid0(SALU_CYCLE_1)
	s_and_not1_b32 vcc_lo, exec_lo, s2
	s_cbranch_vccnz .LBB22_1159
; %bb.1155:
	s_sext_i32_i16 s1, s1
	s_delay_alu instid0(SALU_CYCLE_1)
	s_cmp_gt_i32 s1, 0
	s_mov_b32 s1, -1
	s_cbranch_scc0 .LBB22_1157
; %bb.1156:
	s_wait_loadcnt 0x0
	v_cvt_i32_f32_e32 v1, v0
	s_mov_b32 s1, 0
	global_store_b8 v[4:5], v1, off
.LBB22_1157:
	s_and_not1_b32 vcc_lo, exec_lo, s1
	s_cbranch_vccnz .LBB22_1159
; %bb.1158:
	s_wait_xcnt 0x0
	v_trunc_f32_e32 v0, v0
	s_wait_loadcnt 0x0
	s_delay_alu instid0(VALU_DEP_1) | instskip(NEXT) | instid1(VALU_DEP_1)
	v_mul_f32_e64 v1, 0x2f800000, |v0|
	v_floor_f32_e32 v1, v1
	s_delay_alu instid0(VALU_DEP_1) | instskip(SKIP_1) | instid1(VALU_DEP_2)
	v_fma_f32 v1, 0xcf800000, v1, |v0|
	v_ashrrev_i32_e32 v0, 31, v0
	v_cvt_u32_f32_e32 v1, v1
	s_delay_alu instid0(VALU_DEP_1) | instskip(NEXT) | instid1(VALU_DEP_1)
	v_xor_b32_e32 v1, v1, v0
	v_sub_nc_u32_e32 v0, v1, v0
	global_store_b8 v[4:5], v0, off
.LBB22_1159:
	s_wait_xcnt 0x0
	s_or_b32 exec_lo, exec_lo, s0
	s_delay_alu instid0(SALU_CYCLE_1)
	s_and_b32 s8, s3, exec_lo
                                        ; implicit-def: $vgpr9
                                        ; implicit-def: $vgpr0
.LBB22_1160:
	s_or_saveexec_b32 s9, s33
	s_mov_b32 s0, 0
                                        ; implicit-def: $vgpr2_vgpr3
                                        ; implicit-def: $sgpr1
                                        ; implicit-def: $vgpr12
	s_xor_b32 exec_lo, exec_lo, s9
	s_cbranch_execz .LBB22_1796
; %bb.1161:
	s_wait_loadcnt 0x0
	v_cndmask_b32_e64 v1, 0, 1, s31
	s_and_not1_b32 vcc_lo, exec_lo, s31
	s_cbranch_vccnz .LBB22_1167
; %bb.1162:
	s_cmp_lg_u32 s28, 0
	s_mov_b32 s6, 0
	s_cbranch_scc0 .LBB22_1168
; %bb.1163:
	s_min_u32 s1, s29, 15
	s_delay_alu instid0(SALU_CYCLE_1)
	s_add_co_i32 s1, s1, 1
	s_cmp_eq_u32 s29, 2
	s_cbranch_scc1 .LBB22_1169
; %bb.1164:
	v_dual_mov_b32 v6, 0 :: v_dual_mov_b32 v8, 0
	v_mov_b32_e32 v2, v0
	s_and_b32 s0, s1, 28
	s_add_nc_u64 s[2:3], s[16:17], 0xc4
	s_mov_b32 s7, 0
	s_mov_b64 s[4:5], s[16:17]
.LBB22_1165:                            ; =>This Inner Loop Header: Depth=1
	s_clause 0x1
	s_load_b256 s[20:27], s[4:5], 0x4
	s_load_b128 s[12:15], s[4:5], 0x24
	s_load_b256 s[36:43], s[2:3], 0x0
	s_add_co_i32 s7, s7, 4
	s_wait_xcnt 0x0
	s_add_nc_u64 s[4:5], s[4:5], 48
	s_cmp_lg_u32 s0, s7
	s_add_nc_u64 s[2:3], s[2:3], 32
	s_wait_kmcnt 0x0
	v_mul_hi_u32 v3, s21, v2
	s_delay_alu instid0(VALU_DEP_1) | instskip(NEXT) | instid1(VALU_DEP_1)
	v_add_nc_u32_e32 v3, v2, v3
	v_lshrrev_b32_e32 v3, s22, v3
	s_delay_alu instid0(VALU_DEP_1) | instskip(NEXT) | instid1(VALU_DEP_1)
	v_mul_hi_u32 v4, s24, v3
	v_add_nc_u32_e32 v4, v3, v4
	s_delay_alu instid0(VALU_DEP_1) | instskip(NEXT) | instid1(VALU_DEP_1)
	v_lshrrev_b32_e32 v4, s25, v4
	v_mul_hi_u32 v5, s27, v4
	s_delay_alu instid0(VALU_DEP_1) | instskip(SKIP_1) | instid1(VALU_DEP_1)
	v_add_nc_u32_e32 v5, v4, v5
	v_mul_lo_u32 v7, v3, s20
	v_sub_nc_u32_e32 v2, v2, v7
	v_mul_lo_u32 v7, v4, s23
	s_delay_alu instid0(VALU_DEP_4) | instskip(NEXT) | instid1(VALU_DEP_3)
	v_lshrrev_b32_e32 v5, s12, v5
	v_mad_u32 v8, v2, s37, v8
	v_mad_u32 v2, v2, s36, v6
	s_delay_alu instid0(VALU_DEP_4) | instskip(NEXT) | instid1(VALU_DEP_4)
	v_sub_nc_u32_e32 v3, v3, v7
	v_mul_hi_u32 v10, s14, v5
	v_mul_lo_u32 v6, v5, s26
	s_delay_alu instid0(VALU_DEP_3) | instskip(SKIP_1) | instid1(VALU_DEP_4)
	v_mad_u32 v8, v3, s39, v8
	v_mad_u32 v3, v3, s38, v2
	v_add_nc_u32_e32 v7, v5, v10
	s_delay_alu instid0(VALU_DEP_1) | instskip(NEXT) | instid1(VALU_DEP_1)
	v_dual_sub_nc_u32 v4, v4, v6 :: v_dual_lshrrev_b32 v2, s15, v7
	v_mad_u32 v7, v4, s41, v8
	s_delay_alu instid0(VALU_DEP_4) | instskip(NEXT) | instid1(VALU_DEP_3)
	v_mad_u32 v3, v4, s40, v3
	v_mul_lo_u32 v6, v2, s13
	s_delay_alu instid0(VALU_DEP_1) | instskip(NEXT) | instid1(VALU_DEP_1)
	v_sub_nc_u32_e32 v4, v5, v6
	v_mad_u32 v8, v4, s43, v7
	s_delay_alu instid0(VALU_DEP_4)
	v_mad_u32 v6, v4, s42, v3
	s_cbranch_scc1 .LBB22_1165
; %bb.1166:
	s_delay_alu instid0(VALU_DEP_2)
	v_mov_b32_e32 v7, v8
	s_and_b32 s4, s1, 3
	s_mov_b32 s1, 0
	s_cmp_eq_u32 s4, 0
	s_cbranch_scc0 .LBB22_1170
	s_branch .LBB22_1173
.LBB22_1167:
	s_mov_b32 s6, -1
                                        ; implicit-def: $vgpr8
                                        ; implicit-def: $vgpr6
	s_branch .LBB22_1173
.LBB22_1168:
	v_dual_mov_b32 v8, 0 :: v_dual_mov_b32 v6, 0
	s_branch .LBB22_1173
.LBB22_1169:
	v_mov_b64_e32 v[6:7], 0
	v_mov_b32_e32 v2, v0
                                        ; implicit-def: $vgpr8
	s_and_b32 s4, s1, 3
	s_mov_b32 s1, 0
	s_cmp_eq_u32 s4, 0
	s_cbranch_scc1 .LBB22_1173
.LBB22_1170:
	s_lshl_b32 s2, s0, 3
	s_mov_b32 s3, s1
	s_mul_u64 s[10:11], s[0:1], 12
	s_add_nc_u64 s[2:3], s[16:17], s[2:3]
	s_delay_alu instid0(SALU_CYCLE_1)
	s_add_nc_u64 s[0:1], s[2:3], 0xc4
	s_add_nc_u64 s[2:3], s[16:17], s[10:11]
.LBB22_1171:                            ; =>This Inner Loop Header: Depth=1
	s_load_b96 s[12:14], s[2:3], 0x4
	s_load_b64 s[10:11], s[0:1], 0x0
	s_add_co_i32 s4, s4, -1
	s_wait_xcnt 0x0
	s_add_nc_u64 s[2:3], s[2:3], 12
	s_cmp_lg_u32 s4, 0
	s_add_nc_u64 s[0:1], s[0:1], 8
	s_wait_kmcnt 0x0
	v_mul_hi_u32 v3, s13, v2
	s_delay_alu instid0(VALU_DEP_1) | instskip(NEXT) | instid1(VALU_DEP_1)
	v_add_nc_u32_e32 v3, v2, v3
	v_lshrrev_b32_e32 v3, s14, v3
	s_delay_alu instid0(VALU_DEP_1) | instskip(NEXT) | instid1(VALU_DEP_1)
	v_mul_lo_u32 v4, v3, s12
	v_sub_nc_u32_e32 v2, v2, v4
	s_delay_alu instid0(VALU_DEP_1)
	v_mad_u32 v7, v2, s11, v7
	v_mad_u32 v6, v2, s10, v6
	v_mov_b32_e32 v2, v3
	s_cbranch_scc1 .LBB22_1171
; %bb.1172:
	s_delay_alu instid0(VALU_DEP_3)
	v_mov_b32_e32 v8, v7
.LBB22_1173:
	s_and_not1_b32 vcc_lo, exec_lo, s6
	s_cbranch_vccnz .LBB22_1176
; %bb.1174:
	s_clause 0x1
	s_load_b96 s[0:2], s[16:17], 0x4
	s_load_b64 s[4:5], s[16:17], 0xc4
	s_cmp_lt_u32 s28, 2
	s_wait_kmcnt 0x0
	v_mul_hi_u32 v2, s1, v0
	s_delay_alu instid0(VALU_DEP_1) | instskip(NEXT) | instid1(VALU_DEP_1)
	v_add_nc_u32_e32 v2, v0, v2
	v_lshrrev_b32_e32 v2, s2, v2
	s_delay_alu instid0(VALU_DEP_1) | instskip(NEXT) | instid1(VALU_DEP_1)
	v_mul_lo_u32 v3, v2, s0
	v_sub_nc_u32_e32 v3, v0, v3
	s_delay_alu instid0(VALU_DEP_1)
	v_mul_lo_u32 v8, v3, s5
	v_mul_lo_u32 v6, v3, s4
	s_cbranch_scc1 .LBB22_1176
; %bb.1175:
	s_clause 0x1
	s_load_b96 s[0:2], s[16:17], 0x10
	s_load_b64 s[4:5], s[16:17], 0xcc
	s_wait_kmcnt 0x0
	v_mul_hi_u32 v3, s1, v2
	s_delay_alu instid0(VALU_DEP_1) | instskip(NEXT) | instid1(VALU_DEP_1)
	v_add_nc_u32_e32 v3, v2, v3
	v_lshrrev_b32_e32 v3, s2, v3
	s_delay_alu instid0(VALU_DEP_1) | instskip(NEXT) | instid1(VALU_DEP_1)
	v_mul_lo_u32 v3, v3, s0
	v_sub_nc_u32_e32 v2, v2, v3
	s_delay_alu instid0(VALU_DEP_1)
	v_mad_u32 v6, v2, s4, v6
	v_mad_u32 v8, v2, s5, v8
.LBB22_1176:
	v_cmp_ne_u32_e32 vcc_lo, 1, v1
	v_add_nc_u32_e32 v2, 0x80, v0
	s_cbranch_vccnz .LBB22_1182
; %bb.1177:
	s_cmp_lg_u32 s28, 0
	s_mov_b32 s6, 0
	s_cbranch_scc0 .LBB22_1183
; %bb.1178:
	s_min_u32 s1, s29, 15
	s_delay_alu instid0(SALU_CYCLE_1)
	s_add_co_i32 s1, s1, 1
	s_cmp_eq_u32 s29, 2
	s_cbranch_scc1 .LBB22_1184
; %bb.1179:
	v_dual_mov_b32 v4, 0 :: v_dual_mov_b32 v10, 0
	v_mov_b32_e32 v3, v2
	s_and_b32 s0, s1, 28
	s_add_nc_u64 s[2:3], s[16:17], 0xc4
	s_mov_b32 s7, 0
	s_mov_b64 s[4:5], s[16:17]
.LBB22_1180:                            ; =>This Inner Loop Header: Depth=1
	s_clause 0x1
	s_load_b256 s[20:27], s[4:5], 0x4
	s_load_b128 s[12:15], s[4:5], 0x24
	s_load_b256 s[36:43], s[2:3], 0x0
	s_add_co_i32 s7, s7, 4
	s_wait_xcnt 0x0
	s_add_nc_u64 s[4:5], s[4:5], 48
	s_cmp_lg_u32 s0, s7
	s_add_nc_u64 s[2:3], s[2:3], 32
	s_wait_kmcnt 0x0
	v_mul_hi_u32 v5, s21, v3
	s_delay_alu instid0(VALU_DEP_1) | instskip(NEXT) | instid1(VALU_DEP_1)
	v_add_nc_u32_e32 v5, v3, v5
	v_lshrrev_b32_e32 v5, s22, v5
	s_delay_alu instid0(VALU_DEP_1) | instskip(NEXT) | instid1(VALU_DEP_1)
	v_mul_hi_u32 v7, s24, v5
	v_add_nc_u32_e32 v7, v5, v7
	s_delay_alu instid0(VALU_DEP_1) | instskip(NEXT) | instid1(VALU_DEP_1)
	v_lshrrev_b32_e32 v7, s25, v7
	v_mul_hi_u32 v11, s27, v7
	s_delay_alu instid0(VALU_DEP_1) | instskip(SKIP_1) | instid1(VALU_DEP_1)
	v_add_nc_u32_e32 v11, v7, v11
	v_mul_lo_u32 v12, v5, s20
	v_sub_nc_u32_e32 v3, v3, v12
	v_mul_lo_u32 v12, v7, s23
	s_delay_alu instid0(VALU_DEP_4) | instskip(NEXT) | instid1(VALU_DEP_3)
	v_lshrrev_b32_e32 v11, s12, v11
	v_mad_u32 v10, v3, s37, v10
	v_mad_u32 v3, v3, s36, v4
	s_delay_alu instid0(VALU_DEP_4) | instskip(NEXT) | instid1(VALU_DEP_4)
	v_sub_nc_u32_e32 v4, v5, v12
	v_mul_hi_u32 v13, s14, v11
	v_mul_lo_u32 v5, v11, s26
	s_delay_alu instid0(VALU_DEP_3) | instskip(SKIP_1) | instid1(VALU_DEP_4)
	v_mad_u32 v10, v4, s39, v10
	v_mad_u32 v4, v4, s38, v3
	v_add_nc_u32_e32 v12, v11, v13
	s_delay_alu instid0(VALU_DEP_1) | instskip(NEXT) | instid1(VALU_DEP_1)
	v_dual_sub_nc_u32 v5, v7, v5 :: v_dual_lshrrev_b32 v3, s15, v12
	v_mad_u32 v10, v5, s41, v10
	s_delay_alu instid0(VALU_DEP_4) | instskip(NEXT) | instid1(VALU_DEP_3)
	v_mad_u32 v4, v5, s40, v4
	v_mul_lo_u32 v7, v3, s13
	s_delay_alu instid0(VALU_DEP_1) | instskip(NEXT) | instid1(VALU_DEP_1)
	v_sub_nc_u32_e32 v5, v11, v7
	v_mad_u32 v10, v5, s43, v10
	s_delay_alu instid0(VALU_DEP_4)
	v_mad_u32 v4, v5, s42, v4
	s_cbranch_scc1 .LBB22_1180
; %bb.1181:
	s_delay_alu instid0(VALU_DEP_2)
	v_mov_b32_e32 v5, v10
	s_and_b32 s4, s1, 3
	s_mov_b32 s1, 0
	s_cmp_eq_u32 s4, 0
	s_cbranch_scc0 .LBB22_1185
	s_branch .LBB22_1188
.LBB22_1182:
	s_mov_b32 s6, -1
                                        ; implicit-def: $vgpr10
                                        ; implicit-def: $vgpr4
	s_branch .LBB22_1188
.LBB22_1183:
	v_dual_mov_b32 v10, 0 :: v_dual_mov_b32 v4, 0
	s_branch .LBB22_1188
.LBB22_1184:
	v_mov_b64_e32 v[4:5], 0
	v_mov_b32_e32 v3, v2
	s_mov_b32 s0, 0
                                        ; implicit-def: $vgpr10
	s_and_b32 s4, s1, 3
	s_mov_b32 s1, 0
	s_cmp_eq_u32 s4, 0
	s_cbranch_scc1 .LBB22_1188
.LBB22_1185:
	s_lshl_b32 s2, s0, 3
	s_mov_b32 s3, s1
	s_mul_u64 s[10:11], s[0:1], 12
	s_add_nc_u64 s[2:3], s[16:17], s[2:3]
	s_delay_alu instid0(SALU_CYCLE_1)
	s_add_nc_u64 s[0:1], s[2:3], 0xc4
	s_add_nc_u64 s[2:3], s[16:17], s[10:11]
.LBB22_1186:                            ; =>This Inner Loop Header: Depth=1
	s_load_b96 s[12:14], s[2:3], 0x4
	s_load_b64 s[10:11], s[0:1], 0x0
	s_add_co_i32 s4, s4, -1
	s_wait_xcnt 0x0
	s_add_nc_u64 s[2:3], s[2:3], 12
	s_cmp_lg_u32 s4, 0
	s_add_nc_u64 s[0:1], s[0:1], 8
	s_wait_kmcnt 0x0
	v_mul_hi_u32 v7, s13, v3
	s_delay_alu instid0(VALU_DEP_1) | instskip(NEXT) | instid1(VALU_DEP_1)
	v_add_nc_u32_e32 v7, v3, v7
	v_lshrrev_b32_e32 v7, s14, v7
	s_delay_alu instid0(VALU_DEP_1) | instskip(NEXT) | instid1(VALU_DEP_1)
	v_mul_lo_u32 v10, v7, s12
	v_sub_nc_u32_e32 v3, v3, v10
	s_delay_alu instid0(VALU_DEP_1)
	v_mad_u32 v5, v3, s11, v5
	v_mad_u32 v4, v3, s10, v4
	v_mov_b32_e32 v3, v7
	s_cbranch_scc1 .LBB22_1186
; %bb.1187:
	s_delay_alu instid0(VALU_DEP_3)
	v_mov_b32_e32 v10, v5
.LBB22_1188:
	s_and_not1_b32 vcc_lo, exec_lo, s6
	s_cbranch_vccnz .LBB22_1191
; %bb.1189:
	s_clause 0x1
	s_load_b96 s[0:2], s[16:17], 0x4
	s_load_b64 s[4:5], s[16:17], 0xc4
	s_cmp_lt_u32 s28, 2
	s_wait_kmcnt 0x0
	v_mul_hi_u32 v3, s1, v2
	s_delay_alu instid0(VALU_DEP_1) | instskip(NEXT) | instid1(VALU_DEP_1)
	v_add_nc_u32_e32 v3, v2, v3
	v_lshrrev_b32_e32 v3, s2, v3
	s_delay_alu instid0(VALU_DEP_1) | instskip(NEXT) | instid1(VALU_DEP_1)
	v_mul_lo_u32 v4, v3, s0
	v_sub_nc_u32_e32 v2, v2, v4
	s_delay_alu instid0(VALU_DEP_1)
	v_mul_lo_u32 v10, v2, s5
	v_mul_lo_u32 v4, v2, s4
	s_cbranch_scc1 .LBB22_1191
; %bb.1190:
	s_clause 0x1
	s_load_b96 s[0:2], s[16:17], 0x10
	s_load_b64 s[4:5], s[16:17], 0xcc
	s_wait_kmcnt 0x0
	v_mul_hi_u32 v2, s1, v3
	s_delay_alu instid0(VALU_DEP_1) | instskip(NEXT) | instid1(VALU_DEP_1)
	v_add_nc_u32_e32 v2, v3, v2
	v_lshrrev_b32_e32 v2, s2, v2
	s_delay_alu instid0(VALU_DEP_1) | instskip(NEXT) | instid1(VALU_DEP_1)
	v_mul_lo_u32 v2, v2, s0
	v_sub_nc_u32_e32 v2, v3, v2
	s_delay_alu instid0(VALU_DEP_1)
	v_mad_u32 v4, v2, s4, v4
	v_mad_u32 v10, v2, s5, v10
.LBB22_1191:
	v_cmp_ne_u32_e32 vcc_lo, 1, v1
	v_add_nc_u32_e32 v0, 0x100, v0
	s_cbranch_vccnz .LBB22_1197
; %bb.1192:
	s_cmp_lg_u32 s28, 0
	s_mov_b32 s6, 0
	s_cbranch_scc0 .LBB22_1198
; %bb.1193:
	s_min_u32 s1, s29, 15
	s_delay_alu instid0(SALU_CYCLE_1)
	s_add_co_i32 s1, s1, 1
	s_cmp_eq_u32 s29, 2
	s_cbranch_scc1 .LBB22_1199
; %bb.1194:
	v_dual_mov_b32 v2, 0 :: v_dual_mov_b32 v14, 0
	v_mov_b32_e32 v5, v0
	s_and_b32 s0, s1, 28
	s_add_nc_u64 s[2:3], s[16:17], 0xc4
	s_mov_b32 s7, 0
	s_mov_b64 s[4:5], s[16:17]
.LBB22_1195:                            ; =>This Inner Loop Header: Depth=1
	s_clause 0x1
	s_load_b256 s[20:27], s[4:5], 0x4
	s_load_b128 s[12:15], s[4:5], 0x24
	s_load_b256 s[36:43], s[2:3], 0x0
	s_add_co_i32 s7, s7, 4
	s_wait_xcnt 0x0
	s_add_nc_u64 s[4:5], s[4:5], 48
	s_cmp_lg_u32 s0, s7
	s_add_nc_u64 s[2:3], s[2:3], 32
	s_wait_kmcnt 0x0
	v_mul_hi_u32 v3, s21, v5
	s_delay_alu instid0(VALU_DEP_1) | instskip(NEXT) | instid1(VALU_DEP_1)
	v_add_nc_u32_e32 v3, v5, v3
	v_lshrrev_b32_e32 v3, s22, v3
	s_delay_alu instid0(VALU_DEP_1) | instskip(SKIP_1) | instid1(VALU_DEP_1)
	v_mul_hi_u32 v7, s24, v3
	v_mul_lo_u32 v12, v3, s20
	v_dual_add_nc_u32 v7, v3, v7 :: v_dual_sub_nc_u32 v5, v5, v12
	s_delay_alu instid0(VALU_DEP_1) | instskip(NEXT) | instid1(VALU_DEP_2)
	v_lshrrev_b32_e32 v7, s25, v7
	v_mad_u32 v14, v5, s37, v14
	v_mad_u32 v2, v5, s36, v2
	s_delay_alu instid0(VALU_DEP_3) | instskip(NEXT) | instid1(VALU_DEP_1)
	v_mul_hi_u32 v11, s27, v7
	v_add_nc_u32_e32 v11, v7, v11
	s_delay_alu instid0(VALU_DEP_1) | instskip(NEXT) | instid1(VALU_DEP_1)
	v_lshrrev_b32_e32 v11, s12, v11
	v_mul_hi_u32 v13, s14, v11
	s_delay_alu instid0(VALU_DEP_1) | instskip(NEXT) | instid1(VALU_DEP_1)
	v_add_nc_u32_e32 v5, v11, v13
	v_lshrrev_b32_e32 v5, s15, v5
	v_mul_lo_u32 v12, v7, s23
	s_delay_alu instid0(VALU_DEP_1) | instskip(SKIP_1) | instid1(VALU_DEP_2)
	v_sub_nc_u32_e32 v3, v3, v12
	v_mul_lo_u32 v12, v11, s26
	v_mad_u32 v13, v3, s39, v14
	v_mad_u32 v2, v3, s38, v2
	s_delay_alu instid0(VALU_DEP_3) | instskip(SKIP_1) | instid1(VALU_DEP_2)
	v_sub_nc_u32_e32 v3, v7, v12
	v_mul_lo_u32 v7, v5, s13
	v_mad_u32 v12, v3, s41, v13
	s_delay_alu instid0(VALU_DEP_4) | instskip(NEXT) | instid1(VALU_DEP_3)
	v_mad_u32 v2, v3, s40, v2
	v_sub_nc_u32_e32 v3, v11, v7
	s_delay_alu instid0(VALU_DEP_1) | instskip(NEXT) | instid1(VALU_DEP_3)
	v_mad_u32 v14, v3, s43, v12
	v_mad_u32 v2, v3, s42, v2
	s_cbranch_scc1 .LBB22_1195
; %bb.1196:
	s_delay_alu instid0(VALU_DEP_2)
	v_mov_b32_e32 v3, v14
	s_and_b32 s4, s1, 3
	s_mov_b32 s1, 0
	s_cmp_eq_u32 s4, 0
	s_cbranch_scc0 .LBB22_1200
	s_branch .LBB22_1203
.LBB22_1197:
	s_mov_b32 s6, -1
                                        ; implicit-def: $vgpr14
                                        ; implicit-def: $vgpr2
	s_branch .LBB22_1203
.LBB22_1198:
	v_dual_mov_b32 v14, 0 :: v_dual_mov_b32 v2, 0
	s_branch .LBB22_1203
.LBB22_1199:
	v_mov_b64_e32 v[2:3], 0
	v_mov_b32_e32 v5, v0
	s_mov_b32 s0, 0
                                        ; implicit-def: $vgpr14
	s_and_b32 s4, s1, 3
	s_mov_b32 s1, 0
	s_cmp_eq_u32 s4, 0
	s_cbranch_scc1 .LBB22_1203
.LBB22_1200:
	s_lshl_b32 s2, s0, 3
	s_mov_b32 s3, s1
	s_mul_u64 s[10:11], s[0:1], 12
	s_add_nc_u64 s[2:3], s[16:17], s[2:3]
	s_delay_alu instid0(SALU_CYCLE_1)
	s_add_nc_u64 s[0:1], s[2:3], 0xc4
	s_add_nc_u64 s[2:3], s[16:17], s[10:11]
.LBB22_1201:                            ; =>This Inner Loop Header: Depth=1
	s_load_b96 s[12:14], s[2:3], 0x4
	s_load_b64 s[10:11], s[0:1], 0x0
	s_add_co_i32 s4, s4, -1
	s_wait_xcnt 0x0
	s_add_nc_u64 s[2:3], s[2:3], 12
	s_cmp_lg_u32 s4, 0
	s_add_nc_u64 s[0:1], s[0:1], 8
	s_wait_kmcnt 0x0
	v_mul_hi_u32 v7, s13, v5
	s_delay_alu instid0(VALU_DEP_1) | instskip(NEXT) | instid1(VALU_DEP_1)
	v_add_nc_u32_e32 v7, v5, v7
	v_lshrrev_b32_e32 v7, s14, v7
	s_delay_alu instid0(VALU_DEP_1) | instskip(NEXT) | instid1(VALU_DEP_1)
	v_mul_lo_u32 v11, v7, s12
	v_sub_nc_u32_e32 v5, v5, v11
	s_delay_alu instid0(VALU_DEP_1)
	v_mad_u32 v3, v5, s11, v3
	v_mad_u32 v2, v5, s10, v2
	v_mov_b32_e32 v5, v7
	s_cbranch_scc1 .LBB22_1201
; %bb.1202:
	s_delay_alu instid0(VALU_DEP_3)
	v_mov_b32_e32 v14, v3
.LBB22_1203:
	s_and_not1_b32 vcc_lo, exec_lo, s6
	s_cbranch_vccnz .LBB22_1206
; %bb.1204:
	s_clause 0x1
	s_load_b96 s[0:2], s[16:17], 0x4
	s_load_b64 s[4:5], s[16:17], 0xc4
	s_cmp_lt_u32 s28, 2
	s_wait_kmcnt 0x0
	v_mul_hi_u32 v2, s1, v0
	s_delay_alu instid0(VALU_DEP_1) | instskip(NEXT) | instid1(VALU_DEP_1)
	v_add_nc_u32_e32 v2, v0, v2
	v_lshrrev_b32_e32 v3, s2, v2
	s_delay_alu instid0(VALU_DEP_1) | instskip(NEXT) | instid1(VALU_DEP_1)
	v_mul_lo_u32 v2, v3, s0
	v_sub_nc_u32_e32 v0, v0, v2
	s_delay_alu instid0(VALU_DEP_1)
	v_mul_lo_u32 v14, v0, s5
	v_mul_lo_u32 v2, v0, s4
	s_cbranch_scc1 .LBB22_1206
; %bb.1205:
	s_clause 0x1
	s_load_b96 s[0:2], s[16:17], 0x10
	s_load_b64 s[4:5], s[16:17], 0xcc
	s_wait_kmcnt 0x0
	v_mul_hi_u32 v0, s1, v3
	s_delay_alu instid0(VALU_DEP_1) | instskip(NEXT) | instid1(VALU_DEP_1)
	v_add_nc_u32_e32 v0, v3, v0
	v_lshrrev_b32_e32 v0, s2, v0
	s_delay_alu instid0(VALU_DEP_1) | instskip(NEXT) | instid1(VALU_DEP_1)
	v_mul_lo_u32 v0, v0, s0
	v_sub_nc_u32_e32 v0, v3, v0
	s_delay_alu instid0(VALU_DEP_1)
	v_mad_u32 v2, v0, s4, v2
	v_mad_u32 v14, v0, s5, v14
.LBB22_1206:
	v_cmp_ne_u32_e32 vcc_lo, 1, v1
	s_cbranch_vccnz .LBB22_1212
; %bb.1207:
	s_cmp_lg_u32 s28, 0
	s_mov_b32 s6, 0
	s_cbranch_scc0 .LBB22_1213
; %bb.1208:
	s_min_u32 s1, s29, 15
	s_delay_alu instid0(SALU_CYCLE_1)
	s_add_co_i32 s1, s1, 1
	s_cmp_eq_u32 s29, 2
	s_cbranch_scc1 .LBB22_1214
; %bb.1209:
	v_dual_mov_b32 v0, 0 :: v_dual_mov_b32 v12, 0
	v_mov_b32_e32 v3, v9
	s_and_b32 s0, s1, 28
	s_add_nc_u64 s[2:3], s[16:17], 0xc4
	s_mov_b32 s7, 0
	s_mov_b64 s[4:5], s[16:17]
.LBB22_1210:                            ; =>This Inner Loop Header: Depth=1
	s_clause 0x1
	s_load_b256 s[20:27], s[4:5], 0x4
	s_load_b128 s[12:15], s[4:5], 0x24
	s_load_b256 s[36:43], s[2:3], 0x0
	s_add_co_i32 s7, s7, 4
	s_wait_xcnt 0x0
	s_add_nc_u64 s[4:5], s[4:5], 48
	s_cmp_lg_u32 s0, s7
	s_add_nc_u64 s[2:3], s[2:3], 32
	s_wait_kmcnt 0x0
	v_mul_hi_u32 v1, s21, v3
	s_delay_alu instid0(VALU_DEP_1) | instskip(NEXT) | instid1(VALU_DEP_1)
	v_add_nc_u32_e32 v1, v3, v1
	v_lshrrev_b32_e32 v1, s22, v1
	s_delay_alu instid0(VALU_DEP_1) | instskip(NEXT) | instid1(VALU_DEP_1)
	v_mul_lo_u32 v11, v1, s20
	v_sub_nc_u32_e32 v3, v3, v11
	v_mul_hi_u32 v5, s24, v1
	s_delay_alu instid0(VALU_DEP_2) | instskip(SKIP_1) | instid1(VALU_DEP_3)
	v_mad_u32 v12, v3, s37, v12
	v_mad_u32 v0, v3, s36, v0
	v_add_nc_u32_e32 v5, v1, v5
	s_delay_alu instid0(VALU_DEP_1) | instskip(NEXT) | instid1(VALU_DEP_1)
	v_lshrrev_b32_e32 v5, s25, v5
	v_mul_lo_u32 v11, v5, s23
	s_delay_alu instid0(VALU_DEP_1) | instskip(SKIP_1) | instid1(VALU_DEP_2)
	v_sub_nc_u32_e32 v1, v1, v11
	v_mul_hi_u32 v7, s27, v5
	v_mad_u32 v12, v1, s39, v12
	v_mad_u32 v0, v1, s38, v0
	s_delay_alu instid0(VALU_DEP_3) | instskip(NEXT) | instid1(VALU_DEP_1)
	v_add_nc_u32_e32 v7, v5, v7
	v_lshrrev_b32_e32 v7, s12, v7
	s_delay_alu instid0(VALU_DEP_1) | instskip(SKIP_1) | instid1(VALU_DEP_1)
	v_mul_hi_u32 v13, s14, v7
	v_mul_lo_u32 v11, v7, s26
	v_dual_add_nc_u32 v3, v7, v13 :: v_dual_sub_nc_u32 v1, v5, v11
	s_delay_alu instid0(VALU_DEP_1) | instskip(NEXT) | instid1(VALU_DEP_2)
	v_lshrrev_b32_e32 v3, s15, v3
	v_mad_u32 v11, v1, s41, v12
	v_mad_u32 v0, v1, s40, v0
	s_delay_alu instid0(VALU_DEP_3) | instskip(NEXT) | instid1(VALU_DEP_1)
	v_mul_lo_u32 v5, v3, s13
	v_sub_nc_u32_e32 v1, v7, v5
	s_delay_alu instid0(VALU_DEP_1) | instskip(NEXT) | instid1(VALU_DEP_4)
	v_mad_u32 v12, v1, s43, v11
	v_mad_u32 v0, v1, s42, v0
	s_cbranch_scc1 .LBB22_1210
; %bb.1211:
	s_delay_alu instid0(VALU_DEP_2)
	v_mov_b32_e32 v1, v12
	s_and_b32 s4, s1, 3
	s_mov_b32 s1, 0
	s_cmp_eq_u32 s4, 0
	s_cbranch_scc0 .LBB22_1215
	s_branch .LBB22_1218
.LBB22_1212:
	s_mov_b32 s6, -1
                                        ; implicit-def: $vgpr12
                                        ; implicit-def: $vgpr0
	s_branch .LBB22_1218
.LBB22_1213:
	v_dual_mov_b32 v12, 0 :: v_dual_mov_b32 v0, 0
	s_branch .LBB22_1218
.LBB22_1214:
	v_mov_b64_e32 v[0:1], 0
	v_mov_b32_e32 v3, v9
	s_mov_b32 s0, 0
                                        ; implicit-def: $vgpr12
	s_and_b32 s4, s1, 3
	s_mov_b32 s1, 0
	s_cmp_eq_u32 s4, 0
	s_cbranch_scc1 .LBB22_1218
.LBB22_1215:
	s_lshl_b32 s2, s0, 3
	s_mov_b32 s3, s1
	s_mul_u64 s[10:11], s[0:1], 12
	s_add_nc_u64 s[2:3], s[16:17], s[2:3]
	s_delay_alu instid0(SALU_CYCLE_1)
	s_add_nc_u64 s[0:1], s[2:3], 0xc4
	s_add_nc_u64 s[2:3], s[16:17], s[10:11]
.LBB22_1216:                            ; =>This Inner Loop Header: Depth=1
	s_load_b96 s[12:14], s[2:3], 0x4
	s_load_b64 s[10:11], s[0:1], 0x0
	s_add_co_i32 s4, s4, -1
	s_wait_xcnt 0x0
	s_add_nc_u64 s[2:3], s[2:3], 12
	s_cmp_lg_u32 s4, 0
	s_add_nc_u64 s[0:1], s[0:1], 8
	s_wait_kmcnt 0x0
	v_mul_hi_u32 v5, s13, v3
	s_delay_alu instid0(VALU_DEP_1) | instskip(NEXT) | instid1(VALU_DEP_1)
	v_add_nc_u32_e32 v5, v3, v5
	v_lshrrev_b32_e32 v5, s14, v5
	s_delay_alu instid0(VALU_DEP_1) | instskip(NEXT) | instid1(VALU_DEP_1)
	v_mul_lo_u32 v7, v5, s12
	v_sub_nc_u32_e32 v3, v3, v7
	s_delay_alu instid0(VALU_DEP_1)
	v_mad_u32 v1, v3, s11, v1
	v_mad_u32 v0, v3, s10, v0
	v_mov_b32_e32 v3, v5
	s_cbranch_scc1 .LBB22_1216
; %bb.1217:
	s_delay_alu instid0(VALU_DEP_3)
	v_mov_b32_e32 v12, v1
.LBB22_1218:
	s_and_not1_b32 vcc_lo, exec_lo, s6
	s_cbranch_vccnz .LBB22_1221
; %bb.1219:
	s_clause 0x1
	s_load_b96 s[0:2], s[16:17], 0x4
	s_load_b64 s[4:5], s[16:17], 0xc4
	s_cmp_lt_u32 s28, 2
	s_wait_kmcnt 0x0
	v_mul_hi_u32 v0, s1, v9
	s_delay_alu instid0(VALU_DEP_1) | instskip(NEXT) | instid1(VALU_DEP_1)
	v_add_nc_u32_e32 v0, v9, v0
	v_lshrrev_b32_e32 v1, s2, v0
	s_delay_alu instid0(VALU_DEP_1) | instskip(NEXT) | instid1(VALU_DEP_1)
	v_mul_lo_u32 v0, v1, s0
	v_sub_nc_u32_e32 v0, v9, v0
	s_delay_alu instid0(VALU_DEP_1)
	v_mul_lo_u32 v12, v0, s5
	v_mul_lo_u32 v0, v0, s4
	s_cbranch_scc1 .LBB22_1221
; %bb.1220:
	s_clause 0x1
	s_load_b96 s[0:2], s[16:17], 0x10
	s_load_b64 s[4:5], s[16:17], 0xcc
	s_wait_kmcnt 0x0
	v_mul_hi_u32 v3, s1, v1
	s_delay_alu instid0(VALU_DEP_1) | instskip(NEXT) | instid1(VALU_DEP_1)
	v_add_nc_u32_e32 v3, v1, v3
	v_lshrrev_b32_e32 v3, s2, v3
	s_delay_alu instid0(VALU_DEP_1) | instskip(NEXT) | instid1(VALU_DEP_1)
	v_mul_lo_u32 v3, v3, s0
	v_sub_nc_u32_e32 v1, v1, v3
	s_delay_alu instid0(VALU_DEP_1)
	v_mad_u32 v0, v1, s4, v0
	v_mad_u32 v12, v1, s5, v12
.LBB22_1221:
	v_mov_b32_e32 v9, 0
	s_load_b128 s[4:7], s[16:17], 0x148
	global_load_u8 v1, v9, s[16:17] offset:346
	s_wait_kmcnt 0x0
	v_add_nc_u64_e32 v[8:9], s[6:7], v[8:9]
	s_wait_loadcnt 0x0
	v_and_b32_e32 v3, 0xffff, v1
	v_readfirstlane_b32 s10, v1
	s_delay_alu instid0(VALU_DEP_2)
	v_cmp_gt_i32_e32 vcc_lo, 11, v3
	s_cbranch_vccnz .LBB22_1228
; %bb.1222:
	s_and_b32 s0, 0xffff, s10
	s_mov_b32 s2, 0
	s_cmp_gt_i32 s0, 25
	s_cbranch_scc0 .LBB22_1230
; %bb.1223:
	s_cmp_gt_i32 s0, 28
	s_cbranch_scc0 .LBB22_1231
; %bb.1224:
	;; [unrolled: 3-line block ×4, first 2 shown]
	s_cmp_eq_u32 s0, 46
	s_mov_b32 s3, 0
	s_cbranch_scc0 .LBB22_1236
; %bb.1227:
	global_load_b32 v1, v[8:9], off
	s_mov_b32 s1, 0
	s_mov_b32 s11, -1
	s_wait_loadcnt 0x0
	v_lshlrev_b32_e32 v1, 16, v1
	s_branch .LBB22_1238
.LBB22_1228:
	s_mov_b32 s11, 0
	s_mov_b32 s3, s8
                                        ; implicit-def: $vgpr1
	s_cbranch_execnz .LBB22_1301
.LBB22_1229:
	s_and_not1_b32 vcc_lo, exec_lo, s11
	s_cbranch_vccz .LBB22_1346
	s_branch .LBB22_1794
.LBB22_1230:
	s_mov_b32 s11, 0
	s_mov_b32 s1, 0
                                        ; implicit-def: $vgpr1
	s_cbranch_execnz .LBB22_1266
	s_branch .LBB22_1297
.LBB22_1231:
	s_mov_b32 s3, -1
	s_mov_b32 s11, 0
	s_mov_b32 s1, 0
                                        ; implicit-def: $vgpr1
	s_branch .LBB22_1247
.LBB22_1232:
	s_mov_b32 s11, 0
	s_mov_b32 s1, 0
                                        ; implicit-def: $vgpr1
	s_cbranch_execnz .LBB22_1243
	s_branch .LBB22_1246
.LBB22_1233:
	s_mov_b32 s3, -1
	s_mov_b32 s11, 0
	s_mov_b32 s1, 0
	s_branch .LBB22_1237
.LBB22_1234:
	s_and_not1_saveexec_b32 s7, s7
	s_cbranch_execz .LBB22_1073
.LBB22_1235:
	v_add_f32_e64 v1, 0x46000000, |v0|
	s_and_not1_b32 s5, s5, exec_lo
	s_delay_alu instid0(VALU_DEP_1) | instskip(NEXT) | instid1(VALU_DEP_1)
	v_and_b32_e32 v1, 0xff, v1
	v_cmp_ne_u32_e32 vcc_lo, 0, v1
	s_and_b32 s8, vcc_lo, exec_lo
	s_delay_alu instid0(SALU_CYCLE_1)
	s_or_b32 s5, s5, s8
	s_or_b32 exec_lo, exec_lo, s7
	v_mov_b32_e32 v2, 0
	s_and_saveexec_b32 s7, s5
	s_cbranch_execnz .LBB22_1074
	s_branch .LBB22_1075
.LBB22_1236:
	s_mov_b32 s1, -1
	s_mov_b32 s11, 0
.LBB22_1237:
                                        ; implicit-def: $vgpr1
.LBB22_1238:
	s_and_b32 vcc_lo, exec_lo, s3
	s_cbranch_vccz .LBB22_1241
; %bb.1239:
	s_cmp_eq_u32 s0, 44
	s_cbranch_scc0 .LBB22_1242
; %bb.1240:
	global_load_u8 v1, v[8:9], off
	s_mov_b32 s1, 0
	s_mov_b32 s11, -1
	s_wait_loadcnt 0x0
	v_lshlrev_b32_e32 v3, 23, v1
	v_cmp_ne_u32_e32 vcc_lo, 0xff, v1
	s_delay_alu instid0(VALU_DEP_2) | instskip(SKIP_1) | instid1(VALU_DEP_2)
	v_cndmask_b32_e32 v3, 0x7f800001, v3, vcc_lo
	v_cmp_ne_u32_e32 vcc_lo, 0, v1
	v_cndmask_b32_e32 v1, 0x400000, v3, vcc_lo
.LBB22_1241:
	s_branch .LBB22_1246
.LBB22_1242:
	s_mov_b32 s1, -1
                                        ; implicit-def: $vgpr1
	s_branch .LBB22_1246
.LBB22_1243:
	s_cmp_eq_u32 s0, 29
	s_cbranch_scc0 .LBB22_1245
; %bb.1244:
	global_load_b64 v[16:17], v[8:9], off
	s_mov_b32 s1, 0
	s_mov_b32 s11, -1
	s_mov_b32 s3, 0
	s_wait_loadcnt 0x0
	v_clz_i32_u32_e32 v1, v17
	s_delay_alu instid0(VALU_DEP_1) | instskip(NEXT) | instid1(VALU_DEP_1)
	v_min_u32_e32 v1, 32, v1
	v_lshlrev_b64_e32 v[16:17], v1, v[16:17]
	v_sub_nc_u32_e32 v1, 32, v1
	s_delay_alu instid0(VALU_DEP_2) | instskip(NEXT) | instid1(VALU_DEP_1)
	v_min_u32_e32 v3, 1, v16
	v_or_b32_e32 v3, v17, v3
	s_delay_alu instid0(VALU_DEP_1) | instskip(NEXT) | instid1(VALU_DEP_1)
	v_cvt_f32_u32_e32 v3, v3
	v_ldexp_f32 v1, v3, v1
	s_branch .LBB22_1247
.LBB22_1245:
	s_mov_b32 s1, -1
                                        ; implicit-def: $vgpr1
.LBB22_1246:
	s_mov_b32 s3, 0
.LBB22_1247:
	s_delay_alu instid0(SALU_CYCLE_1)
	s_and_b32 vcc_lo, exec_lo, s3
	s_cbranch_vccz .LBB22_1265
; %bb.1248:
	s_cmp_lt_i32 s0, 27
	s_cbranch_scc1 .LBB22_1251
; %bb.1249:
	s_cmp_gt_i32 s0, 27
	s_cbranch_scc0 .LBB22_1252
; %bb.1250:
	global_load_b32 v1, v[8:9], off
	s_mov_b32 s3, 0
	s_wait_loadcnt 0x0
	v_cvt_f32_u32_e32 v1, v1
	s_branch .LBB22_1253
.LBB22_1251:
	s_mov_b32 s3, -1
                                        ; implicit-def: $vgpr1
	s_branch .LBB22_1256
.LBB22_1252:
	s_mov_b32 s3, -1
                                        ; implicit-def: $vgpr1
.LBB22_1253:
	s_delay_alu instid0(SALU_CYCLE_1)
	s_and_not1_b32 vcc_lo, exec_lo, s3
	s_cbranch_vccnz .LBB22_1255
; %bb.1254:
	global_load_u16 v1, v[8:9], off
	s_wait_loadcnt 0x0
	v_cvt_f32_u32_e32 v1, v1
.LBB22_1255:
	s_mov_b32 s3, 0
.LBB22_1256:
	s_delay_alu instid0(SALU_CYCLE_1)
	s_and_not1_b32 vcc_lo, exec_lo, s3
	s_cbranch_vccnz .LBB22_1264
; %bb.1257:
	global_load_u8 v3, v[8:9], off
	s_mov_b32 s3, 0
	s_mov_b32 s11, exec_lo
	s_wait_loadcnt 0x0
	v_cmpx_lt_i16_e32 0x7f, v3
	s_xor_b32 s11, exec_lo, s11
	s_cbranch_execz .LBB22_1277
; %bb.1258:
	s_mov_b32 s3, -1
	s_mov_b32 s12, exec_lo
	v_cmpx_eq_u16_e32 0x80, v3
; %bb.1259:
	s_xor_b32 s3, exec_lo, -1
; %bb.1260:
	s_or_b32 exec_lo, exec_lo, s12
	s_delay_alu instid0(SALU_CYCLE_1)
	s_and_b32 s3, s3, exec_lo
	s_or_saveexec_b32 s11, s11
	v_mov_b32_e32 v1, 0x7f800001
	s_xor_b32 exec_lo, exec_lo, s11
	s_cbranch_execnz .LBB22_1278
.LBB22_1261:
	s_or_b32 exec_lo, exec_lo, s11
	s_and_saveexec_b32 s11, s3
	s_cbranch_execz .LBB22_1263
.LBB22_1262:
	v_and_b32_e32 v1, 0xffff, v3
	s_delay_alu instid0(VALU_DEP_1) | instskip(SKIP_1) | instid1(VALU_DEP_2)
	v_and_b32_e32 v5, 7, v1
	v_bfe_u32 v13, v1, 3, 4
	v_clz_i32_u32_e32 v7, v5
	s_delay_alu instid0(VALU_DEP_2) | instskip(NEXT) | instid1(VALU_DEP_2)
	v_cmp_eq_u32_e32 vcc_lo, 0, v13
	v_min_u32_e32 v7, 32, v7
	s_delay_alu instid0(VALU_DEP_1) | instskip(NEXT) | instid1(VALU_DEP_1)
	v_subrev_nc_u32_e32 v11, 28, v7
	v_dual_lshlrev_b32 v1, v11, v1 :: v_dual_sub_nc_u32 v7, 29, v7
	s_delay_alu instid0(VALU_DEP_1) | instskip(NEXT) | instid1(VALU_DEP_1)
	v_dual_lshlrev_b32 v3, 24, v3 :: v_dual_bitop2_b32 v1, 7, v1 bitop3:0x40
	v_cndmask_b32_e32 v1, v5, v1, vcc_lo
	s_delay_alu instid0(VALU_DEP_3) | instskip(NEXT) | instid1(VALU_DEP_3)
	v_cndmask_b32_e32 v7, v13, v7, vcc_lo
	v_and_b32_e32 v3, 0x80000000, v3
	s_delay_alu instid0(VALU_DEP_3) | instskip(NEXT) | instid1(VALU_DEP_3)
	v_lshlrev_b32_e32 v1, 20, v1
	v_lshl_add_u32 v5, v7, 23, 0x3b800000
	s_delay_alu instid0(VALU_DEP_1)
	v_or3_b32 v1, v3, v5, v1
.LBB22_1263:
	s_or_b32 exec_lo, exec_lo, s11
.LBB22_1264:
	s_mov_b32 s11, -1
.LBB22_1265:
	s_branch .LBB22_1297
.LBB22_1266:
	s_cmp_gt_i32 s0, 22
	s_cbranch_scc0 .LBB22_1276
; %bb.1267:
	s_cmp_lt_i32 s0, 24
	s_cbranch_scc1 .LBB22_1279
; %bb.1268:
	s_cmp_gt_i32 s0, 24
	s_cbranch_scc0 .LBB22_1280
; %bb.1269:
	global_load_u8 v3, v[8:9], off
	s_mov_b32 s3, exec_lo
	s_wait_loadcnt 0x0
	v_cmpx_lt_i16_e32 0x7f, v3
	s_xor_b32 s3, exec_lo, s3
	s_cbranch_execz .LBB22_1291
; %bb.1270:
	s_mov_b32 s2, -1
	s_mov_b32 s11, exec_lo
	v_cmpx_eq_u16_e32 0x80, v3
; %bb.1271:
	s_xor_b32 s2, exec_lo, -1
; %bb.1272:
	s_or_b32 exec_lo, exec_lo, s11
	s_delay_alu instid0(SALU_CYCLE_1)
	s_and_b32 s2, s2, exec_lo
	s_or_saveexec_b32 s3, s3
	v_mov_b32_e32 v1, 0x7f800001
	s_xor_b32 exec_lo, exec_lo, s3
	s_cbranch_execnz .LBB22_1292
.LBB22_1273:
	s_or_b32 exec_lo, exec_lo, s3
	s_and_saveexec_b32 s3, s2
	s_cbranch_execz .LBB22_1275
.LBB22_1274:
	v_and_b32_e32 v1, 0xffff, v3
	s_delay_alu instid0(VALU_DEP_1) | instskip(SKIP_1) | instid1(VALU_DEP_2)
	v_and_b32_e32 v5, 3, v1
	v_bfe_u32 v13, v1, 2, 5
	v_clz_i32_u32_e32 v7, v5
	s_delay_alu instid0(VALU_DEP_2) | instskip(NEXT) | instid1(VALU_DEP_2)
	v_cmp_eq_u32_e32 vcc_lo, 0, v13
	v_min_u32_e32 v7, 32, v7
	s_delay_alu instid0(VALU_DEP_1) | instskip(NEXT) | instid1(VALU_DEP_1)
	v_subrev_nc_u32_e32 v11, 29, v7
	v_dual_lshlrev_b32 v1, v11, v1 :: v_dual_sub_nc_u32 v7, 30, v7
	s_delay_alu instid0(VALU_DEP_1) | instskip(NEXT) | instid1(VALU_DEP_1)
	v_dual_lshlrev_b32 v3, 24, v3 :: v_dual_bitop2_b32 v1, 3, v1 bitop3:0x40
	v_cndmask_b32_e32 v1, v5, v1, vcc_lo
	s_delay_alu instid0(VALU_DEP_3) | instskip(NEXT) | instid1(VALU_DEP_3)
	v_cndmask_b32_e32 v7, v13, v7, vcc_lo
	v_and_b32_e32 v3, 0x80000000, v3
	s_delay_alu instid0(VALU_DEP_3) | instskip(NEXT) | instid1(VALU_DEP_3)
	v_lshlrev_b32_e32 v1, 21, v1
	v_lshl_add_u32 v5, v7, 23, 0x37800000
	s_delay_alu instid0(VALU_DEP_1)
	v_or3_b32 v1, v3, v5, v1
.LBB22_1275:
	s_or_b32 exec_lo, exec_lo, s3
	s_mov_b32 s2, 0
	s_branch .LBB22_1281
.LBB22_1276:
                                        ; implicit-def: $vgpr1
	s_mov_b32 s2, 0
	s_branch .LBB22_1287
.LBB22_1277:
	s_or_saveexec_b32 s11, s11
	v_mov_b32_e32 v1, 0x7f800001
	s_xor_b32 exec_lo, exec_lo, s11
	s_cbranch_execz .LBB22_1261
.LBB22_1278:
	v_cmp_ne_u16_e32 vcc_lo, 0, v3
	v_mov_b32_e32 v1, 0
	s_and_not1_b32 s3, s3, exec_lo
	s_and_b32 s12, vcc_lo, exec_lo
	s_delay_alu instid0(SALU_CYCLE_1)
	s_or_b32 s3, s3, s12
	s_or_b32 exec_lo, exec_lo, s11
	s_and_saveexec_b32 s11, s3
	s_cbranch_execnz .LBB22_1262
	s_branch .LBB22_1263
.LBB22_1279:
	s_mov_b32 s2, -1
                                        ; implicit-def: $vgpr1
	s_branch .LBB22_1284
.LBB22_1280:
	s_mov_b32 s2, -1
                                        ; implicit-def: $vgpr1
.LBB22_1281:
	s_delay_alu instid0(SALU_CYCLE_1)
	s_and_b32 vcc_lo, exec_lo, s2
	s_cbranch_vccz .LBB22_1283
; %bb.1282:
	global_load_u8 v1, v[8:9], off
	s_wait_loadcnt 0x0
	v_lshlrev_b32_e32 v1, 24, v1
	s_delay_alu instid0(VALU_DEP_1) | instskip(NEXT) | instid1(VALU_DEP_1)
	v_and_b32_e32 v3, 0x7f000000, v1
	v_clz_i32_u32_e32 v5, v3
	v_add_nc_u32_e32 v11, 0x1000000, v3
	v_cmp_ne_u32_e32 vcc_lo, 0, v3
	s_delay_alu instid0(VALU_DEP_3) | instskip(NEXT) | instid1(VALU_DEP_1)
	v_min_u32_e32 v5, 32, v5
	v_sub_nc_u32_e64 v5, v5, 4 clamp
	s_delay_alu instid0(VALU_DEP_1) | instskip(NEXT) | instid1(VALU_DEP_1)
	v_dual_lshlrev_b32 v7, v5, v3 :: v_dual_lshlrev_b32 v5, 23, v5
	v_lshrrev_b32_e32 v7, 4, v7
	s_delay_alu instid0(VALU_DEP_1) | instskip(NEXT) | instid1(VALU_DEP_1)
	v_dual_sub_nc_u32 v5, v7, v5 :: v_dual_ashrrev_i32 v7, 8, v11
	v_add_nc_u32_e32 v5, 0x3c000000, v5
	s_delay_alu instid0(VALU_DEP_1) | instskip(NEXT) | instid1(VALU_DEP_1)
	v_and_or_b32 v5, 0x7f800000, v7, v5
	v_cndmask_b32_e32 v3, 0, v5, vcc_lo
	s_delay_alu instid0(VALU_DEP_1)
	v_and_or_b32 v1, 0x80000000, v1, v3
.LBB22_1283:
	s_mov_b32 s2, 0
.LBB22_1284:
	s_delay_alu instid0(SALU_CYCLE_1)
	s_and_not1_b32 vcc_lo, exec_lo, s2
	s_cbranch_vccnz .LBB22_1286
; %bb.1285:
	global_load_u8 v1, v[8:9], off
	s_wait_loadcnt 0x0
	v_lshlrev_b32_e32 v3, 25, v1
	v_lshlrev_b16 v1, 8, v1
	s_delay_alu instid0(VALU_DEP_1) | instskip(SKIP_1) | instid1(VALU_DEP_2)
	v_and_or_b32 v7, 0x7f00, v1, 0.5
	v_bfe_i32 v1, v1, 0, 16
	v_add_f32_e32 v7, -0.5, v7
	v_lshrrev_b32_e32 v5, 4, v3
	v_cmp_gt_u32_e32 vcc_lo, 0x8000000, v3
	s_delay_alu instid0(VALU_DEP_2) | instskip(NEXT) | instid1(VALU_DEP_1)
	v_or_b32_e32 v5, 0x70000000, v5
	v_mul_f32_e32 v5, 0x7800000, v5
	s_delay_alu instid0(VALU_DEP_1) | instskip(NEXT) | instid1(VALU_DEP_1)
	v_cndmask_b32_e32 v3, v5, v7, vcc_lo
	v_and_or_b32 v1, 0x80000000, v1, v3
.LBB22_1286:
	s_mov_b32 s11, -1
	s_mov_b32 s2, 0
	s_cbranch_execnz .LBB22_1297
.LBB22_1287:
	s_cmp_gt_i32 s0, 14
	s_cbranch_scc0 .LBB22_1290
; %bb.1288:
	s_cmp_eq_u32 s0, 15
	s_cbranch_scc0 .LBB22_1293
; %bb.1289:
	global_load_u16 v1, v[8:9], off
	s_mov_b32 s1, 0
	s_mov_b32 s11, -1
	s_wait_loadcnt 0x0
	v_lshlrev_b32_e32 v1, 16, v1
	s_branch .LBB22_1295
.LBB22_1290:
	s_mov_b32 s2, -1
	s_branch .LBB22_1294
.LBB22_1291:
	s_or_saveexec_b32 s3, s3
	v_mov_b32_e32 v1, 0x7f800001
	s_xor_b32 exec_lo, exec_lo, s3
	s_cbranch_execz .LBB22_1273
.LBB22_1292:
	v_cmp_ne_u16_e32 vcc_lo, 0, v3
	v_mov_b32_e32 v1, 0
	s_and_not1_b32 s2, s2, exec_lo
	s_and_b32 s11, vcc_lo, exec_lo
	s_delay_alu instid0(SALU_CYCLE_1)
	s_or_b32 s2, s2, s11
	s_or_b32 exec_lo, exec_lo, s3
	s_and_saveexec_b32 s3, s2
	s_cbranch_execnz .LBB22_1274
	s_branch .LBB22_1275
.LBB22_1293:
	s_mov_b32 s1, -1
.LBB22_1294:
                                        ; implicit-def: $vgpr1
.LBB22_1295:
	s_and_b32 vcc_lo, exec_lo, s2
	s_mov_b32 s2, 0
	s_cbranch_vccz .LBB22_1297
; %bb.1296:
	s_cmp_lg_u32 s0, 11
	s_mov_b32 s2, -1
	s_cselect_b32 s1, -1, 0
.LBB22_1297:
	s_delay_alu instid0(SALU_CYCLE_1)
	s_and_b32 vcc_lo, exec_lo, s1
	s_mov_b32 s3, s8
	s_cbranch_vccnz .LBB22_1374
; %bb.1298:
	s_and_not1_b32 vcc_lo, exec_lo, s2
	s_cbranch_vccnz .LBB22_1300
.LBB22_1299:
	global_load_u8 v1, v[8:9], off
	s_mov_b32 s11, -1
	s_wait_loadcnt 0x0
	v_cmp_ne_u16_e32 vcc_lo, 0, v1
	v_cndmask_b32_e64 v1, 0, 1.0, vcc_lo
.LBB22_1300:
	s_branch .LBB22_1229
.LBB22_1301:
	s_and_b32 s0, 0xffff, s10
	s_delay_alu instid0(SALU_CYCLE_1)
	s_cmp_lt_i32 s0, 5
	s_cbranch_scc1 .LBB22_1306
; %bb.1302:
	s_cmp_lt_i32 s0, 8
	s_cbranch_scc1 .LBB22_1307
; %bb.1303:
	s_cmp_lt_i32 s0, 9
	s_cbranch_scc1 .LBB22_1308
; %bb.1304:
	s_cmp_gt_i32 s0, 9
	s_cbranch_scc0 .LBB22_1309
; %bb.1305:
	global_load_b64 v[16:17], v[8:9], off
	s_mov_b32 s1, 0
	s_wait_loadcnt 0x0
	v_cvt_f32_f64_e32 v1, v[16:17]
	s_branch .LBB22_1310
.LBB22_1306:
                                        ; implicit-def: $vgpr1
	s_branch .LBB22_1327
.LBB22_1307:
                                        ; implicit-def: $vgpr1
	s_branch .LBB22_1316
.LBB22_1308:
	s_mov_b32 s1, -1
                                        ; implicit-def: $vgpr1
	s_branch .LBB22_1313
.LBB22_1309:
	s_mov_b32 s1, -1
                                        ; implicit-def: $vgpr1
.LBB22_1310:
	s_delay_alu instid0(SALU_CYCLE_1)
	s_and_not1_b32 vcc_lo, exec_lo, s1
	s_cbranch_vccnz .LBB22_1312
; %bb.1311:
	global_load_b32 v1, v[8:9], off
.LBB22_1312:
	s_mov_b32 s1, 0
.LBB22_1313:
	s_delay_alu instid0(SALU_CYCLE_1)
	s_and_not1_b32 vcc_lo, exec_lo, s1
	s_cbranch_vccnz .LBB22_1315
; %bb.1314:
	s_wait_loadcnt 0x0
	global_load_b32 v1, v[8:9], off
	s_wait_loadcnt 0x0
	v_cvt_f32_f16_e32 v1, v1
.LBB22_1315:
	s_cbranch_execnz .LBB22_1326
.LBB22_1316:
	s_cmp_lt_i32 s0, 6
	s_cbranch_scc1 .LBB22_1319
; %bb.1317:
	s_cmp_gt_i32 s0, 6
	s_cbranch_scc0 .LBB22_1320
; %bb.1318:
	global_load_b64 v[16:17], v[8:9], off
	s_mov_b32 s1, 0
	s_wait_loadcnt 0x0
	v_cvt_f32_f64_e32 v1, v[16:17]
	s_branch .LBB22_1321
.LBB22_1319:
	s_mov_b32 s1, -1
                                        ; implicit-def: $vgpr1
	s_branch .LBB22_1324
.LBB22_1320:
	s_mov_b32 s1, -1
                                        ; implicit-def: $vgpr1
.LBB22_1321:
	s_delay_alu instid0(SALU_CYCLE_1)
	s_and_not1_b32 vcc_lo, exec_lo, s1
	s_cbranch_vccnz .LBB22_1323
; %bb.1322:
	s_wait_loadcnt 0x0
	global_load_b32 v1, v[8:9], off
.LBB22_1323:
	s_mov_b32 s1, 0
.LBB22_1324:
	s_delay_alu instid0(SALU_CYCLE_1)
	s_and_not1_b32 vcc_lo, exec_lo, s1
	s_cbranch_vccnz .LBB22_1326
; %bb.1325:
	s_wait_loadcnt 0x0
	global_load_u16 v1, v[8:9], off
	s_wait_loadcnt 0x0
	v_cvt_f32_f16_e32 v1, v1
.LBB22_1326:
	s_cbranch_execnz .LBB22_1345
.LBB22_1327:
	s_cmp_lt_i32 s0, 2
	s_cbranch_scc1 .LBB22_1331
; %bb.1328:
	s_cmp_lt_i32 s0, 3
	s_cbranch_scc1 .LBB22_1332
; %bb.1329:
	s_cmp_gt_i32 s0, 3
	s_cbranch_scc0 .LBB22_1333
; %bb.1330:
	global_load_b64 v[16:17], v[8:9], off
	s_mov_b32 s1, 0
	s_wait_loadcnt 0x0
	v_xor_b32_e32 v1, v16, v17
	v_cls_i32_e32 v3, v17
	s_delay_alu instid0(VALU_DEP_2) | instskip(NEXT) | instid1(VALU_DEP_1)
	v_ashrrev_i32_e32 v1, 31, v1
	v_add_nc_u32_e32 v1, 32, v1
	s_delay_alu instid0(VALU_DEP_1) | instskip(NEXT) | instid1(VALU_DEP_1)
	v_add_min_u32_e64 v1, v3, -1, v1
	v_lshlrev_b64_e32 v[16:17], v1, v[16:17]
	v_sub_nc_u32_e32 v1, 32, v1
	s_delay_alu instid0(VALU_DEP_2) | instskip(NEXT) | instid1(VALU_DEP_1)
	v_min_u32_e32 v3, 1, v16
	v_or_b32_e32 v3, v17, v3
	s_delay_alu instid0(VALU_DEP_1) | instskip(NEXT) | instid1(VALU_DEP_1)
	v_cvt_f32_i32_e32 v3, v3
	v_ldexp_f32 v1, v3, v1
	s_branch .LBB22_1334
.LBB22_1331:
                                        ; implicit-def: $vgpr1
	s_branch .LBB22_1340
.LBB22_1332:
	s_mov_b32 s1, -1
                                        ; implicit-def: $vgpr1
	s_branch .LBB22_1337
.LBB22_1333:
	s_mov_b32 s1, -1
                                        ; implicit-def: $vgpr1
.LBB22_1334:
	s_delay_alu instid0(SALU_CYCLE_1)
	s_and_not1_b32 vcc_lo, exec_lo, s1
	s_cbranch_vccnz .LBB22_1336
; %bb.1335:
	s_wait_loadcnt 0x0
	global_load_b32 v1, v[8:9], off
	s_wait_loadcnt 0x0
	v_cvt_f32_i32_e32 v1, v1
.LBB22_1336:
	s_mov_b32 s1, 0
.LBB22_1337:
	s_delay_alu instid0(SALU_CYCLE_1)
	s_and_not1_b32 vcc_lo, exec_lo, s1
	s_cbranch_vccnz .LBB22_1339
; %bb.1338:
	s_wait_loadcnt 0x0
	global_load_i16 v1, v[8:9], off
	s_wait_loadcnt 0x0
	v_cvt_f32_i32_e32 v1, v1
.LBB22_1339:
	s_cbranch_execnz .LBB22_1345
.LBB22_1340:
	s_cmp_gt_i32 s0, 0
	s_mov_b32 s0, 0
	s_cbranch_scc0 .LBB22_1342
; %bb.1341:
	s_wait_loadcnt 0x0
	global_load_i8 v1, v[8:9], off
	s_wait_loadcnt 0x0
	v_cvt_f32_i32_e32 v1, v1
	s_branch .LBB22_1343
.LBB22_1342:
	s_mov_b32 s0, -1
                                        ; implicit-def: $vgpr1
.LBB22_1343:
	s_delay_alu instid0(SALU_CYCLE_1)
	s_and_not1_b32 vcc_lo, exec_lo, s0
	s_cbranch_vccnz .LBB22_1345
; %bb.1344:
	s_wait_loadcnt 0x0
	global_load_u8 v1, v[8:9], off
	s_wait_loadcnt 0x0
	v_cvt_f32_ubyte0_e32 v1, v1
.LBB22_1345:
.LBB22_1346:
                                        ; implicit-def: $vgpr8
	s_mov_b32 s0, exec_lo
	s_wait_loadcnt 0x0
	s_delay_alu instid0(VALU_DEP_1)
	v_cmpx_ge_f32_e32 0x40a00000, v1
	s_xor_b32 s11, exec_lo, s0
	s_cbranch_execz .LBB22_1352
; %bb.1347:
	v_mov_b32_e32 v8, 0xff800000
	s_mov_b32 s12, exec_lo
	v_cmpx_neq_f32_e32 0, v1
	s_cbranch_execz .LBB22_1351
; %bb.1348:
	v_mov_b32_e32 v8, 0x7fc00000
	s_mov_b32 s13, exec_lo
	v_cmpx_nge_f32_e32 0, v1
	s_cbranch_execz .LBB22_1350
; %bb.1349:
	v_mul_f32_e32 v8, v1, v1
	v_mov_b64_e32 v[16:17], 0x4c8c277d4e9695f3
	v_mov_b64_e32 v[20:21], 0x508bc61dd316b96b
	;; [unrolled: 1-line block ×4, first 2 shown]
	v_dual_fmaak_f32 v3, 0, v8, 0x4414934d :: v_dual_mul_f32 v18, 0, v8
	v_mov_b64_e32 v[26:27], 0x5832585252d295d0
	v_cmp_gt_f32_e64 s0, 0x800000, v1
	v_div_scale_f32 v13, null, v1, v1, -1.0
	s_delay_alu instid0(VALU_DEP_4) | instskip(NEXT) | instid1(VALU_DEP_3)
	v_fmaak_f32 v3, v8, v3, 0x48660b06
	v_cndmask_b32_e64 v7, 0, 32, s0
	s_delay_alu instid0(VALU_DEP_2) | instskip(NEXT) | instid1(VALU_DEP_2)
	v_mul_f32_e32 v19, v8, v3
	v_ldexp_f32 v7, v1, v7
	s_delay_alu instid0(VALU_DEP_2) | instskip(NEXT) | instid1(VALU_DEP_2)
	v_pk_add_f32 v[16:17], v[18:19], v[16:17]
	v_log_f32_e32 v7, v7
	s_delay_alu instid0(VALU_DEP_1) | instskip(SKIP_1) | instid1(TRANS32_DEP_1)
	v_pk_fma_f32 v[16:17], v[8:9], v[16:17], v[20:21] op_sel_hi:[0,1,1]
	v_mov_b64_e32 v[20:21], 0x580d1937d9e700d2
	v_mul_f32_e32 v28, 0x3f317217, v7
	s_delay_alu instid0(VALU_DEP_3) | instskip(SKIP_1) | instid1(VALU_DEP_2)
	v_pk_fma_f32 v[16:17], v[8:9], v[16:17], v[22:23] op_sel_hi:[0,1,1]
	v_mov_b64_e32 v[22:23], 0x5b741f1e5c33cd68
	v_pk_fma_f32 v[16:17], v[8:9], v[16:17], v[20:21] op_sel_hi:[0,1,1]
	v_mov_b64_e32 v[20:21], 0x5e5c878ddd2cf20b
	s_delay_alu instid0(VALU_DEP_2) | instskip(NEXT) | instid1(VALU_DEP_1)
	v_pk_fma_f32 v[16:17], v[8:9], v[16:17], v[22:23] op_sel_hi:[0,1,1]
	v_pk_fma_f32 v[16:17], v[8:9], v[16:17], v[20:21] op_sel_hi:[0,1,1]
	s_delay_alu instid0(VALU_DEP_1) | instskip(SKIP_1) | instid1(VALU_DEP_1)
	v_div_scale_f32 v21, vcc_lo, v16, v17, v16
	v_fmaak_f32 v5, 0, v8, 0x441b3589
	v_fmaak_f32 v5, v8, v5, 0x487af6d0
	s_delay_alu instid0(VALU_DEP_1) | instskip(NEXT) | instid1(VALU_DEP_1)
	v_fmaak_f32 v3, v8, v5, 0x4c9f4aa7
	v_fmaak_f32 v3, v8, v3, 0x50a509fc
	s_delay_alu instid0(VALU_DEP_1) | instskip(SKIP_1) | instid1(VALU_DEP_2)
	v_mul_f32_e32 v19, v8, v3
	v_div_scale_f32 v3, null, v17, v17, v16
	v_pk_add_f32 v[18:19], v[18:19], v[24:25]
	v_mov_b64_e32 v[24:25], 0x5b9f0600d6845497
	s_delay_alu instid0(VALU_DEP_2) | instskip(SKIP_1) | instid1(VALU_DEP_2)
	v_pk_fma_f32 v[18:19], v[8:9], v[18:19], v[26:27] op_sel_hi:[0,1,1]
	v_mov_b64_e32 v[26:27], 0x5e93bcac59515a15
	v_pk_fma_f32 v[18:19], v[8:9], v[18:19], v[24:25] op_sel_hi:[0,1,1]
	s_delay_alu instid0(VALU_DEP_1) | instskip(SKIP_2) | instid1(VALU_DEP_2)
	v_pk_fma_f32 v[18:19], v[8:9], v[18:19], v[26:27] op_sel_hi:[0,1,1]
	v_rcp_f32_e32 v9, v3
	v_div_scale_f32 v27, s2, -1.0, v1, -1.0
	v_div_scale_f32 v5, null, v19, v19, v18
	v_div_scale_f32 v22, s1, v18, v19, v18
	s_delay_alu instid0(TRANS32_DEP_1) | instskip(NEXT) | instid1(VALU_DEP_3)
	v_fma_f32 v15, -v3, v9, 1.0
	v_rcp_f32_e32 v11, v5
	s_delay_alu instid0(VALU_DEP_1) | instskip(SKIP_1) | instid1(TRANS32_DEP_2)
	v_fmac_f32_e32 v9, v15, v9
	v_rcp_f32_e32 v15, v13
	v_fma_f32 v20, -v5, v11, 1.0
	s_delay_alu instid0(TRANS32_DEP_1) | instskip(NEXT) | instid1(VALU_DEP_2)
	v_fma_f32 v24, -v13, v15, 1.0
	v_dual_fmac_f32 v11, v20, v11 :: v_dual_mul_f32 v20, v21, v9
	s_delay_alu instid0(VALU_DEP_1) | instskip(NEXT) | instid1(VALU_DEP_1)
	v_fma_f32 v25, -v3, v20, v21
	v_dual_fmac_f32 v20, v25, v9 :: v_dual_mul_f32 v23, v22, v11
	s_delay_alu instid0(VALU_DEP_1) | instskip(NEXT) | instid1(VALU_DEP_1)
	v_dual_fma_f32 v3, -v3, v20, v21 :: v_dual_fma_f32 v26, -v5, v23, v22
	v_div_fmas_f32 v3, v3, v9, v20
	s_delay_alu instid0(VALU_DEP_2) | instskip(SKIP_2) | instid1(VALU_DEP_3)
	v_fmac_f32_e32 v23, v26, v11
	s_mov_b32 vcc_lo, s1
	v_mov_b64_e32 v[20:21], 0xc16ae95ac244dfb3
	v_div_fixup_f32 v3, v3, v17, v16
	s_delay_alu instid0(VALU_DEP_3) | instskip(NEXT) | instid1(VALU_DEP_1)
	v_fma_f32 v5, -v5, v23, v22
	v_div_fmas_f32 v5, v5, v11, v23
	v_cmp_gt_f32_e64 vcc_lo, 0x7f800000, |v7|
	s_delay_alu instid0(VALU_DEP_2) | instskip(SKIP_3) | instid1(VALU_DEP_3)
	v_div_fixup_f32 v5, v5, v19, v18
	v_fmac_f32_e32 v15, v24, v15
	v_fma_f32 v24, 0x3f317217, v7, -v28
	v_cndmask_b32_e64 v18, 0, 0x41b17218, s0
	v_dual_mul_f32 v5, v1, v5 :: v_dual_mul_f32 v25, v27, v15
	s_delay_alu instid0(VALU_DEP_3) | instskip(NEXT) | instid1(VALU_DEP_2)
	v_fmamk_f32 v11, v7, 0x3377d1cf, v24
	v_fma_f32 v9, -v13, v25, v27
	s_delay_alu instid0(VALU_DEP_2) | instskip(NEXT) | instid1(VALU_DEP_1)
	v_fmac_f32_e32 v11, 0x3f317217, v7
	v_cndmask_b32_e32 v7, v7, v11, vcc_lo
	s_delay_alu instid0(VALU_DEP_3) | instskip(SKIP_1) | instid1(VALU_DEP_1)
	v_fmac_f32_e32 v25, v9, v15
	s_mov_b32 vcc_lo, s2
	v_dual_sub_f32 v7, v7, v18 :: v_dual_fma_f32 v13, -v13, v25, v27
	v_pk_add_f32 v[8:9], v[8:9], v[20:21] op_sel_hi:[0,1]
	s_delay_alu instid0(VALU_DEP_1) | instskip(NEXT) | instid1(VALU_DEP_3)
	v_mul_f32_e32 v5, v9, v5
	v_div_fmas_f32 v9, v13, v15, v25
	s_delay_alu instid0(VALU_DEP_2) | instskip(NEXT) | instid1(VALU_DEP_2)
	v_mul_f32_e32 v5, v8, v5
	v_div_fixup_f32 v8, v9, v1, -1.0
	s_delay_alu instid0(VALU_DEP_1) | instskip(NEXT) | instid1(VALU_DEP_1)
	v_fmac_f32_e32 v8, v7, v5
	v_mul_f32_e32 v8, 0x3f22f983, v8
	s_delay_alu instid0(VALU_DEP_1)
	v_fmac_f32_e32 v8, v1, v3
.LBB22_1350:
	s_or_b32 exec_lo, exec_lo, s13
.LBB22_1351:
	s_delay_alu instid0(SALU_CYCLE_1)
	s_or_b32 exec_lo, exec_lo, s12
                                        ; implicit-def: $vgpr1
.LBB22_1352:
	s_and_not1_saveexec_b32 s11, s11
	s_cbranch_execz .LBB22_1362
; %bb.1353:
	v_add_f32_e32 v3, 0xc016cbe4, v1
                                        ; implicit-def: $vgpr8
                                        ; implicit-def: $vgpr7
	s_delay_alu instid0(VALU_DEP_1) | instskip(SKIP_2) | instid1(SALU_CYCLE_1)
	v_and_b32_e32 v5, 0x7fffffff, v3
	v_cmp_ngt_f32_e64 s2, 0x48000000, |v3|
	s_and_saveexec_b32 s0, s2
	s_xor_b32 s12, exec_lo, s0
	s_cbranch_execz .LBB22_1355
; %bb.1354:
	s_mov_b32 s0, 0x7fffff
	v_mov_b32_e32 v9, 0
	v_and_or_b32 v8, v5, s0, 0x800000
	s_mov_b64 s[0:1], 0xfe5163ab
	v_lshrrev_b32_e32 v7, 23, v5
	s_delay_alu instid0(VALU_DEP_2) | instskip(NEXT) | instid1(VALU_DEP_1)
	v_mul_u64_e32 v[16:17], s[0:1], v[8:9]
	v_dual_mov_b32 v18, v17 :: v_dual_mov_b32 v19, v9
	v_dual_mov_b32 v21, v9 :: v_dual_mov_b32 v23, v9
	;; [unrolled: 1-line block ×3, first 2 shown]
	s_delay_alu instid0(VALU_DEP_3) | instskip(NEXT) | instid1(VALU_DEP_1)
	v_mad_nc_u64_u32 v[18:19], 0x3c439041, v8, v[18:19]
	v_mov_b32_e32 v20, v19
	s_delay_alu instid0(VALU_DEP_1) | instskip(NEXT) | instid1(VALU_DEP_1)
	v_mad_nc_u64_u32 v[20:21], 0xdb629599, v8, v[20:21]
	v_mov_b32_e32 v22, v21
	s_delay_alu instid0(VALU_DEP_1) | instskip(NEXT) | instid1(VALU_DEP_1)
	;; [unrolled: 3-line block ×3, first 2 shown]
	v_mad_nc_u64_u32 v[24:25], 0xfc2757d1, v8, v[24:25]
	v_dual_mov_b32 v27, v9 :: v_dual_mov_b32 v26, v25
	s_delay_alu instid0(VALU_DEP_1) | instskip(NEXT) | instid1(VALU_DEP_1)
	v_mad_nc_u64_u32 v[26:27], 0x4e441529, v8, v[26:27]
	v_dual_mov_b32 v28, v27 :: v_dual_add_nc_u32 v7, 0xffffff88, v7
	s_delay_alu instid0(VALU_DEP_1) | instskip(NEXT) | instid1(VALU_DEP_2)
	v_cmp_lt_u32_e32 vcc_lo, 63, v7
	v_mad_nc_u64_u32 v[8:9], 0xa2f9836e, v8, v[28:29]
	v_cndmask_b32_e64 v11, 0, 0xffffffc0, vcc_lo
	v_dual_cndmask_b32 v13, v26, v22 :: v_dual_cndmask_b32 v16, v20, v16
	s_delay_alu instid0(VALU_DEP_2) | instskip(NEXT) | instid1(VALU_DEP_1)
	v_add_nc_u32_e32 v7, v11, v7
	v_cmp_lt_u32_e64 s0, 31, v7
	v_dual_cndmask_b32 v8, v8, v24 :: v_dual_cndmask_b32 v9, v9, v26
	s_delay_alu instid0(VALU_DEP_2) | instskip(NEXT) | instid1(VALU_DEP_1)
	v_cndmask_b32_e64 v11, 0, 0xffffffe0, s0
	v_dual_cndmask_b32 v17, v8, v13, s0 :: v_dual_add_nc_u32 v7, v11, v7
	s_delay_alu instid0(VALU_DEP_1) | instskip(NEXT) | instid1(VALU_DEP_1)
	v_cmp_lt_u32_e64 s1, 31, v7
	v_cndmask_b32_e64 v11, 0, 0xffffffe0, s1
	s_delay_alu instid0(VALU_DEP_1) | instskip(SKIP_1) | instid1(VALU_DEP_2)
	v_dual_cndmask_b32 v15, v24, v20, vcc_lo :: v_dual_add_nc_u32 v7, v11, v7
	v_dual_cndmask_b32 v11, v22, v18, vcc_lo :: v_dual_cndmask_b32 v8, v9, v8, s0
	v_cndmask_b32_e64 v9, v13, v15, s0
	s_delay_alu instid0(VALU_DEP_3) | instskip(NEXT) | instid1(VALU_DEP_3)
	v_sub_nc_u32_e32 v13, 32, v7
	v_dual_cndmask_b32 v15, v15, v11, s0 :: v_dual_cndmask_b32 v8, v8, v17, s1
	s_delay_alu instid0(VALU_DEP_3) | instskip(SKIP_1) | instid1(VALU_DEP_3)
	v_cndmask_b32_e64 v17, v17, v9, s1
	v_cmp_eq_u32_e32 vcc_lo, 0, v7
	v_cndmask_b32_e64 v9, v9, v15, s1
	s_delay_alu instid0(VALU_DEP_3) | instskip(NEXT) | instid1(VALU_DEP_2)
	v_alignbit_b32 v18, v8, v17, v13
	v_alignbit_b32 v19, v17, v9, v13
	s_delay_alu instid0(VALU_DEP_2) | instskip(SKIP_1) | instid1(VALU_DEP_3)
	v_cndmask_b32_e32 v7, v18, v8, vcc_lo
	v_cndmask_b32_e64 v8, v11, v16, s0
	v_cndmask_b32_e32 v11, v19, v17, vcc_lo
	s_delay_alu instid0(VALU_DEP_3) | instskip(NEXT) | instid1(VALU_DEP_1)
	v_bfe_u32 v16, v7, 29, 1
	v_sub_nc_u32_e32 v17, 0, v16
	s_delay_alu instid0(VALU_DEP_4) | instskip(NEXT) | instid1(VALU_DEP_4)
	v_cndmask_b32_e64 v8, v15, v8, s1
	v_alignbit_b32 v15, v7, v11, 30
	s_delay_alu instid0(VALU_DEP_1) | instskip(NEXT) | instid1(VALU_DEP_3)
	v_xor_b32_e32 v15, v15, v17
	v_alignbit_b32 v13, v9, v8, v13
	s_delay_alu instid0(VALU_DEP_1) | instskip(NEXT) | instid1(VALU_DEP_3)
	v_cndmask_b32_e32 v9, v13, v9, vcc_lo
	v_clz_i32_u32_e32 v13, v15
	s_delay_alu instid0(VALU_DEP_2) | instskip(NEXT) | instid1(VALU_DEP_2)
	v_alignbit_b32 v11, v11, v9, 30
	v_min_u32_e32 v13, 32, v13
	v_alignbit_b32 v8, v9, v8, 30
	s_delay_alu instid0(VALU_DEP_2) | instskip(NEXT) | instid1(VALU_DEP_4)
	v_lshlrev_b32_e32 v18, 23, v13
	v_xor_b32_e32 v9, v11, v17
	v_sub_nc_u32_e32 v11, 31, v13
	s_delay_alu instid0(VALU_DEP_4) | instskip(NEXT) | instid1(VALU_DEP_2)
	v_dual_lshrrev_b32 v17, 29, v7 :: v_dual_bitop2_b32 v8, v8, v17 bitop3:0x14
	v_alignbit_b32 v15, v15, v9, v11
	s_delay_alu instid0(VALU_DEP_2) | instskip(NEXT) | instid1(VALU_DEP_3)
	v_alignbit_b32 v8, v9, v8, v11
	v_lshlrev_b32_e32 v9, 31, v17
	s_delay_alu instid0(VALU_DEP_2) | instskip(NEXT) | instid1(VALU_DEP_2)
	v_alignbit_b32 v11, v15, v8, 9
	v_dual_lshrrev_b32 v15, 9, v15 :: v_dual_bitop2_b32 v17, 0.5, v9 bitop3:0x54
	v_or_b32_e32 v9, 0x33000000, v9
	s_delay_alu instid0(VALU_DEP_3) | instskip(NEXT) | instid1(VALU_DEP_3)
	v_clz_i32_u32_e32 v19, v11
	v_sub_nc_u32_e32 v17, v17, v18
	s_delay_alu instid0(VALU_DEP_2) | instskip(NEXT) | instid1(VALU_DEP_2)
	v_min_u32_e32 v18, 32, v19
	v_or_b32_e32 v15, v15, v17
	s_delay_alu instid0(VALU_DEP_2) | instskip(NEXT) | instid1(VALU_DEP_2)
	v_not_b32_e32 v17, v18
	v_mul_f32_e32 v19, 0x3fc90fda, v15
	v_add_lshl_u32 v13, v18, v13, 23
	s_delay_alu instid0(VALU_DEP_3) | instskip(NEXT) | instid1(VALU_DEP_3)
	v_alignbit_b32 v8, v11, v8, v17
	v_fma_f32 v11, 0x3fc90fda, v15, -v19
	s_delay_alu instid0(VALU_DEP_2) | instskip(NEXT) | instid1(VALU_DEP_2)
	v_dual_sub_nc_u32 v9, v9, v13 :: v_dual_lshrrev_b32 v8, 9, v8
	v_fmamk_f32 v11, v15, 0x33a22168, v11
	s_delay_alu instid0(VALU_DEP_2) | instskip(NEXT) | instid1(VALU_DEP_1)
	v_or_b32_e32 v8, v9, v8
	v_dual_fmac_f32 v11, 0x3fc90fda, v8 :: v_dual_lshrrev_b32 v8, 30, v7
	s_delay_alu instid0(VALU_DEP_1)
	v_dual_add_f32 v7, v19, v11 :: v_dual_add_nc_u32 v8, v16, v8
	s_and_not1_saveexec_b32 s0, s12
	s_branch .LBB22_1356
.LBB22_1355:
	s_and_not1_saveexec_b32 s0, s12
.LBB22_1356:
	v_mul_f32_e64 v7, 0x3f22f983, |v3|
	s_delay_alu instid0(VALU_DEP_1) | instskip(NEXT) | instid1(VALU_DEP_1)
	v_rndne_f32_e32 v8, v7
	v_fma_f32 v7, 0xbfc90fda, v8, |v3|
	s_delay_alu instid0(VALU_DEP_1) | instskip(NEXT) | instid1(VALU_DEP_1)
	v_fmamk_f32 v7, v8, 0xb3a22168, v7
	v_fmamk_f32 v7, v8, 0xa7c234c4, v7
	v_cvt_i32_f32_e32 v8, v8
; %bb.1357:
	s_or_b32 exec_lo, exec_lo, s0
                                        ; implicit-def: $vgpr11
                                        ; implicit-def: $vgpr9
	s_and_saveexec_b32 s0, s2
	s_delay_alu instid0(SALU_CYCLE_1)
	s_xor_b32 s2, exec_lo, s0
	s_cbranch_execz .LBB22_1359
; %bb.1358:
	s_mov_b32 s0, 0x7fffff
	v_mov_b32_e32 v17, 0
	v_and_or_b32 v16, v5, s0, 0x800000
	s_mov_b64 s[0:1], 0xfe5163ab
	v_lshrrev_b32_e32 v9, 23, v5
	s_delay_alu instid0(VALU_DEP_2) | instskip(NEXT) | instid1(VALU_DEP_1)
	v_mul_u64_e32 v[18:19], s[0:1], v[16:17]
	v_dual_mov_b32 v20, v19 :: v_dual_mov_b32 v21, v17
	v_dual_mov_b32 v23, v17 :: v_dual_mov_b32 v25, v17
	;; [unrolled: 1-line block ×3, first 2 shown]
	s_delay_alu instid0(VALU_DEP_3) | instskip(NEXT) | instid1(VALU_DEP_1)
	v_mad_nc_u64_u32 v[20:21], 0x3c439041, v16, v[20:21]
	v_mov_b32_e32 v22, v21
	s_delay_alu instid0(VALU_DEP_1) | instskip(NEXT) | instid1(VALU_DEP_1)
	v_mad_nc_u64_u32 v[22:23], 0xdb629599, v16, v[22:23]
	v_mov_b32_e32 v24, v23
	s_delay_alu instid0(VALU_DEP_1) | instskip(NEXT) | instid1(VALU_DEP_1)
	;; [unrolled: 3-line block ×3, first 2 shown]
	v_mad_nc_u64_u32 v[26:27], 0xfc2757d1, v16, v[26:27]
	v_dual_mov_b32 v29, v17 :: v_dual_mov_b32 v28, v27
	s_delay_alu instid0(VALU_DEP_1) | instskip(NEXT) | instid1(VALU_DEP_1)
	v_mad_nc_u64_u32 v[28:29], 0x4e441529, v16, v[28:29]
	v_dual_mov_b32 v30, v29 :: v_dual_add_nc_u32 v9, 0xffffff88, v9
	s_delay_alu instid0(VALU_DEP_1) | instskip(NEXT) | instid1(VALU_DEP_2)
	v_cmp_lt_u32_e32 vcc_lo, 63, v9
	v_mad_nc_u64_u32 v[16:17], 0xa2f9836e, v16, v[30:31]
	v_cndmask_b32_e64 v11, 0, 0xffffffc0, vcc_lo
	v_dual_cndmask_b32 v13, v28, v24 :: v_dual_cndmask_b32 v18, v22, v18
	s_delay_alu instid0(VALU_DEP_2) | instskip(NEXT) | instid1(VALU_DEP_1)
	v_add_nc_u32_e32 v9, v11, v9
	v_cmp_lt_u32_e64 s0, 31, v9
	v_dual_cndmask_b32 v15, v16, v26 :: v_dual_cndmask_b32 v16, v17, v28
	s_delay_alu instid0(VALU_DEP_2) | instskip(NEXT) | instid1(VALU_DEP_2)
	v_cndmask_b32_e64 v11, 0, 0xffffffe0, s0
	v_cndmask_b32_e64 v19, v15, v13, s0
	s_delay_alu instid0(VALU_DEP_2) | instskip(NEXT) | instid1(VALU_DEP_1)
	v_add_nc_u32_e32 v9, v11, v9
	v_cmp_lt_u32_e64 s1, 31, v9
	s_delay_alu instid0(VALU_DEP_1) | instskip(NEXT) | instid1(VALU_DEP_1)
	v_cndmask_b32_e64 v11, 0, 0xffffffe0, s1
	v_dual_cndmask_b32 v17, v26, v22, vcc_lo :: v_dual_add_nc_u32 v9, v11, v9
	v_cndmask_b32_e32 v11, v24, v20, vcc_lo
	s_delay_alu instid0(VALU_DEP_2) | instskip(NEXT) | instid1(VALU_DEP_2)
	v_dual_cndmask_b32 v15, v16, v15, s0 :: v_dual_cndmask_b32 v13, v13, v17, s0
	v_dual_sub_nc_u32 v16, 32, v9 :: v_dual_cndmask_b32 v17, v17, v11, s0
	s_delay_alu instid0(VALU_DEP_2) | instskip(NEXT) | instid1(VALU_DEP_3)
	v_cndmask_b32_e64 v15, v15, v19, s1
	v_cndmask_b32_e64 v19, v19, v13, s1
	v_cmp_eq_u32_e32 vcc_lo, 0, v9
	s_delay_alu instid0(VALU_DEP_4) | instskip(NEXT) | instid1(VALU_DEP_3)
	v_dual_cndmask_b32 v11, v11, v18, s0 :: v_dual_cndmask_b32 v13, v13, v17, s1
	v_alignbit_b32 v20, v15, v19, v16
	s_delay_alu instid0(VALU_DEP_2) | instskip(NEXT) | instid1(VALU_DEP_3)
	v_cndmask_b32_e64 v11, v17, v11, s1
	v_alignbit_b32 v21, v19, v13, v16
	s_delay_alu instid0(VALU_DEP_3) | instskip(NEXT) | instid1(VALU_DEP_3)
	v_cndmask_b32_e32 v9, v20, v15, vcc_lo
	v_alignbit_b32 v16, v13, v11, v16
	s_delay_alu instid0(VALU_DEP_2) | instskip(NEXT) | instid1(VALU_DEP_2)
	v_bfe_u32 v18, v9, 29, 1
	v_dual_cndmask_b32 v15, v21, v19, vcc_lo :: v_dual_cndmask_b32 v13, v16, v13, vcc_lo
	s_delay_alu instid0(VALU_DEP_2) | instskip(NEXT) | instid1(VALU_DEP_2)
	v_sub_nc_u32_e32 v19, 0, v18
	v_alignbit_b32 v17, v9, v15, 30
	s_delay_alu instid0(VALU_DEP_3) | instskip(SKIP_1) | instid1(VALU_DEP_3)
	v_alignbit_b32 v15, v15, v13, 30
	v_alignbit_b32 v11, v13, v11, 30
	v_xor_b32_e32 v17, v17, v19
	s_delay_alu instid0(VALU_DEP_3) | instskip(NEXT) | instid1(VALU_DEP_3)
	v_xor_b32_e32 v13, v15, v19
	v_dual_lshrrev_b32 v19, 29, v9 :: v_dual_bitop2_b32 v11, v11, v19 bitop3:0x14
	s_delay_alu instid0(VALU_DEP_3) | instskip(NEXT) | instid1(VALU_DEP_1)
	v_clz_i32_u32_e32 v16, v17
	v_min_u32_e32 v16, 32, v16
	s_delay_alu instid0(VALU_DEP_1) | instskip(NEXT) | instid1(VALU_DEP_1)
	v_dual_sub_nc_u32 v15, 31, v16 :: v_dual_lshlrev_b32 v20, 23, v16
	v_alignbit_b32 v17, v17, v13, v15
	v_alignbit_b32 v11, v13, v11, v15
	v_lshlrev_b32_e32 v13, 31, v19
	s_delay_alu instid0(VALU_DEP_2) | instskip(NEXT) | instid1(VALU_DEP_2)
	v_alignbit_b32 v15, v17, v11, 9
	v_or_b32_e32 v19, 0.5, v13
	v_lshrrev_b32_e32 v17, 9, v17
	v_or_b32_e32 v13, 0x33000000, v13
	s_delay_alu instid0(VALU_DEP_4) | instskip(NEXT) | instid1(VALU_DEP_4)
	v_clz_i32_u32_e32 v21, v15
	v_sub_nc_u32_e32 v19, v19, v20
	s_delay_alu instid0(VALU_DEP_2) | instskip(NEXT) | instid1(VALU_DEP_2)
	v_min_u32_e32 v20, 32, v21
	v_or_b32_e32 v17, v17, v19
	s_delay_alu instid0(VALU_DEP_2) | instskip(NEXT) | instid1(VALU_DEP_2)
	v_not_b32_e32 v19, v20
	v_mul_f32_e32 v21, 0x3fc90fda, v17
	v_add_lshl_u32 v16, v20, v16, 23
	s_delay_alu instid0(VALU_DEP_3) | instskip(NEXT) | instid1(VALU_DEP_3)
	v_alignbit_b32 v11, v15, v11, v19
	v_fma_f32 v15, 0x3fc90fda, v17, -v21
	s_delay_alu instid0(VALU_DEP_2) | instskip(NEXT) | instid1(VALU_DEP_2)
	v_dual_sub_nc_u32 v13, v13, v16 :: v_dual_lshrrev_b32 v11, 9, v11
	v_fmamk_f32 v15, v17, 0x33a22168, v15
	s_delay_alu instid0(VALU_DEP_2) | instskip(NEXT) | instid1(VALU_DEP_1)
	v_or_b32_e32 v11, v13, v11
	v_fmac_f32_e32 v15, 0x3fc90fda, v11
	s_delay_alu instid0(VALU_DEP_1) | instskip(NEXT) | instid1(VALU_DEP_1)
	v_dual_lshrrev_b32 v11, 30, v9 :: v_dual_add_f32 v9, v21, v15
	v_add_nc_u32_e32 v11, v18, v11
	s_and_not1_saveexec_b32 s0, s2
	s_cbranch_execnz .LBB22_1360
	s_branch .LBB22_1361
.LBB22_1359:
	s_and_not1_saveexec_b32 s0, s2
.LBB22_1360:
	v_mul_f32_e64 v9, 0x3f22f983, |v3|
	s_delay_alu instid0(VALU_DEP_1) | instskip(NEXT) | instid1(VALU_DEP_1)
	v_rndne_f32_e32 v11, v9
	v_fma_f32 v9, 0xbfc90fda, v11, |v3|
	s_delay_alu instid0(VALU_DEP_1) | instskip(NEXT) | instid1(VALU_DEP_1)
	v_fmamk_f32 v9, v11, 0xb3a22168, v9
	v_fmamk_f32 v9, v11, 0xa7c234c4, v9
	v_cvt_i32_f32_e32 v11, v11
.LBB22_1361:
	s_or_b32 exec_lo, exec_lo, s0
	v_div_scale_f32 v13, null, v1, v1, 0x40a00000
	v_div_scale_f32 v17, vcc_lo, 0x40a00000, v1, 0x40a00000
	s_mov_b32 s0, 0xb94c1982
	v_rcp_f32_e32 v15, v13
	v_mul_f32_e32 v24, 0x4f800000, v1
	s_mov_b32 s1, 0x37d75334
	v_dual_lshlrev_b32 v11, 30, v11 :: v_dual_bitop2_b32 v19, 1, v11 bitop3:0x40
	s_delay_alu instid0(TRANS32_DEP_1) | instskip(NEXT) | instid1(VALU_DEP_1)
	v_fma_f32 v16, -v13, v15, 1.0
	v_fmac_f32_e32 v15, v16, v15
	s_delay_alu instid0(VALU_DEP_1) | instskip(NEXT) | instid1(VALU_DEP_1)
	v_mul_f32_e32 v16, v17, v15
	v_fma_f32 v18, -v13, v16, v17
	s_delay_alu instid0(VALU_DEP_1) | instskip(NEXT) | instid1(VALU_DEP_1)
	v_dual_fmac_f32 v16, v18, v15 :: v_dual_mul_f32 v18, v9, v9
	v_fma_f32 v13, -v13, v16, v17
	s_delay_alu instid0(VALU_DEP_2) | instskip(NEXT) | instid1(VALU_DEP_2)
	v_fmaak_f32 v27, s0, v18, 0x3c0881c4
	v_div_fmas_f32 v13, v13, v15, v16
	v_dual_mul_f32 v15, v7, v7 :: v_dual_bitop2_b32 v16, 1, v8 bitop3:0x40
	s_delay_alu instid0(VALU_DEP_3) | instskip(NEXT) | instid1(VALU_DEP_3)
	v_dual_fmaak_f32 v27, v18, v27, 0xbe2aaa9d :: v_dual_lshlrev_b32 v8, 30, v8
	v_div_fixup_f32 v13, v13, v1, 0x40a00000
	s_delay_alu instid0(VALU_DEP_3)
	v_fmaak_f32 v25, s0, v15, 0x3c0881c4
	v_cmp_gt_f32_e64 s0, 0xf800000, v1
	v_cmp_eq_u32_e64 s2, 0, v16
	v_and_b32_e32 v8, 0x80000000, v8
	v_mul_f32_e32 v17, v13, v13
	v_fmaak_f32 v25, v15, v25, 0xbe2aaa9d
	v_cndmask_b32_e64 v1, v1, v24, s0
	v_xor_b32_e32 v5, v5, v3
	s_delay_alu instid0(VALU_DEP_4) | instskip(SKIP_1) | instid1(VALU_DEP_4)
	v_dual_mul_f32 v27, v18, v27 :: v_dual_fmaak_f32 v20, 0, v17, 0x3d513fd3
	v_fmaak_f32 v21, 0, v17, 0x3a15c4d9
	v_sqrt_f32_e32 v31, v1
	v_fmaak_f32 v23, 0, v17, 0x3a47c962
	v_fmaak_f32 v22, 0, v17, 0x42947983
	;; [unrolled: 1-line block ×4, first 2 shown]
	v_dual_mul_f32 v25, v15, v25 :: v_dual_fmaak_f32 v28, s1, v18, 0xbab64f3b
	v_fmac_f32_e32 v9, v9, v27
	v_add_nc_u32_e32 v36, 1, v31
	v_fmaak_f32 v23, v17, v23, 0x3d95ca45
	v_fmaak_f32 v21, v17, v21, 0x3f8d754e
	v_dual_fmaak_f32 v20, v17, v20, 0x4297a5cd :: v_dual_fmac_f32 v7, v7, v25
	v_fmaak_f32 v28, v18, v28, 0x3d2aabf7
	s_delay_alu instid0(VALU_DEP_4) | instskip(NEXT) | instid1(VALU_DEP_4)
	v_fmaak_f32 v23, v17, v23, 0x3f9047f6
	v_fmaak_f32 v21, v17, v21, 0x40a25d18
	s_delay_alu instid0(VALU_DEP_4) | instskip(NEXT) | instid1(VALU_DEP_4)
	v_fmaak_f32 v20, v17, v20, 0x43b763ca
	;; [unrolled: 3-line block ×4, first 2 shown]
	v_fma_f32 v18, v18, v28, 1.0
	s_delay_alu instid0(VALU_DEP_4) | instskip(NEXT) | instid1(VALU_DEP_4)
	v_fmaak_f32 v23, v17, v23, 0x4106c8e4
	v_fmaak_f32 v21, v17, v21, 0x40a6b6ea
	s_delay_alu instid0(VALU_DEP_4) | instskip(NEXT) | instid1(VALU_DEP_3)
	v_fmaak_f32 v20, v17, v20, 0x44155f56
	v_fmaak_f32 v23, v17, v23, 0x40a6dd51
	s_delay_alu instid0(VALU_DEP_3) | instskip(NEXT) | instid1(VALU_DEP_3)
	v_fma_f32 v21, v17, v21, 1.0
	v_fmaak_f32 v20, v17, v20, 0x4353b052
	s_delay_alu instid0(VALU_DEP_3) | instskip(NEXT) | instid1(VALU_DEP_1)
	v_fma_f32 v23, v17, v23, 1.0
	v_div_scale_f32 v34, vcc_lo, v23, v21, v23
	v_fmaak_f32 v22, v17, v22, 0x44840e5d
	s_delay_alu instid0(VALU_DEP_1) | instskip(NEXT) | instid1(VALU_DEP_1)
	v_fmaak_f32 v22, v17, v22, 0x459bd349
	v_fmaak_f32 v22, v17, v22, 0x46156947
	s_delay_alu instid0(VALU_DEP_1) | instskip(NEXT) | instid1(VALU_DEP_1)
	v_fmaak_f32 v22, v17, v22, 0x45f9e855
	v_fmaak_f32 v22, v17, v22, 0x4530a316
	s_delay_alu instid0(VALU_DEP_1) | instskip(SKIP_2) | instid1(VALU_DEP_2)
	v_fmaak_f32 v22, v17, v22, 0x43a80bfb
	v_fmaak_f32 v17, v17, v20, 0x41c9a7fa
	v_div_scale_f32 v20, null, v21, v21, v23
	v_div_scale_f32 v24, null, v22, v22, v17
	s_delay_alu instid0(VALU_DEP_2) | instskip(NEXT) | instid1(VALU_DEP_1)
	v_rcp_f32_e32 v29, v20
	v_rcp_f32_e32 v30, v24
	s_delay_alu instid0(TRANS32_DEP_2) | instskip(NEXT) | instid1(TRANS32_DEP_1)
	v_fma_f32 v32, -v20, v29, 1.0
	v_fma_f32 v33, -v24, v30, 1.0
	s_delay_alu instid0(VALU_DEP_1) | instskip(NEXT) | instid1(VALU_DEP_1)
	v_dual_fmac_f32 v29, v32, v29 :: v_dual_fmac_f32 v30, v33, v30
	v_dual_add_nc_u32 v33, -1, v31 :: v_dual_mul_f32 v35, v34, v29
	s_delay_alu instid0(VALU_DEP_1) | instskip(SKIP_2) | instid1(VALU_DEP_4)
	v_fma_f32 v25, -v20, v35, v34
	v_fmaak_f32 v26, s1, v15, 0xbab64f3b
	v_div_scale_f32 v32, s1, v17, v22, v17
	v_fma_f32 v27, -v33, v31, v1
	s_delay_alu instid0(VALU_DEP_3) | instskip(NEXT) | instid1(VALU_DEP_3)
	v_dual_fmac_f32 v35, v25, v29 :: v_dual_fmaak_f32 v26, v15, v26, 0x3d2aabf7
	v_mul_f32_e32 v37, v32, v30
	s_delay_alu instid0(VALU_DEP_2) | instskip(NEXT) | instid1(VALU_DEP_1)
	v_fmaak_f32 v26, v15, v26, 0xbf000004
	v_fma_f32 v15, v15, v26, 1.0
	s_delay_alu instid0(VALU_DEP_3) | instskip(NEXT) | instid1(VALU_DEP_1)
	v_fma_f32 v26, -v24, v37, v32
	v_dual_fmac_f32 v37, v26, v30 :: v_dual_cndmask_b32 v7, v15, v7, s2
	v_fma_f32 v15, -v20, v35, v34
	v_cmp_eq_u32_e64 s2, 0, v19
	v_fma_f32 v25, -v36, v31, v1
	s_delay_alu instid0(VALU_DEP_4)
	v_fma_f32 v16, -v24, v37, v32
	v_xor3_b32 v5, v5, v8, v7
	v_div_fmas_f32 v15, v15, v29, v35
	s_mov_b32 vcc_lo, s1
	v_cndmask_b32_e64 v9, -v9, v18, s2
	v_div_fmas_f32 v16, v16, v30, v37
	v_cmp_ge_f32_e32 vcc_lo, 0, v27
	v_cmp_lt_f32_e64 s1, 0, v25
	s_delay_alu instid0(VALU_DEP_3) | instskip(SKIP_4) | instid1(VALU_DEP_4)
	v_div_fixup_f32 v7, v16, v22, v17
	v_cndmask_b32_e32 v18, v31, v33, vcc_lo
	v_cmp_class_f32_e64 vcc_lo, v3, 0x1f8
	v_bitop3_b32 v3, v11, v9, 0x80000000 bitop3:0x6c
	v_div_fixup_f32 v11, v15, v21, v23
	v_dual_mul_f32 v7, v13, v7 :: v_dual_cndmask_b32 v8, v18, v36, s1
	v_cndmask_b32_e32 v5, 0x7fc00000, v5, vcc_lo
	s_delay_alu instid0(VALU_DEP_4) | instskip(SKIP_1) | instid1(VALU_DEP_4)
	v_cndmask_b32_e32 v3, 0x7fc00000, v3, vcc_lo
	v_cmp_class_f32_e64 vcc_lo, v1, 0x260
	v_mul_f32_e32 v9, 0x37800000, v8
	s_delay_alu instid0(VALU_DEP_1) | instskip(NEXT) | instid1(VALU_DEP_1)
	v_dual_mul_f32 v3, v7, v3 :: v_dual_cndmask_b32 v7, v8, v9, s0
	v_fmac_f32_e32 v3, v11, v5
	s_delay_alu instid0(VALU_DEP_2) | instskip(NEXT) | instid1(VALU_DEP_2)
	v_cndmask_b32_e32 v1, v7, v1, vcc_lo
	v_mul_f32_e32 v3, 0x3f4c422a, v3
	s_delay_alu instid0(VALU_DEP_1) | instskip(NEXT) | instid1(VALU_DEP_1)
	v_div_scale_f32 v5, null, v1, v1, v3
	v_rcp_f32_e32 v7, v5
	v_nop
	s_delay_alu instid0(TRANS32_DEP_1) | instskip(NEXT) | instid1(VALU_DEP_1)
	v_fma_f32 v8, -v5, v7, 1.0
	v_fmac_f32_e32 v7, v8, v7
	v_div_scale_f32 v8, vcc_lo, v3, v1, v3
	s_delay_alu instid0(VALU_DEP_1) | instskip(NEXT) | instid1(VALU_DEP_1)
	v_mul_f32_e32 v9, v8, v7
	v_fma_f32 v11, -v5, v9, v8
	s_delay_alu instid0(VALU_DEP_1) | instskip(NEXT) | instid1(VALU_DEP_1)
	v_fmac_f32_e32 v9, v11, v7
	v_fma_f32 v5, -v5, v9, v8
	s_delay_alu instid0(VALU_DEP_1) | instskip(NEXT) | instid1(VALU_DEP_1)
	v_div_fmas_f32 v5, v5, v7, v9
	v_div_fixup_f32 v8, v5, v1, v3
.LBB22_1362:
	s_or_b32 exec_lo, exec_lo, s11
	v_mov_b32_e32 v11, 0
	s_and_b32 s10, 0xffff, s10
	s_delay_alu instid0(SALU_CYCLE_1) | instskip(NEXT) | instid1(VALU_DEP_1)
	s_cmp_lt_i32 s10, 11
	v_add_nc_u64_e32 v[10:11], s[6:7], v[10:11]
	s_cbranch_scc1 .LBB22_1369
; %bb.1363:
	s_cmp_gt_i32 s10, 25
	s_mov_b32 s1, 0
	s_cbranch_scc0 .LBB22_1371
; %bb.1364:
	s_cmp_gt_i32 s10, 28
	s_cbranch_scc0 .LBB22_1372
; %bb.1365:
	s_cmp_gt_i32 s10, 43
	;; [unrolled: 3-line block ×3, first 2 shown]
	s_cbranch_scc0 .LBB22_1375
; %bb.1367:
	s_cmp_eq_u32 s10, 46
	s_mov_b32 s11, 0
	s_cbranch_scc0 .LBB22_1378
; %bb.1368:
	global_load_b32 v1, v[10:11], off
	s_mov_b32 s0, 0
	s_mov_b32 s2, -1
	s_wait_loadcnt 0x0
	v_lshlrev_b32_e32 v1, 16, v1
	s_branch .LBB22_1380
.LBB22_1369:
	s_mov_b32 s2, 0
                                        ; implicit-def: $vgpr1
	s_cbranch_execnz .LBB22_1445
.LBB22_1370:
	s_and_not1_b32 vcc_lo, exec_lo, s2
	s_cbranch_vccnz .LBB22_1794
	s_branch .LBB22_1492
.LBB22_1371:
	s_mov_b32 s2, 0
	s_mov_b32 s0, 0
                                        ; implicit-def: $vgpr1
	s_cbranch_execnz .LBB22_1409
	s_branch .LBB22_1441
.LBB22_1372:
	s_mov_b32 s11, -1
	s_mov_b32 s2, 0
	s_mov_b32 s0, 0
                                        ; implicit-def: $vgpr1
	s_branch .LBB22_1390
.LBB22_1373:
	s_mov_b32 s11, -1
	s_mov_b32 s2, 0
	s_mov_b32 s0, 0
                                        ; implicit-def: $vgpr1
	s_branch .LBB22_1385
.LBB22_1374:
	s_or_b32 s3, s8, exec_lo
	s_trap 2
	s_cbranch_execz .LBB22_1299
	s_branch .LBB22_1300
.LBB22_1375:
	s_mov_b32 s11, -1
	s_mov_b32 s2, 0
	s_mov_b32 s0, 0
	s_branch .LBB22_1379
.LBB22_1376:
	s_and_not1_saveexec_b32 s8, s8
	s_cbranch_execz .LBB22_1085
.LBB22_1377:
	v_add_f32_e64 v1, 0x42800000, |v0|
	s_and_not1_b32 s7, s7, exec_lo
	s_delay_alu instid0(VALU_DEP_1) | instskip(NEXT) | instid1(VALU_DEP_1)
	v_and_b32_e32 v1, 0xff, v1
	v_cmp_ne_u32_e32 vcc_lo, 0, v1
	s_and_b32 s9, vcc_lo, exec_lo
	s_delay_alu instid0(SALU_CYCLE_1)
	s_or_b32 s7, s7, s9
	s_or_b32 exec_lo, exec_lo, s8
	v_mov_b32_e32 v2, 0
	s_and_saveexec_b32 s8, s7
	s_cbranch_execnz .LBB22_1086
	s_branch .LBB22_1087
.LBB22_1378:
	s_mov_b32 s0, -1
	s_mov_b32 s2, 0
.LBB22_1379:
                                        ; implicit-def: $vgpr1
.LBB22_1380:
	s_and_b32 vcc_lo, exec_lo, s11
	s_cbranch_vccz .LBB22_1384
; %bb.1381:
	s_cmp_eq_u32 s10, 44
	s_cbranch_scc0 .LBB22_1383
; %bb.1382:
	global_load_u8 v1, v[10:11], off
	s_mov_b32 s0, 0
	s_mov_b32 s2, -1
	s_wait_loadcnt 0x0
	v_lshlrev_b32_e32 v3, 23, v1
	v_cmp_ne_u32_e32 vcc_lo, 0xff, v1
	s_delay_alu instid0(VALU_DEP_2) | instskip(SKIP_1) | instid1(VALU_DEP_2)
	v_cndmask_b32_e32 v3, 0x7f800001, v3, vcc_lo
	v_cmp_ne_u32_e32 vcc_lo, 0, v1
	v_cndmask_b32_e32 v1, 0x400000, v3, vcc_lo
	s_branch .LBB22_1384
.LBB22_1383:
	s_mov_b32 s0, -1
                                        ; implicit-def: $vgpr1
.LBB22_1384:
	s_mov_b32 s11, 0
.LBB22_1385:
	s_delay_alu instid0(SALU_CYCLE_1)
	s_and_b32 vcc_lo, exec_lo, s11
	s_cbranch_vccz .LBB22_1389
; %bb.1386:
	s_cmp_eq_u32 s10, 29
	s_cbranch_scc0 .LBB22_1388
; %bb.1387:
	global_load_b64 v[16:17], v[10:11], off
	s_mov_b32 s0, 0
	s_mov_b32 s2, -1
	s_mov_b32 s11, 0
	s_wait_loadcnt 0x0
	v_clz_i32_u32_e32 v1, v17
	s_delay_alu instid0(VALU_DEP_1) | instskip(NEXT) | instid1(VALU_DEP_1)
	v_min_u32_e32 v1, 32, v1
	v_lshlrev_b64_e32 v[16:17], v1, v[16:17]
	v_sub_nc_u32_e32 v1, 32, v1
	s_delay_alu instid0(VALU_DEP_2) | instskip(NEXT) | instid1(VALU_DEP_1)
	v_min_u32_e32 v3, 1, v16
	v_or_b32_e32 v3, v17, v3
	s_delay_alu instid0(VALU_DEP_1) | instskip(NEXT) | instid1(VALU_DEP_1)
	v_cvt_f32_u32_e32 v3, v3
	v_ldexp_f32 v1, v3, v1
	s_branch .LBB22_1390
.LBB22_1388:
	s_mov_b32 s0, -1
                                        ; implicit-def: $vgpr1
.LBB22_1389:
	s_mov_b32 s11, 0
.LBB22_1390:
	s_delay_alu instid0(SALU_CYCLE_1)
	s_and_b32 vcc_lo, exec_lo, s11
	s_cbranch_vccz .LBB22_1408
; %bb.1391:
	s_cmp_lt_i32 s10, 27
	s_cbranch_scc1 .LBB22_1394
; %bb.1392:
	s_cmp_gt_i32 s10, 27
	s_cbranch_scc0 .LBB22_1395
; %bb.1393:
	global_load_b32 v1, v[10:11], off
	s_mov_b32 s2, 0
	s_wait_loadcnt 0x0
	v_cvt_f32_u32_e32 v1, v1
	s_branch .LBB22_1396
.LBB22_1394:
	s_mov_b32 s2, -1
                                        ; implicit-def: $vgpr1
	s_branch .LBB22_1399
.LBB22_1395:
	s_mov_b32 s2, -1
                                        ; implicit-def: $vgpr1
.LBB22_1396:
	s_delay_alu instid0(SALU_CYCLE_1)
	s_and_not1_b32 vcc_lo, exec_lo, s2
	s_cbranch_vccnz .LBB22_1398
; %bb.1397:
	global_load_u16 v1, v[10:11], off
	s_wait_loadcnt 0x0
	v_cvt_f32_u32_e32 v1, v1
.LBB22_1398:
	s_mov_b32 s2, 0
.LBB22_1399:
	s_delay_alu instid0(SALU_CYCLE_1)
	s_and_not1_b32 vcc_lo, exec_lo, s2
	s_cbranch_vccnz .LBB22_1407
; %bb.1400:
	global_load_u8 v3, v[10:11], off
	s_mov_b32 s2, 0
	s_mov_b32 s11, exec_lo
	s_wait_loadcnt 0x0
	v_cmpx_lt_i16_e32 0x7f, v3
	s_xor_b32 s11, exec_lo, s11
	s_cbranch_execz .LBB22_1420
; %bb.1401:
	s_mov_b32 s2, -1
	s_mov_b32 s12, exec_lo
	v_cmpx_eq_u16_e32 0x80, v3
; %bb.1402:
	s_xor_b32 s2, exec_lo, -1
; %bb.1403:
	s_or_b32 exec_lo, exec_lo, s12
	s_delay_alu instid0(SALU_CYCLE_1)
	s_and_b32 s2, s2, exec_lo
	s_or_saveexec_b32 s11, s11
	v_mov_b32_e32 v1, 0x7f800001
	s_xor_b32 exec_lo, exec_lo, s11
	s_cbranch_execnz .LBB22_1421
.LBB22_1404:
	s_or_b32 exec_lo, exec_lo, s11
	s_and_saveexec_b32 s11, s2
	s_cbranch_execz .LBB22_1406
.LBB22_1405:
	v_and_b32_e32 v1, 0xffff, v3
	s_delay_alu instid0(VALU_DEP_1) | instskip(SKIP_1) | instid1(VALU_DEP_2)
	v_and_b32_e32 v5, 7, v1
	v_bfe_u32 v13, v1, 3, 4
	v_clz_i32_u32_e32 v7, v5
	s_delay_alu instid0(VALU_DEP_2) | instskip(NEXT) | instid1(VALU_DEP_2)
	v_cmp_eq_u32_e32 vcc_lo, 0, v13
	v_min_u32_e32 v7, 32, v7
	s_delay_alu instid0(VALU_DEP_1) | instskip(NEXT) | instid1(VALU_DEP_1)
	v_subrev_nc_u32_e32 v9, 28, v7
	v_dual_lshlrev_b32 v1, v9, v1 :: v_dual_sub_nc_u32 v7, 29, v7
	s_delay_alu instid0(VALU_DEP_1) | instskip(NEXT) | instid1(VALU_DEP_1)
	v_dual_lshlrev_b32 v3, 24, v3 :: v_dual_bitop2_b32 v1, 7, v1 bitop3:0x40
	v_cndmask_b32_e32 v1, v5, v1, vcc_lo
	s_delay_alu instid0(VALU_DEP_3) | instskip(NEXT) | instid1(VALU_DEP_3)
	v_cndmask_b32_e32 v7, v13, v7, vcc_lo
	v_and_b32_e32 v3, 0x80000000, v3
	s_delay_alu instid0(VALU_DEP_3) | instskip(NEXT) | instid1(VALU_DEP_3)
	v_lshlrev_b32_e32 v1, 20, v1
	v_lshl_add_u32 v5, v7, 23, 0x3b800000
	s_delay_alu instid0(VALU_DEP_1)
	v_or3_b32 v1, v3, v5, v1
.LBB22_1406:
	s_or_b32 exec_lo, exec_lo, s11
.LBB22_1407:
	s_mov_b32 s2, -1
.LBB22_1408:
	s_branch .LBB22_1441
.LBB22_1409:
	s_cmp_gt_i32 s10, 22
	s_cbranch_scc0 .LBB22_1419
; %bb.1410:
	s_cmp_lt_i32 s10, 24
	s_cbranch_scc1 .LBB22_1422
; %bb.1411:
	s_cmp_gt_i32 s10, 24
	s_cbranch_scc0 .LBB22_1423
; %bb.1412:
	global_load_u8 v3, v[10:11], off
	s_mov_b32 s2, exec_lo
	s_wait_loadcnt 0x0
	v_cmpx_lt_i16_e32 0x7f, v3
	s_xor_b32 s2, exec_lo, s2
	s_cbranch_execz .LBB22_1435
; %bb.1413:
	s_mov_b32 s1, -1
	s_mov_b32 s11, exec_lo
	v_cmpx_eq_u16_e32 0x80, v3
; %bb.1414:
	s_xor_b32 s1, exec_lo, -1
; %bb.1415:
	s_or_b32 exec_lo, exec_lo, s11
	s_delay_alu instid0(SALU_CYCLE_1)
	s_and_b32 s1, s1, exec_lo
	s_or_saveexec_b32 s2, s2
	v_mov_b32_e32 v1, 0x7f800001
	s_xor_b32 exec_lo, exec_lo, s2
	s_cbranch_execnz .LBB22_1436
.LBB22_1416:
	s_or_b32 exec_lo, exec_lo, s2
	s_and_saveexec_b32 s2, s1
	s_cbranch_execz .LBB22_1418
.LBB22_1417:
	v_and_b32_e32 v1, 0xffff, v3
	s_delay_alu instid0(VALU_DEP_1) | instskip(SKIP_1) | instid1(VALU_DEP_2)
	v_and_b32_e32 v5, 3, v1
	v_bfe_u32 v13, v1, 2, 5
	v_clz_i32_u32_e32 v7, v5
	s_delay_alu instid0(VALU_DEP_2) | instskip(NEXT) | instid1(VALU_DEP_2)
	v_cmp_eq_u32_e32 vcc_lo, 0, v13
	v_min_u32_e32 v7, 32, v7
	s_delay_alu instid0(VALU_DEP_1) | instskip(NEXT) | instid1(VALU_DEP_1)
	v_subrev_nc_u32_e32 v9, 29, v7
	v_dual_lshlrev_b32 v1, v9, v1 :: v_dual_sub_nc_u32 v7, 30, v7
	s_delay_alu instid0(VALU_DEP_1) | instskip(NEXT) | instid1(VALU_DEP_1)
	v_dual_lshlrev_b32 v3, 24, v3 :: v_dual_bitop2_b32 v1, 3, v1 bitop3:0x40
	v_cndmask_b32_e32 v1, v5, v1, vcc_lo
	s_delay_alu instid0(VALU_DEP_3) | instskip(NEXT) | instid1(VALU_DEP_3)
	v_cndmask_b32_e32 v7, v13, v7, vcc_lo
	v_and_b32_e32 v3, 0x80000000, v3
	s_delay_alu instid0(VALU_DEP_3) | instskip(NEXT) | instid1(VALU_DEP_3)
	v_lshlrev_b32_e32 v1, 21, v1
	v_lshl_add_u32 v5, v7, 23, 0x37800000
	s_delay_alu instid0(VALU_DEP_1)
	v_or3_b32 v1, v3, v5, v1
.LBB22_1418:
	s_or_b32 exec_lo, exec_lo, s2
	s_mov_b32 s1, 0
	s_branch .LBB22_1424
.LBB22_1419:
	s_mov_b32 s1, -1
                                        ; implicit-def: $vgpr1
	s_branch .LBB22_1430
.LBB22_1420:
	s_or_saveexec_b32 s11, s11
	v_mov_b32_e32 v1, 0x7f800001
	s_xor_b32 exec_lo, exec_lo, s11
	s_cbranch_execz .LBB22_1404
.LBB22_1421:
	v_cmp_ne_u16_e32 vcc_lo, 0, v3
	v_mov_b32_e32 v1, 0
	s_and_not1_b32 s2, s2, exec_lo
	s_and_b32 s12, vcc_lo, exec_lo
	s_delay_alu instid0(SALU_CYCLE_1)
	s_or_b32 s2, s2, s12
	s_or_b32 exec_lo, exec_lo, s11
	s_and_saveexec_b32 s11, s2
	s_cbranch_execnz .LBB22_1405
	s_branch .LBB22_1406
.LBB22_1422:
	s_mov_b32 s1, -1
                                        ; implicit-def: $vgpr1
	s_branch .LBB22_1427
.LBB22_1423:
	s_mov_b32 s1, -1
                                        ; implicit-def: $vgpr1
.LBB22_1424:
	s_delay_alu instid0(SALU_CYCLE_1)
	s_and_b32 vcc_lo, exec_lo, s1
	s_cbranch_vccz .LBB22_1426
; %bb.1425:
	global_load_u8 v1, v[10:11], off
	s_wait_loadcnt 0x0
	v_lshlrev_b32_e32 v1, 24, v1
	s_delay_alu instid0(VALU_DEP_1) | instskip(NEXT) | instid1(VALU_DEP_1)
	v_and_b32_e32 v3, 0x7f000000, v1
	v_clz_i32_u32_e32 v5, v3
	v_add_nc_u32_e32 v9, 0x1000000, v3
	v_cmp_ne_u32_e32 vcc_lo, 0, v3
	s_delay_alu instid0(VALU_DEP_3) | instskip(NEXT) | instid1(VALU_DEP_1)
	v_min_u32_e32 v5, 32, v5
	v_sub_nc_u32_e64 v5, v5, 4 clamp
	s_delay_alu instid0(VALU_DEP_1) | instskip(NEXT) | instid1(VALU_DEP_1)
	v_dual_lshlrev_b32 v7, v5, v3 :: v_dual_lshlrev_b32 v5, 23, v5
	v_lshrrev_b32_e32 v7, 4, v7
	s_delay_alu instid0(VALU_DEP_1) | instskip(SKIP_1) | instid1(VALU_DEP_2)
	v_sub_nc_u32_e32 v5, v7, v5
	v_ashrrev_i32_e32 v7, 8, v9
	v_add_nc_u32_e32 v5, 0x3c000000, v5
	s_delay_alu instid0(VALU_DEP_1) | instskip(NEXT) | instid1(VALU_DEP_1)
	v_and_or_b32 v5, 0x7f800000, v7, v5
	v_cndmask_b32_e32 v3, 0, v5, vcc_lo
	s_delay_alu instid0(VALU_DEP_1)
	v_and_or_b32 v1, 0x80000000, v1, v3
.LBB22_1426:
	s_mov_b32 s1, 0
.LBB22_1427:
	s_delay_alu instid0(SALU_CYCLE_1)
	s_and_not1_b32 vcc_lo, exec_lo, s1
	s_cbranch_vccnz .LBB22_1429
; %bb.1428:
	global_load_u8 v1, v[10:11], off
	s_wait_loadcnt 0x0
	v_lshlrev_b32_e32 v3, 25, v1
	v_lshlrev_b16 v1, 8, v1
	s_delay_alu instid0(VALU_DEP_1) | instskip(SKIP_1) | instid1(VALU_DEP_2)
	v_and_or_b32 v7, 0x7f00, v1, 0.5
	v_bfe_i32 v1, v1, 0, 16
	v_add_f32_e32 v7, -0.5, v7
	v_lshrrev_b32_e32 v5, 4, v3
	v_cmp_gt_u32_e32 vcc_lo, 0x8000000, v3
	s_delay_alu instid0(VALU_DEP_2) | instskip(NEXT) | instid1(VALU_DEP_1)
	v_or_b32_e32 v5, 0x70000000, v5
	v_mul_f32_e32 v5, 0x7800000, v5
	s_delay_alu instid0(VALU_DEP_1) | instskip(NEXT) | instid1(VALU_DEP_1)
	v_cndmask_b32_e32 v3, v5, v7, vcc_lo
	v_and_or_b32 v1, 0x80000000, v1, v3
.LBB22_1429:
	s_mov_b32 s1, 0
	s_mov_b32 s2, -1
.LBB22_1430:
	s_and_not1_b32 vcc_lo, exec_lo, s1
	s_mov_b32 s1, 0
	s_cbranch_vccnz .LBB22_1441
; %bb.1431:
	s_cmp_gt_i32 s10, 14
	s_cbranch_scc0 .LBB22_1434
; %bb.1432:
	s_cmp_eq_u32 s10, 15
	s_cbranch_scc0 .LBB22_1437
; %bb.1433:
	global_load_u16 v1, v[10:11], off
	s_mov_b32 s0, 0
	s_mov_b32 s2, -1
	s_wait_loadcnt 0x0
	v_lshlrev_b32_e32 v1, 16, v1
	s_branch .LBB22_1439
.LBB22_1434:
	s_mov_b32 s1, -1
	s_branch .LBB22_1438
.LBB22_1435:
	s_or_saveexec_b32 s2, s2
	v_mov_b32_e32 v1, 0x7f800001
	s_xor_b32 exec_lo, exec_lo, s2
	s_cbranch_execz .LBB22_1416
.LBB22_1436:
	v_cmp_ne_u16_e32 vcc_lo, 0, v3
	v_mov_b32_e32 v1, 0
	s_and_not1_b32 s1, s1, exec_lo
	s_and_b32 s11, vcc_lo, exec_lo
	s_delay_alu instid0(SALU_CYCLE_1)
	s_or_b32 s1, s1, s11
	s_or_b32 exec_lo, exec_lo, s2
	s_and_saveexec_b32 s2, s1
	s_cbranch_execnz .LBB22_1417
	s_branch .LBB22_1418
.LBB22_1437:
	s_mov_b32 s0, -1
.LBB22_1438:
                                        ; implicit-def: $vgpr1
.LBB22_1439:
	s_and_b32 vcc_lo, exec_lo, s1
	s_mov_b32 s1, 0
	s_cbranch_vccz .LBB22_1441
; %bb.1440:
	s_cmp_lg_u32 s10, 11
	s_mov_b32 s1, -1
	s_cselect_b32 s0, -1, 0
.LBB22_1441:
	s_delay_alu instid0(SALU_CYCLE_1)
	s_and_b32 vcc_lo, exec_lo, s0
	s_cbranch_vccnz .LBB22_1520
; %bb.1442:
	s_and_not1_b32 vcc_lo, exec_lo, s1
	s_cbranch_vccnz .LBB22_1444
.LBB22_1443:
	global_load_u8 v1, v[10:11], off
	s_mov_b32 s2, -1
	s_wait_loadcnt 0x0
	v_cmp_ne_u16_e32 vcc_lo, 0, v1
	v_cndmask_b32_e64 v1, 0, 1.0, vcc_lo
.LBB22_1444:
	s_branch .LBB22_1370
.LBB22_1445:
	s_cmp_lt_i32 s10, 5
	s_cbranch_scc1 .LBB22_1450
; %bb.1446:
	s_cmp_lt_i32 s10, 8
	s_cbranch_scc1 .LBB22_1451
; %bb.1447:
	;; [unrolled: 3-line block ×3, first 2 shown]
	s_cmp_gt_i32 s10, 9
	s_cbranch_scc0 .LBB22_1453
; %bb.1449:
	global_load_b64 v[16:17], v[10:11], off
	s_mov_b32 s0, 0
	s_wait_loadcnt 0x0
	v_cvt_f32_f64_e32 v1, v[16:17]
	s_branch .LBB22_1454
.LBB22_1450:
                                        ; implicit-def: $vgpr1
	s_branch .LBB22_1472
.LBB22_1451:
	s_mov_b32 s0, -1
                                        ; implicit-def: $vgpr1
	s_branch .LBB22_1460
.LBB22_1452:
	s_mov_b32 s0, -1
                                        ; implicit-def: $vgpr1
	s_branch .LBB22_1457
.LBB22_1453:
	s_mov_b32 s0, -1
                                        ; implicit-def: $vgpr1
.LBB22_1454:
	s_delay_alu instid0(SALU_CYCLE_1)
	s_and_not1_b32 vcc_lo, exec_lo, s0
	s_cbranch_vccnz .LBB22_1456
; %bb.1455:
	global_load_b32 v1, v[10:11], off
.LBB22_1456:
	s_mov_b32 s0, 0
.LBB22_1457:
	s_delay_alu instid0(SALU_CYCLE_1)
	s_and_not1_b32 vcc_lo, exec_lo, s0
	s_cbranch_vccnz .LBB22_1459
; %bb.1458:
	s_wait_loadcnt 0x0
	global_load_b32 v1, v[10:11], off
	s_wait_loadcnt 0x0
	v_cvt_f32_f16_e32 v1, v1
.LBB22_1459:
	s_mov_b32 s0, 0
.LBB22_1460:
	s_delay_alu instid0(SALU_CYCLE_1)
	s_and_not1_b32 vcc_lo, exec_lo, s0
	s_cbranch_vccnz .LBB22_1471
; %bb.1461:
	s_cmp_lt_i32 s10, 6
	s_cbranch_scc1 .LBB22_1464
; %bb.1462:
	s_cmp_gt_i32 s10, 6
	s_cbranch_scc0 .LBB22_1465
; %bb.1463:
	global_load_b64 v[16:17], v[10:11], off
	s_mov_b32 s0, 0
	s_wait_loadcnt 0x0
	v_cvt_f32_f64_e32 v1, v[16:17]
	s_branch .LBB22_1466
.LBB22_1464:
	s_mov_b32 s0, -1
                                        ; implicit-def: $vgpr1
	s_branch .LBB22_1469
.LBB22_1465:
	s_mov_b32 s0, -1
                                        ; implicit-def: $vgpr1
.LBB22_1466:
	s_delay_alu instid0(SALU_CYCLE_1)
	s_and_not1_b32 vcc_lo, exec_lo, s0
	s_cbranch_vccnz .LBB22_1468
; %bb.1467:
	s_wait_loadcnt 0x0
	global_load_b32 v1, v[10:11], off
.LBB22_1468:
	s_mov_b32 s0, 0
.LBB22_1469:
	s_delay_alu instid0(SALU_CYCLE_1)
	s_and_not1_b32 vcc_lo, exec_lo, s0
	s_cbranch_vccnz .LBB22_1471
; %bb.1470:
	s_wait_loadcnt 0x0
	global_load_u16 v1, v[10:11], off
	s_wait_loadcnt 0x0
	v_cvt_f32_f16_e32 v1, v1
.LBB22_1471:
	s_cbranch_execnz .LBB22_1491
.LBB22_1472:
	s_cmp_lt_i32 s10, 2
	s_cbranch_scc1 .LBB22_1476
; %bb.1473:
	s_cmp_lt_i32 s10, 3
	s_cbranch_scc1 .LBB22_1477
; %bb.1474:
	s_cmp_gt_i32 s10, 3
	s_cbranch_scc0 .LBB22_1478
; %bb.1475:
	global_load_b64 v[16:17], v[10:11], off
	s_mov_b32 s0, 0
	s_wait_loadcnt 0x0
	v_xor_b32_e32 v1, v16, v17
	v_cls_i32_e32 v3, v17
	s_delay_alu instid0(VALU_DEP_2) | instskip(NEXT) | instid1(VALU_DEP_1)
	v_ashrrev_i32_e32 v1, 31, v1
	v_add_nc_u32_e32 v1, 32, v1
	s_delay_alu instid0(VALU_DEP_1) | instskip(NEXT) | instid1(VALU_DEP_1)
	v_add_min_u32_e64 v1, v3, -1, v1
	v_lshlrev_b64_e32 v[16:17], v1, v[16:17]
	v_sub_nc_u32_e32 v1, 32, v1
	s_delay_alu instid0(VALU_DEP_2) | instskip(NEXT) | instid1(VALU_DEP_1)
	v_min_u32_e32 v3, 1, v16
	v_or_b32_e32 v3, v17, v3
	s_delay_alu instid0(VALU_DEP_1) | instskip(NEXT) | instid1(VALU_DEP_1)
	v_cvt_f32_i32_e32 v3, v3
	v_ldexp_f32 v1, v3, v1
	s_branch .LBB22_1479
.LBB22_1476:
	s_mov_b32 s0, -1
                                        ; implicit-def: $vgpr1
	s_branch .LBB22_1485
.LBB22_1477:
	s_mov_b32 s0, -1
                                        ; implicit-def: $vgpr1
	s_branch .LBB22_1482
.LBB22_1478:
	s_mov_b32 s0, -1
                                        ; implicit-def: $vgpr1
.LBB22_1479:
	s_delay_alu instid0(SALU_CYCLE_1)
	s_and_not1_b32 vcc_lo, exec_lo, s0
	s_cbranch_vccnz .LBB22_1481
; %bb.1480:
	s_wait_loadcnt 0x0
	global_load_b32 v1, v[10:11], off
	s_wait_loadcnt 0x0
	v_cvt_f32_i32_e32 v1, v1
.LBB22_1481:
	s_mov_b32 s0, 0
.LBB22_1482:
	s_delay_alu instid0(SALU_CYCLE_1)
	s_and_not1_b32 vcc_lo, exec_lo, s0
	s_cbranch_vccnz .LBB22_1484
; %bb.1483:
	s_wait_loadcnt 0x0
	global_load_i16 v1, v[10:11], off
	s_wait_loadcnt 0x0
	v_cvt_f32_i32_e32 v1, v1
.LBB22_1484:
	s_mov_b32 s0, 0
.LBB22_1485:
	s_delay_alu instid0(SALU_CYCLE_1)
	s_and_not1_b32 vcc_lo, exec_lo, s0
	s_cbranch_vccnz .LBB22_1491
; %bb.1486:
	s_cmp_gt_i32 s10, 0
	s_mov_b32 s0, 0
	s_cbranch_scc0 .LBB22_1488
; %bb.1487:
	s_wait_loadcnt 0x0
	global_load_i8 v1, v[10:11], off
	s_wait_loadcnt 0x0
	v_cvt_f32_i32_e32 v1, v1
	s_branch .LBB22_1489
.LBB22_1488:
	s_mov_b32 s0, -1
                                        ; implicit-def: $vgpr1
.LBB22_1489:
	s_delay_alu instid0(SALU_CYCLE_1)
	s_and_not1_b32 vcc_lo, exec_lo, s0
	s_cbranch_vccnz .LBB22_1491
; %bb.1490:
	s_wait_loadcnt 0x0
	global_load_u8 v1, v[10:11], off
	s_wait_loadcnt 0x0
	v_cvt_f32_ubyte0_e32 v1, v1
.LBB22_1491:
.LBB22_1492:
                                        ; implicit-def: $vgpr10
	s_mov_b32 s0, exec_lo
	s_wait_loadcnt 0x0
	s_delay_alu instid0(VALU_DEP_1)
	v_cmpx_ge_f32_e32 0x40a00000, v1
	s_xor_b32 s11, exec_lo, s0
	s_cbranch_execz .LBB22_1498
; %bb.1493:
	v_mov_b32_e32 v10, 0xff800000
	s_mov_b32 s12, exec_lo
	v_cmpx_neq_f32_e32 0, v1
	s_cbranch_execz .LBB22_1497
; %bb.1494:
	v_mov_b32_e32 v10, 0x7fc00000
	s_mov_b32 s13, exec_lo
	v_cmpx_nge_f32_e32 0, v1
	s_cbranch_execz .LBB22_1496
; %bb.1495:
	v_mul_f32_e32 v10, v1, v1
	v_mov_b64_e32 v[16:17], 0x4c8c277d4e9695f3
	v_mov_b64_e32 v[20:21], 0x508bc61dd316b96b
	;; [unrolled: 1-line block ×4, first 2 shown]
	v_dual_fmaak_f32 v3, 0, v10, 0x4414934d :: v_dual_mul_f32 v18, 0, v10
	v_mov_b64_e32 v[26:27], 0x5832585252d295d0
	v_cmp_gt_f32_e64 s0, 0x800000, v1
	v_div_scale_f32 v13, null, v1, v1, -1.0
	s_delay_alu instid0(VALU_DEP_4) | instskip(NEXT) | instid1(VALU_DEP_3)
	v_fmaak_f32 v3, v10, v3, 0x48660b06
	v_cndmask_b32_e64 v7, 0, 32, s0
	s_delay_alu instid0(VALU_DEP_2) | instskip(NEXT) | instid1(VALU_DEP_2)
	v_mul_f32_e32 v19, v10, v3
	v_ldexp_f32 v7, v1, v7
	s_delay_alu instid0(VALU_DEP_2) | instskip(NEXT) | instid1(VALU_DEP_2)
	v_pk_add_f32 v[16:17], v[18:19], v[16:17]
	v_log_f32_e32 v7, v7
	s_delay_alu instid0(VALU_DEP_1) | instskip(SKIP_1) | instid1(VALU_DEP_2)
	v_pk_fma_f32 v[16:17], v[10:11], v[16:17], v[20:21] op_sel_hi:[0,1,1]
	v_mov_b64_e32 v[20:21], 0x580d1937d9e700d2
	v_pk_fma_f32 v[16:17], v[10:11], v[16:17], v[22:23] op_sel_hi:[0,1,1]
	v_mov_b64_e32 v[22:23], 0x5b741f1e5c33cd68
	s_delay_alu instid0(VALU_DEP_2) | instskip(SKIP_1) | instid1(VALU_DEP_2)
	v_pk_fma_f32 v[16:17], v[10:11], v[16:17], v[20:21] op_sel_hi:[0,1,1]
	v_mov_b64_e32 v[20:21], 0x5e5c878ddd2cf20b
	v_pk_fma_f32 v[16:17], v[10:11], v[16:17], v[22:23] op_sel_hi:[0,1,1]
	s_delay_alu instid0(VALU_DEP_1) | instskip(NEXT) | instid1(VALU_DEP_1)
	v_pk_fma_f32 v[16:17], v[10:11], v[16:17], v[20:21] op_sel_hi:[0,1,1]
	v_div_scale_f32 v21, vcc_lo, v16, v17, v16
	v_fmaak_f32 v5, 0, v10, 0x441b3589
	s_delay_alu instid0(VALU_DEP_1) | instskip(NEXT) | instid1(VALU_DEP_1)
	v_fmaak_f32 v5, v10, v5, 0x487af6d0
	v_fmaak_f32 v3, v10, v5, 0x4c9f4aa7
	s_delay_alu instid0(VALU_DEP_1) | instskip(NEXT) | instid1(VALU_DEP_1)
	v_fmaak_f32 v3, v10, v3, 0x50a509fc
	v_mul_f32_e32 v19, v10, v3
	v_div_scale_f32 v3, null, v17, v17, v16
	s_delay_alu instid0(VALU_DEP_2) | instskip(SKIP_1) | instid1(VALU_DEP_3)
	v_pk_add_f32 v[18:19], v[18:19], v[24:25]
	v_mov_b64_e32 v[24:25], 0x5b9f0600d6845497
	v_rcp_f32_e32 v9, v3
	s_delay_alu instid0(VALU_DEP_2) | instskip(SKIP_1) | instid1(TRANS32_DEP_1)
	v_pk_fma_f32 v[18:19], v[10:11], v[18:19], v[26:27] op_sel_hi:[0,1,1]
	v_mov_b64_e32 v[26:27], 0x5e93bcac59515a15
	v_fma_f32 v15, -v3, v9, 1.0
	s_delay_alu instid0(VALU_DEP_3) | instskip(NEXT) | instid1(VALU_DEP_2)
	v_pk_fma_f32 v[18:19], v[10:11], v[18:19], v[24:25] op_sel_hi:[0,1,1]
	v_fmac_f32_e32 v9, v15, v9
	s_delay_alu instid0(VALU_DEP_2) | instskip(SKIP_2) | instid1(VALU_DEP_2)
	v_pk_fma_f32 v[18:19], v[10:11], v[18:19], v[26:27] op_sel_hi:[0,1,1]
	v_rcp_f32_e32 v15, v13
	v_div_scale_f32 v27, s2, -1.0, v1, -1.0
	v_div_scale_f32 v5, null, v19, v19, v18
	v_div_scale_f32 v22, s1, v18, v19, v18
	s_delay_alu instid0(TRANS32_DEP_1) | instskip(NEXT) | instid1(VALU_DEP_3)
	v_fma_f32 v24, -v13, v15, 1.0
	v_rcp_f32_e32 v11, v5
	s_delay_alu instid0(VALU_DEP_1) | instskip(NEXT) | instid1(TRANS32_DEP_1)
	v_fmac_f32_e32 v15, v24, v15
	v_fma_f32 v20, -v5, v11, 1.0
	s_delay_alu instid0(VALU_DEP_1) | instskip(NEXT) | instid1(VALU_DEP_1)
	v_dual_fmac_f32 v11, v20, v11 :: v_dual_mul_f32 v20, v21, v9
	v_fma_f32 v25, -v3, v20, v21
	s_delay_alu instid0(VALU_DEP_1) | instskip(NEXT) | instid1(VALU_DEP_1)
	v_dual_fmac_f32 v20, v25, v9 :: v_dual_mul_f32 v23, v22, v11
	v_dual_fma_f32 v3, -v3, v20, v21 :: v_dual_fma_f32 v26, -v5, v23, v22
	s_delay_alu instid0(VALU_DEP_1) | instskip(NEXT) | instid1(VALU_DEP_2)
	v_div_fmas_f32 v3, v3, v9, v20
	v_fmac_f32_e32 v23, v26, v11
	s_mov_b32 vcc_lo, s1
	v_mov_b64_e32 v[20:21], 0xc16ae95ac244dfb3
	s_delay_alu instid0(VALU_DEP_3) | instskip(NEXT) | instid1(VALU_DEP_3)
	v_div_fixup_f32 v3, v3, v17, v16
	v_fma_f32 v5, -v5, v23, v22
	s_delay_alu instid0(VALU_DEP_1) | instskip(NEXT) | instid1(VALU_DEP_4)
	v_div_fmas_f32 v5, v5, v11, v23
	v_pk_add_f32 v[10:11], v[10:11], v[20:21] op_sel_hi:[0,1]
	v_cmp_gt_f32_e64 vcc_lo, 0x7f800000, |v7|
	s_delay_alu instid0(VALU_DEP_3) | instskip(NEXT) | instid1(VALU_DEP_1)
	v_div_fixup_f32 v5, v5, v19, v18
	v_dual_mul_f32 v28, 0x3f317217, v7 :: v_dual_mul_f32 v5, v1, v5
	s_delay_alu instid0(VALU_DEP_1) | instskip(NEXT) | instid1(VALU_DEP_2)
	v_fma_f32 v24, 0x3f317217, v7, -v28
	v_mul_f32_e32 v5, v11, v5
	s_delay_alu instid0(VALU_DEP_2) | instskip(NEXT) | instid1(VALU_DEP_2)
	v_fmamk_f32 v22, v7, 0x3377d1cf, v24
	v_dual_mul_f32 v25, v27, v15 :: v_dual_mul_f32 v5, v10, v5
	s_delay_alu instid0(VALU_DEP_2) | instskip(NEXT) | instid1(VALU_DEP_1)
	v_fmac_f32_e32 v22, 0x3f317217, v7
	v_dual_fma_f32 v9, -v13, v25, v27 :: v_dual_cndmask_b32 v7, v7, v22, vcc_lo
	s_delay_alu instid0(VALU_DEP_1) | instskip(SKIP_2) | instid1(VALU_DEP_1)
	v_fmac_f32_e32 v25, v9, v15
	v_cndmask_b32_e64 v9, 0, 0x41b17218, s0
	s_mov_b32 vcc_lo, s2
	v_sub_f32_e32 v7, v7, v9
	s_delay_alu instid0(VALU_DEP_3) | instskip(NEXT) | instid1(VALU_DEP_1)
	v_fma_f32 v13, -v13, v25, v27
	v_div_fmas_f32 v11, v13, v15, v25
	s_delay_alu instid0(VALU_DEP_1) | instskip(NEXT) | instid1(VALU_DEP_1)
	v_div_fixup_f32 v9, v11, v1, -1.0
	v_fmac_f32_e32 v9, v7, v5
	s_delay_alu instid0(VALU_DEP_1) | instskip(NEXT) | instid1(VALU_DEP_1)
	v_mul_f32_e32 v10, 0x3f22f983, v9
	v_fmac_f32_e32 v10, v1, v3
.LBB22_1496:
	s_or_b32 exec_lo, exec_lo, s13
.LBB22_1497:
	s_delay_alu instid0(SALU_CYCLE_1)
	s_or_b32 exec_lo, exec_lo, s12
                                        ; implicit-def: $vgpr1
.LBB22_1498:
	s_and_not1_saveexec_b32 s11, s11
	s_cbranch_execz .LBB22_1508
; %bb.1499:
	v_add_f32_e32 v3, 0xc016cbe4, v1
                                        ; implicit-def: $vgpr9
                                        ; implicit-def: $vgpr7
	s_delay_alu instid0(VALU_DEP_1) | instskip(SKIP_2) | instid1(SALU_CYCLE_1)
	v_and_b32_e32 v5, 0x7fffffff, v3
	v_cmp_ngt_f32_e64 s2, 0x48000000, |v3|
	s_and_saveexec_b32 s0, s2
	s_xor_b32 s12, exec_lo, s0
	s_cbranch_execz .LBB22_1501
; %bb.1500:
	s_mov_b32 s0, 0x7fffff
	v_mov_b32_e32 v11, 0
	v_and_or_b32 v10, v5, s0, 0x800000
	s_mov_b64 s[0:1], 0xfe5163ab
	v_lshrrev_b32_e32 v7, 23, v5
	s_delay_alu instid0(VALU_DEP_2) | instskip(NEXT) | instid1(VALU_DEP_1)
	v_mul_u64_e32 v[16:17], s[0:1], v[10:11]
	v_dual_mov_b32 v18, v17 :: v_dual_mov_b32 v19, v11
	v_dual_mov_b32 v21, v11 :: v_dual_mov_b32 v23, v11
	;; [unrolled: 1-line block ×3, first 2 shown]
	s_delay_alu instid0(VALU_DEP_3) | instskip(NEXT) | instid1(VALU_DEP_1)
	v_mad_nc_u64_u32 v[18:19], 0x3c439041, v10, v[18:19]
	v_mov_b32_e32 v20, v19
	s_delay_alu instid0(VALU_DEP_1) | instskip(NEXT) | instid1(VALU_DEP_1)
	v_mad_nc_u64_u32 v[20:21], 0xdb629599, v10, v[20:21]
	v_mov_b32_e32 v22, v21
	s_delay_alu instid0(VALU_DEP_1) | instskip(NEXT) | instid1(VALU_DEP_1)
	;; [unrolled: 3-line block ×3, first 2 shown]
	v_mad_nc_u64_u32 v[24:25], 0xfc2757d1, v10, v[24:25]
	v_dual_mov_b32 v27, v11 :: v_dual_mov_b32 v26, v25
	s_delay_alu instid0(VALU_DEP_1) | instskip(NEXT) | instid1(VALU_DEP_1)
	v_mad_nc_u64_u32 v[26:27], 0x4e441529, v10, v[26:27]
	v_dual_mov_b32 v28, v27 :: v_dual_add_nc_u32 v7, 0xffffff88, v7
	s_delay_alu instid0(VALU_DEP_1) | instskip(NEXT) | instid1(VALU_DEP_2)
	v_cmp_lt_u32_e32 vcc_lo, 63, v7
	v_mad_nc_u64_u32 v[10:11], 0xa2f9836e, v10, v[28:29]
	v_cndmask_b32_e64 v9, 0, 0xffffffc0, vcc_lo
	v_dual_cndmask_b32 v13, v26, v22 :: v_dual_cndmask_b32 v16, v20, v16
	s_delay_alu instid0(VALU_DEP_2) | instskip(NEXT) | instid1(VALU_DEP_1)
	v_add_nc_u32_e32 v7, v9, v7
	v_cmp_lt_u32_e64 s0, 31, v7
	v_dual_cndmask_b32 v10, v10, v24 :: v_dual_cndmask_b32 v11, v11, v26
	s_delay_alu instid0(VALU_DEP_2) | instskip(NEXT) | instid1(VALU_DEP_2)
	v_cndmask_b32_e64 v9, 0, 0xffffffe0, s0
	v_dual_cndmask_b32 v17, v10, v13, s0 :: v_dual_cndmask_b32 v10, v11, v10, s0
	s_delay_alu instid0(VALU_DEP_2) | instskip(NEXT) | instid1(VALU_DEP_1)
	v_add_nc_u32_e32 v7, v9, v7
	v_cmp_lt_u32_e64 s1, 31, v7
	s_delay_alu instid0(VALU_DEP_1) | instskip(NEXT) | instid1(VALU_DEP_1)
	v_cndmask_b32_e64 v9, 0, 0xffffffe0, s1
	v_dual_cndmask_b32 v15, v24, v20, vcc_lo :: v_dual_add_nc_u32 v7, v9, v7
	s_delay_alu instid0(VALU_DEP_1) | instskip(NEXT) | instid1(VALU_DEP_2)
	v_dual_cndmask_b32 v9, v22, v18, vcc_lo :: v_dual_cndmask_b32 v11, v13, v15, s0
	v_dual_cndmask_b32 v10, v10, v17, s1 :: v_dual_sub_nc_u32 v13, 32, v7
	s_delay_alu instid0(VALU_DEP_2) | instskip(SKIP_1) | instid1(VALU_DEP_2)
	v_dual_cndmask_b32 v15, v15, v9, s0 :: v_dual_cndmask_b32 v17, v17, v11, s1
	v_cmp_eq_u32_e32 vcc_lo, 0, v7
	v_dual_cndmask_b32 v9, v9, v16, s0 :: v_dual_cndmask_b32 v11, v11, v15, s1
	s_delay_alu instid0(VALU_DEP_3) | instskip(NEXT) | instid1(VALU_DEP_2)
	v_alignbit_b32 v18, v10, v17, v13
	v_cndmask_b32_e64 v9, v15, v9, s1
	s_delay_alu instid0(VALU_DEP_3) | instskip(NEXT) | instid1(VALU_DEP_3)
	v_alignbit_b32 v19, v17, v11, v13
	v_cndmask_b32_e32 v7, v18, v10, vcc_lo
	s_delay_alu instid0(VALU_DEP_3) | instskip(NEXT) | instid1(VALU_DEP_2)
	v_alignbit_b32 v13, v11, v9, v13
	v_bfe_u32 v16, v7, 29, 1
	s_delay_alu instid0(VALU_DEP_2) | instskip(NEXT) | instid1(VALU_DEP_2)
	v_dual_cndmask_b32 v10, v19, v17 :: v_dual_cndmask_b32 v11, v13, v11
	v_sub_nc_u32_e32 v17, 0, v16
	s_delay_alu instid0(VALU_DEP_2) | instskip(NEXT) | instid1(VALU_DEP_3)
	v_alignbit_b32 v15, v7, v10, 30
	v_alignbit_b32 v10, v10, v11, 30
	;; [unrolled: 1-line block ×3, first 2 shown]
	s_delay_alu instid0(VALU_DEP_3) | instskip(NEXT) | instid1(VALU_DEP_3)
	v_xor_b32_e32 v15, v15, v17
	v_xor_b32_e32 v10, v10, v17
	s_delay_alu instid0(VALU_DEP_3) | instskip(NEXT) | instid1(VALU_DEP_3)
	v_dual_lshrrev_b32 v17, 29, v7 :: v_dual_bitop2_b32 v9, v9, v17 bitop3:0x14
	v_clz_i32_u32_e32 v13, v15
	s_delay_alu instid0(VALU_DEP_1) | instskip(NEXT) | instid1(VALU_DEP_1)
	v_min_u32_e32 v13, 32, v13
	v_sub_nc_u32_e32 v11, 31, v13
	s_delay_alu instid0(VALU_DEP_1) | instskip(SKIP_3) | instid1(VALU_DEP_3)
	v_alignbit_b32 v15, v15, v10, v11
	v_alignbit_b32 v9, v10, v9, v11
	v_lshlrev_b32_e32 v10, 31, v17
	v_lshlrev_b32_e32 v18, 23, v13
	v_alignbit_b32 v11, v15, v9, 9
	s_delay_alu instid0(VALU_DEP_3) | instskip(SKIP_1) | instid1(VALU_DEP_3)
	v_dual_lshrrev_b32 v15, 9, v15 :: v_dual_bitop2_b32 v17, 0.5, v10 bitop3:0x54
	v_or_b32_e32 v10, 0x33000000, v10
	v_clz_i32_u32_e32 v19, v11
	s_delay_alu instid0(VALU_DEP_3) | instskip(NEXT) | instid1(VALU_DEP_2)
	v_sub_nc_u32_e32 v17, v17, v18
	v_min_u32_e32 v18, 32, v19
	s_delay_alu instid0(VALU_DEP_2) | instskip(NEXT) | instid1(VALU_DEP_2)
	v_or_b32_e32 v15, v15, v17
	v_not_b32_e32 v17, v18
	v_add_lshl_u32 v13, v18, v13, 23
	s_delay_alu instid0(VALU_DEP_3) | instskip(NEXT) | instid1(VALU_DEP_3)
	v_mul_f32_e32 v19, 0x3fc90fda, v15
	v_alignbit_b32 v9, v11, v9, v17
	s_delay_alu instid0(VALU_DEP_3) | instskip(NEXT) | instid1(VALU_DEP_3)
	v_sub_nc_u32_e32 v10, v10, v13
	v_fma_f32 v11, 0x3fc90fda, v15, -v19
	s_delay_alu instid0(VALU_DEP_3) | instskip(NEXT) | instid1(VALU_DEP_2)
	v_lshrrev_b32_e32 v9, 9, v9
	v_fmamk_f32 v11, v15, 0x33a22168, v11
	s_delay_alu instid0(VALU_DEP_2) | instskip(NEXT) | instid1(VALU_DEP_1)
	v_or_b32_e32 v9, v10, v9
	v_fmac_f32_e32 v11, 0x3fc90fda, v9
	v_lshrrev_b32_e32 v9, 30, v7
	s_delay_alu instid0(VALU_DEP_1)
	v_dual_add_f32 v7, v19, v11 :: v_dual_add_nc_u32 v9, v16, v9
	s_and_not1_saveexec_b32 s0, s12
	s_branch .LBB22_1502
.LBB22_1501:
	s_and_not1_saveexec_b32 s0, s12
.LBB22_1502:
	v_mul_f32_e64 v7, 0x3f22f983, |v3|
	s_delay_alu instid0(VALU_DEP_1) | instskip(NEXT) | instid1(VALU_DEP_1)
	v_rndne_f32_e32 v9, v7
	v_fma_f32 v7, 0xbfc90fda, v9, |v3|
	s_delay_alu instid0(VALU_DEP_1) | instskip(NEXT) | instid1(VALU_DEP_1)
	v_fmamk_f32 v7, v9, 0xb3a22168, v7
	v_fmamk_f32 v7, v9, 0xa7c234c4, v7
	v_cvt_i32_f32_e32 v9, v9
; %bb.1503:
	s_or_b32 exec_lo, exec_lo, s0
                                        ; implicit-def: $vgpr11
                                        ; implicit-def: $vgpr10
	s_and_saveexec_b32 s0, s2
	s_delay_alu instid0(SALU_CYCLE_1)
	s_xor_b32 s2, exec_lo, s0
	s_cbranch_execz .LBB22_1505
; %bb.1504:
	s_mov_b32 s0, 0x7fffff
	v_mov_b32_e32 v11, 0
	v_and_or_b32 v10, v5, s0, 0x800000
	s_mov_b64 s[0:1], 0xfe5163ab
	v_lshrrev_b32_e32 v13, 23, v5
	s_delay_alu instid0(VALU_DEP_2) | instskip(NEXT) | instid1(VALU_DEP_1)
	v_mul_u64_e32 v[16:17], s[0:1], v[10:11]
	v_dual_mov_b32 v18, v17 :: v_dual_mov_b32 v19, v11
	v_dual_mov_b32 v21, v11 :: v_dual_mov_b32 v23, v11
	v_mov_b32_e32 v25, v11
	s_delay_alu instid0(VALU_DEP_3) | instskip(NEXT) | instid1(VALU_DEP_1)
	v_mad_nc_u64_u32 v[18:19], 0x3c439041, v10, v[18:19]
	v_mov_b32_e32 v20, v19
	s_delay_alu instid0(VALU_DEP_1) | instskip(NEXT) | instid1(VALU_DEP_1)
	v_mad_nc_u64_u32 v[20:21], 0xdb629599, v10, v[20:21]
	v_mov_b32_e32 v22, v21
	s_delay_alu instid0(VALU_DEP_1) | instskip(NEXT) | instid1(VALU_DEP_1)
	;; [unrolled: 3-line block ×3, first 2 shown]
	v_mad_nc_u64_u32 v[24:25], 0xfc2757d1, v10, v[24:25]
	v_dual_mov_b32 v27, v11 :: v_dual_mov_b32 v26, v25
	s_delay_alu instid0(VALU_DEP_1) | instskip(NEXT) | instid1(VALU_DEP_1)
	v_mad_nc_u64_u32 v[26:27], 0x4e441529, v10, v[26:27]
	v_dual_mov_b32 v28, v27 :: v_dual_add_nc_u32 v13, 0xffffff88, v13
	s_delay_alu instid0(VALU_DEP_1) | instskip(SKIP_2) | instid1(VALU_DEP_2)
	v_cmp_lt_u32_e32 vcc_lo, 63, v13
	v_mov_b32_e32 v29, v11
	v_cndmask_b32_e64 v15, 0, 0xffffffc0, vcc_lo
	v_mad_nc_u64_u32 v[10:11], 0xa2f9836e, v10, v[28:29]
	v_dual_cndmask_b32 v17, v26, v22, vcc_lo :: v_dual_cndmask_b32 v19, v24, v20, vcc_lo
	s_delay_alu instid0(VALU_DEP_3) | instskip(NEXT) | instid1(VALU_DEP_1)
	v_dual_cndmask_b32 v16, v20, v16 :: v_dual_add_nc_u32 v13, v15, v13
	v_cmp_lt_u32_e64 s0, 31, v13
	s_delay_alu instid0(VALU_DEP_4) | instskip(NEXT) | instid1(VALU_DEP_2)
	v_dual_cndmask_b32 v10, v10, v24 :: v_dual_cndmask_b32 v11, v11, v26
	v_cndmask_b32_e64 v15, 0, 0xffffffe0, s0
	s_delay_alu instid0(VALU_DEP_1) | instskip(NEXT) | instid1(VALU_DEP_1)
	v_add_nc_u32_e32 v13, v15, v13
	v_cmp_lt_u32_e64 s1, 31, v13
	s_delay_alu instid0(VALU_DEP_1) | instskip(NEXT) | instid1(VALU_DEP_1)
	v_cndmask_b32_e64 v15, 0, 0xffffffe0, s1
	v_dual_add_nc_u32 v13, v15, v13 :: v_dual_cndmask_b32 v15, v22, v18, vcc_lo
	v_dual_cndmask_b32 v18, v10, v17, s0 :: v_dual_cndmask_b32 v10, v11, v10, s0
	s_delay_alu instid0(VALU_DEP_2) | instskip(NEXT) | instid1(VALU_DEP_3)
	v_dual_cndmask_b32 v11, v17, v19, s0 :: v_dual_sub_nc_u32 v17, 32, v13
	v_cndmask_b32_e64 v19, v19, v15, s0
	v_cmp_eq_u32_e32 vcc_lo, 0, v13
	s_delay_alu instid0(VALU_DEP_4) | instskip(NEXT) | instid1(VALU_DEP_4)
	v_cndmask_b32_e64 v10, v10, v18, s1
	v_dual_cndmask_b32 v18, v18, v11, s1 :: v_dual_cndmask_b32 v13, v15, v16, s0
	s_delay_alu instid0(VALU_DEP_4) | instskip(NEXT) | instid1(VALU_DEP_2)
	v_cndmask_b32_e64 v11, v11, v19, s1
	v_alignbit_b32 v21, v10, v18, v17
	s_delay_alu instid0(VALU_DEP_3) | instskip(NEXT) | instid1(VALU_DEP_3)
	v_cndmask_b32_e64 v13, v19, v13, s1
	v_alignbit_b32 v20, v18, v11, v17
	s_delay_alu instid0(VALU_DEP_3) | instskip(NEXT) | instid1(VALU_DEP_3)
	v_cndmask_b32_e32 v10, v21, v10, vcc_lo
	v_alignbit_b32 v17, v11, v13, v17
	s_delay_alu instid0(VALU_DEP_3) | instskip(NEXT) | instid1(VALU_DEP_3)
	v_cndmask_b32_e32 v15, v20, v18, vcc_lo
	v_bfe_u32 v16, v10, 29, 1
	s_delay_alu instid0(VALU_DEP_3) | instskip(NEXT) | instid1(VALU_DEP_3)
	v_cndmask_b32_e32 v11, v17, v11, vcc_lo
	v_alignbit_b32 v18, v10, v15, 30
	s_delay_alu instid0(VALU_DEP_3) | instskip(NEXT) | instid1(VALU_DEP_3)
	v_sub_nc_u32_e32 v19, 0, v16
	v_alignbit_b32 v15, v15, v11, 30
	v_alignbit_b32 v11, v11, v13, 30
	s_delay_alu instid0(VALU_DEP_3) | instskip(NEXT) | instid1(VALU_DEP_3)
	v_xor_b32_e32 v18, v18, v19
	v_xor_b32_e32 v13, v15, v19
	s_delay_alu instid0(VALU_DEP_3) | instskip(NEXT) | instid1(VALU_DEP_3)
	v_dual_lshrrev_b32 v19, 29, v10 :: v_dual_bitop2_b32 v11, v11, v19 bitop3:0x14
	v_clz_i32_u32_e32 v17, v18
	s_delay_alu instid0(VALU_DEP_1) | instskip(NEXT) | instid1(VALU_DEP_1)
	v_min_u32_e32 v17, 32, v17
	v_sub_nc_u32_e32 v15, 31, v17
	s_delay_alu instid0(VALU_DEP_1) | instskip(SKIP_2) | instid1(VALU_DEP_2)
	v_alignbit_b32 v18, v18, v13, v15
	v_alignbit_b32 v11, v13, v11, v15
	v_lshlrev_b32_e32 v13, 31, v19
	v_alignbit_b32 v15, v18, v11, 9
	s_delay_alu instid0(VALU_DEP_2) | instskip(SKIP_2) | instid1(VALU_DEP_4)
	v_dual_lshrrev_b32 v18, 9, v18 :: v_dual_bitop2_b32 v19, 0.5, v13 bitop3:0x54
	v_lshlrev_b32_e32 v20, 23, v17
	v_or_b32_e32 v13, 0x33000000, v13
	v_clz_i32_u32_e32 v21, v15
	s_delay_alu instid0(VALU_DEP_3) | instskip(NEXT) | instid1(VALU_DEP_2)
	v_sub_nc_u32_e32 v19, v19, v20
	v_min_u32_e32 v20, 32, v21
	s_delay_alu instid0(VALU_DEP_1) | instskip(NEXT) | instid1(VALU_DEP_1)
	v_add_lshl_u32 v17, v20, v17, 23
	v_dual_sub_nc_u32 v13, v13, v17 :: v_dual_bitop2_b32 v18, v18, v19 bitop3:0x54
	v_not_b32_e32 v19, v20
	s_delay_alu instid0(VALU_DEP_2) | instskip(NEXT) | instid1(VALU_DEP_2)
	v_mul_f32_e32 v21, 0x3fc90fda, v18
	v_alignbit_b32 v11, v15, v11, v19
	s_delay_alu instid0(VALU_DEP_2) | instskip(NEXT) | instid1(VALU_DEP_2)
	v_fma_f32 v15, 0x3fc90fda, v18, -v21
	v_lshrrev_b32_e32 v11, 9, v11
	s_delay_alu instid0(VALU_DEP_2) | instskip(NEXT) | instid1(VALU_DEP_2)
	v_fmamk_f32 v15, v18, 0x33a22168, v15
	v_or_b32_e32 v11, v13, v11
	s_delay_alu instid0(VALU_DEP_1) | instskip(NEXT) | instid1(VALU_DEP_1)
	v_fmac_f32_e32 v15, 0x3fc90fda, v11
	v_dual_add_f32 v10, v21, v15 :: v_dual_lshrrev_b32 v11, 30, v10
	s_delay_alu instid0(VALU_DEP_1)
	v_add_nc_u32_e32 v11, v16, v11
	s_and_not1_saveexec_b32 s0, s2
	s_cbranch_execnz .LBB22_1506
	s_branch .LBB22_1507
.LBB22_1505:
	s_and_not1_saveexec_b32 s0, s2
.LBB22_1506:
	v_mul_f32_e64 v10, 0x3f22f983, |v3|
	s_delay_alu instid0(VALU_DEP_1) | instskip(NEXT) | instid1(VALU_DEP_1)
	v_rndne_f32_e32 v11, v10
	v_fma_f32 v10, 0xbfc90fda, v11, |v3|
	s_delay_alu instid0(VALU_DEP_1) | instskip(NEXT) | instid1(VALU_DEP_1)
	v_fmamk_f32 v10, v11, 0xb3a22168, v10
	v_fmamk_f32 v10, v11, 0xa7c234c4, v10
	v_cvt_i32_f32_e32 v11, v11
.LBB22_1507:
	s_or_b32 exec_lo, exec_lo, s0
	v_div_scale_f32 v13, null, v1, v1, 0x40a00000
	v_div_scale_f32 v17, vcc_lo, 0x40a00000, v1, 0x40a00000
	s_mov_b32 s0, 0xb94c1982
	v_rcp_f32_e32 v15, v13
	v_mul_f32_e32 v24, 0x4f800000, v1
	s_mov_b32 s1, 0x37d75334
	v_dual_lshlrev_b32 v11, 30, v11 :: v_dual_bitop2_b32 v19, 1, v11 bitop3:0x40
	s_delay_alu instid0(TRANS32_DEP_1) | instskip(NEXT) | instid1(VALU_DEP_1)
	v_fma_f32 v16, -v13, v15, 1.0
	v_fmac_f32_e32 v15, v16, v15
	s_delay_alu instid0(VALU_DEP_1) | instskip(NEXT) | instid1(VALU_DEP_1)
	v_mul_f32_e32 v16, v17, v15
	v_fma_f32 v18, -v13, v16, v17
	s_delay_alu instid0(VALU_DEP_1) | instskip(NEXT) | instid1(VALU_DEP_1)
	v_fmac_f32_e32 v16, v18, v15
	v_dual_mul_f32 v18, v10, v10 :: v_dual_fma_f32 v13, -v13, v16, v17
	s_delay_alu instid0(VALU_DEP_1) | instskip(NEXT) | instid1(VALU_DEP_2)
	v_fmaak_f32 v27, s0, v18, 0x3c0881c4
	v_div_fmas_f32 v13, v13, v15, v16
	v_dual_mul_f32 v15, v7, v7 :: v_dual_bitop2_b32 v16, 1, v9 bitop3:0x40
	v_lshlrev_b32_e32 v9, 30, v9
	s_delay_alu instid0(VALU_DEP_4) | instskip(NEXT) | instid1(VALU_DEP_4)
	v_fmaak_f32 v27, v18, v27, 0xbe2aaa9d
	v_div_fixup_f32 v13, v13, v1, 0x40a00000
	s_delay_alu instid0(VALU_DEP_4)
	v_fmaak_f32 v25, s0, v15, 0x3c0881c4
	v_cmp_gt_f32_e64 s0, 0xf800000, v1
	v_fmaak_f32 v28, s1, v18, 0xbab64f3b
	v_cmp_eq_u32_e64 s2, 0, v16
	v_mul_f32_e32 v17, v13, v13
	v_fmaak_f32 v25, v15, v25, 0xbe2aaa9d
	v_cndmask_b32_e64 v1, v1, v24, s0
	v_xor_b32_e32 v5, v5, v3
	v_and_b32_e32 v9, 0x80000000, v9
	v_fmaak_f32 v21, 0, v17, 0x3a15c4d9
	v_dual_fmaak_f32 v20, 0, v17, 0x3d513fd3 :: v_dual_mul_f32 v27, v18, v27
	v_sqrt_f32_e32 v31, v1
	v_fmaak_f32 v23, 0, v17, 0x3a47c962
	s_delay_alu instid0(VALU_DEP_3) | instskip(SKIP_3) | instid1(TRANS32_DEP_1)
	v_fmaak_f32 v21, v17, v21, 0x3d8cfeeb
	v_fmaak_f32 v22, 0, v17, 0x42947983
	v_fmac_f32_e32 v10, v10, v27
	v_dual_fmaak_f32 v20, v17, v20, 0x409f6dae :: v_dual_mul_f32 v25, v15, v25
	v_add_nc_u32_e32 v36, 1, v31
	v_fmaak_f32 v23, v17, v23, 0x3d95ca45
	v_fmaak_f32 v21, v17, v21, 0x3f8d754e
	s_delay_alu instid0(VALU_DEP_4) | instskip(NEXT) | instid1(VALU_DEP_3)
	v_dual_fmaak_f32 v20, v17, v20, 0x4297a5cd :: v_dual_fmac_f32 v7, v7, v25
	v_fmaak_f32 v23, v17, v23, 0x3f9047f6
	s_delay_alu instid0(VALU_DEP_3) | instskip(NEXT) | instid1(VALU_DEP_3)
	v_fmaak_f32 v21, v17, v21, 0x40a25d18
	v_fmaak_f32 v20, v17, v20, 0x43b763ca
	s_delay_alu instid0(VALU_DEP_3) | instskip(NEXT) | instid1(VALU_DEP_3)
	v_fmaak_f32 v23, v17, v23, 0x40a39628
	;; [unrolled: 3-line block ×5, first 2 shown]
	v_fma_f32 v21, v17, v21, 1.0
	s_delay_alu instid0(VALU_DEP_3) | instskip(NEXT) | instid1(VALU_DEP_3)
	v_fmaak_f32 v20, v17, v20, 0x4353b052
	v_fma_f32 v23, v17, v23, 1.0
	s_delay_alu instid0(VALU_DEP_1) | instskip(SKIP_1) | instid1(VALU_DEP_1)
	v_div_scale_f32 v34, vcc_lo, v23, v21, v23
	v_fmaak_f32 v22, v17, v22, 0x44840e5d
	v_fmaak_f32 v22, v17, v22, 0x459bd349
	s_delay_alu instid0(VALU_DEP_1) | instskip(NEXT) | instid1(VALU_DEP_1)
	v_fmaak_f32 v22, v17, v22, 0x46156947
	v_fmaak_f32 v22, v17, v22, 0x45f9e855
	s_delay_alu instid0(VALU_DEP_1) | instskip(NEXT) | instid1(VALU_DEP_1)
	v_fmaak_f32 v22, v17, v22, 0x4530a316
	v_fmaak_f32 v22, v17, v22, 0x43a80bfb
	;; [unrolled: 1-line block ×3, first 2 shown]
	v_div_scale_f32 v20, null, v21, v21, v23
	s_delay_alu instid0(VALU_DEP_2) | instskip(NEXT) | instid1(VALU_DEP_2)
	v_div_scale_f32 v24, null, v22, v22, v17
	v_rcp_f32_e32 v29, v20
	s_delay_alu instid0(VALU_DEP_1) | instskip(NEXT) | instid1(TRANS32_DEP_2)
	v_rcp_f32_e32 v30, v24
	v_fma_f32 v32, -v20, v29, 1.0
	s_delay_alu instid0(TRANS32_DEP_1) | instskip(NEXT) | instid1(VALU_DEP_1)
	v_fma_f32 v33, -v24, v30, 1.0
	v_dual_fmac_f32 v29, v32, v29 :: v_dual_fmac_f32 v30, v33, v30
	s_delay_alu instid0(VALU_DEP_1) | instskip(NEXT) | instid1(VALU_DEP_1)
	v_dual_add_nc_u32 v33, -1, v31 :: v_dual_mul_f32 v35, v34, v29
	v_fma_f32 v25, -v20, v35, v34
	v_fmaak_f32 v26, s1, v15, 0xbab64f3b
	v_div_scale_f32 v32, s1, v17, v22, v17
	s_delay_alu instid0(VALU_DEP_4) | instskip(NEXT) | instid1(VALU_DEP_3)
	v_fma_f32 v27, -v33, v31, v1
	v_dual_fmac_f32 v35, v25, v29 :: v_dual_fmaak_f32 v26, v15, v26, 0x3d2aabf7
	s_delay_alu instid0(VALU_DEP_3) | instskip(NEXT) | instid1(VALU_DEP_2)
	v_mul_f32_e32 v37, v32, v30
	v_fmaak_f32 v26, v15, v26, 0xbf000004
	s_delay_alu instid0(VALU_DEP_1) | instskip(NEXT) | instid1(VALU_DEP_3)
	v_fma_f32 v15, v15, v26, 1.0
	v_fma_f32 v26, -v24, v37, v32
	s_delay_alu instid0(VALU_DEP_1) | instskip(SKIP_2) | instid1(VALU_DEP_3)
	v_dual_fmac_f32 v37, v26, v30 :: v_dual_cndmask_b32 v7, v15, v7, s2
	v_fma_f32 v15, -v20, v35, v34
	v_cmp_eq_u32_e64 s2, 0, v19
	v_fma_f32 v16, -v24, v37, v32
	s_delay_alu instid0(VALU_DEP_4) | instskip(NEXT) | instid1(VALU_DEP_4)
	v_xor3_b32 v5, v5, v9, v7
	v_div_fmas_f32 v15, v15, v29, v35
	s_mov_b32 vcc_lo, s1
	s_delay_alu instid0(VALU_DEP_3) | instskip(SKIP_1) | instid1(VALU_DEP_2)
	v_div_fmas_f32 v16, v16, v30, v37
	v_cmp_ge_f32_e32 vcc_lo, 0, v27
	v_div_fixup_f32 v7, v16, v22, v17
	s_delay_alu instid0(VALU_DEP_1) | instskip(NEXT) | instid1(VALU_DEP_1)
	v_dual_mul_f32 v7, v13, v7 :: v_dual_fmaak_f32 v28, v18, v28, 0x3d2aabf7
	v_fmaak_f32 v28, v18, v28, 0xbf000004
	s_delay_alu instid0(VALU_DEP_1) | instskip(NEXT) | instid1(VALU_DEP_1)
	v_fma_f32 v18, v18, v28, 1.0
	v_dual_fma_f32 v25, -v36, v31, v1 :: v_dual_cndmask_b32 v10, -v10, v18, s2
	v_cndmask_b32_e32 v18, v31, v33, vcc_lo
	v_cmp_class_f32_e64 vcc_lo, v3, 0x1f8
	s_delay_alu instid0(VALU_DEP_3) | instskip(NEXT) | instid1(VALU_DEP_4)
	v_cmp_lt_f32_e64 s1, 0, v25
	v_bitop3_b32 v3, v11, v10, 0x80000000 bitop3:0x6c
	v_div_fixup_f32 v11, v15, v21, v23
	v_cndmask_b32_e32 v5, 0x7fc00000, v5, vcc_lo
	s_delay_alu instid0(VALU_DEP_4) | instskip(NEXT) | instid1(VALU_DEP_4)
	v_cndmask_b32_e64 v9, v18, v36, s1
	v_cndmask_b32_e32 v3, 0x7fc00000, v3, vcc_lo
	v_cmp_class_f32_e64 vcc_lo, v1, 0x260
	s_delay_alu instid0(VALU_DEP_2) | instskip(NEXT) | instid1(VALU_DEP_1)
	v_dual_mul_f32 v10, 0x37800000, v9 :: v_dual_mul_f32 v3, v7, v3
	v_dual_cndmask_b32 v7, v9, v10, s0 :: v_dual_fmac_f32 v3, v11, v5
	s_delay_alu instid0(VALU_DEP_1) | instskip(NEXT) | instid1(VALU_DEP_2)
	v_cndmask_b32_e32 v1, v7, v1, vcc_lo
	v_mul_f32_e32 v3, 0x3f4c422a, v3
	s_delay_alu instid0(VALU_DEP_1) | instskip(NEXT) | instid1(VALU_DEP_1)
	v_div_scale_f32 v5, null, v1, v1, v3
	v_rcp_f32_e32 v7, v5
	v_nop
	s_delay_alu instid0(TRANS32_DEP_1) | instskip(NEXT) | instid1(VALU_DEP_1)
	v_fma_f32 v9, -v5, v7, 1.0
	v_fmac_f32_e32 v7, v9, v7
	v_div_scale_f32 v9, vcc_lo, v3, v1, v3
	s_delay_alu instid0(VALU_DEP_1) | instskip(NEXT) | instid1(VALU_DEP_1)
	v_mul_f32_e32 v10, v9, v7
	v_fma_f32 v11, -v5, v10, v9
	s_delay_alu instid0(VALU_DEP_1) | instskip(NEXT) | instid1(VALU_DEP_1)
	v_fmac_f32_e32 v10, v11, v7
	v_fma_f32 v5, -v5, v10, v9
	s_delay_alu instid0(VALU_DEP_1) | instskip(NEXT) | instid1(VALU_DEP_1)
	v_div_fmas_f32 v5, v5, v7, v10
	v_div_fixup_f32 v10, v5, v1, v3
.LBB22_1508:
	s_or_b32 exec_lo, exec_lo, s11
	v_mov_b32_e32 v15, 0
	s_cmp_lt_i32 s10, 11
	s_delay_alu instid0(VALU_DEP_1)
	v_add_nc_u64_e32 v[14:15], s[6:7], v[14:15]
	s_cbranch_scc1 .LBB22_1515
; %bb.1509:
	s_cmp_gt_i32 s10, 25
	s_mov_b32 s1, 0
	s_cbranch_scc0 .LBB22_1517
; %bb.1510:
	s_cmp_gt_i32 s10, 28
	s_cbranch_scc0 .LBB22_1518
; %bb.1511:
	s_cmp_gt_i32 s10, 43
	;; [unrolled: 3-line block ×3, first 2 shown]
	s_cbranch_scc0 .LBB22_1521
; %bb.1513:
	s_cmp_eq_u32 s10, 46
	s_mov_b32 s11, 0
	s_cbranch_scc0 .LBB22_1522
; %bb.1514:
	global_load_b32 v1, v[14:15], off
	s_mov_b32 s0, 0
	s_mov_b32 s2, -1
	s_wait_loadcnt 0x0
	v_lshlrev_b32_e32 v1, 16, v1
	s_branch .LBB22_1524
.LBB22_1515:
	s_mov_b32 s2, 0
                                        ; implicit-def: $vgpr1
	s_cbranch_execnz .LBB22_1590
.LBB22_1516:
	s_and_not1_b32 vcc_lo, exec_lo, s2
	s_cbranch_vccnz .LBB22_1794
	s_branch .LBB22_1638
.LBB22_1517:
	s_mov_b32 s11, -1
	s_mov_b32 s2, 0
	s_mov_b32 s0, 0
                                        ; implicit-def: $vgpr1
	s_branch .LBB22_1553
.LBB22_1518:
	s_mov_b32 s11, -1
	s_mov_b32 s2, 0
	s_mov_b32 s0, 0
                                        ; implicit-def: $vgpr1
	s_branch .LBB22_1534
.LBB22_1519:
	s_mov_b32 s11, -1
	s_mov_b32 s2, 0
	s_mov_b32 s0, 0
                                        ; implicit-def: $vgpr1
	s_branch .LBB22_1529
.LBB22_1520:
	s_or_b32 s3, s3, exec_lo
	s_trap 2
	s_cbranch_execz .LBB22_1443
	s_branch .LBB22_1444
.LBB22_1521:
	s_mov_b32 s11, -1
	s_mov_b32 s2, 0
	s_mov_b32 s0, 0
	s_branch .LBB22_1523
.LBB22_1522:
	s_mov_b32 s0, -1
	s_mov_b32 s2, 0
.LBB22_1523:
                                        ; implicit-def: $vgpr1
.LBB22_1524:
	s_and_b32 vcc_lo, exec_lo, s11
	s_cbranch_vccz .LBB22_1528
; %bb.1525:
	s_cmp_eq_u32 s10, 44
	s_cbranch_scc0 .LBB22_1527
; %bb.1526:
	global_load_u8 v1, v[14:15], off
	s_mov_b32 s0, 0
	s_mov_b32 s2, -1
	s_wait_loadcnt 0x0
	v_lshlrev_b32_e32 v3, 23, v1
	v_cmp_ne_u32_e32 vcc_lo, 0xff, v1
	s_delay_alu instid0(VALU_DEP_2) | instskip(SKIP_1) | instid1(VALU_DEP_2)
	v_cndmask_b32_e32 v3, 0x7f800001, v3, vcc_lo
	v_cmp_ne_u32_e32 vcc_lo, 0, v1
	v_cndmask_b32_e32 v1, 0x400000, v3, vcc_lo
	s_branch .LBB22_1528
.LBB22_1527:
	s_mov_b32 s0, -1
                                        ; implicit-def: $vgpr1
.LBB22_1528:
	s_mov_b32 s11, 0
.LBB22_1529:
	s_delay_alu instid0(SALU_CYCLE_1)
	s_and_b32 vcc_lo, exec_lo, s11
	s_cbranch_vccz .LBB22_1533
; %bb.1530:
	s_cmp_eq_u32 s10, 29
	s_cbranch_scc0 .LBB22_1532
; %bb.1531:
	global_load_b64 v[16:17], v[14:15], off
	s_mov_b32 s0, 0
	s_mov_b32 s2, -1
	s_mov_b32 s11, 0
	s_wait_loadcnt 0x0
	v_clz_i32_u32_e32 v1, v17
	s_delay_alu instid0(VALU_DEP_1) | instskip(NEXT) | instid1(VALU_DEP_1)
	v_min_u32_e32 v1, 32, v1
	v_lshlrev_b64_e32 v[16:17], v1, v[16:17]
	v_sub_nc_u32_e32 v1, 32, v1
	s_delay_alu instid0(VALU_DEP_2) | instskip(NEXT) | instid1(VALU_DEP_1)
	v_min_u32_e32 v3, 1, v16
	v_or_b32_e32 v3, v17, v3
	s_delay_alu instid0(VALU_DEP_1) | instskip(NEXT) | instid1(VALU_DEP_1)
	v_cvt_f32_u32_e32 v3, v3
	v_ldexp_f32 v1, v3, v1
	s_branch .LBB22_1534
.LBB22_1532:
	s_mov_b32 s0, -1
                                        ; implicit-def: $vgpr1
.LBB22_1533:
	s_mov_b32 s11, 0
.LBB22_1534:
	s_delay_alu instid0(SALU_CYCLE_1)
	s_and_b32 vcc_lo, exec_lo, s11
	s_cbranch_vccz .LBB22_1552
; %bb.1535:
	s_cmp_lt_i32 s10, 27
	s_cbranch_scc1 .LBB22_1538
; %bb.1536:
	s_cmp_gt_i32 s10, 27
	s_cbranch_scc0 .LBB22_1539
; %bb.1537:
	global_load_b32 v1, v[14:15], off
	s_mov_b32 s2, 0
	s_wait_loadcnt 0x0
	v_cvt_f32_u32_e32 v1, v1
	s_branch .LBB22_1540
.LBB22_1538:
	s_mov_b32 s2, -1
                                        ; implicit-def: $vgpr1
	s_branch .LBB22_1543
.LBB22_1539:
	s_mov_b32 s2, -1
                                        ; implicit-def: $vgpr1
.LBB22_1540:
	s_delay_alu instid0(SALU_CYCLE_1)
	s_and_not1_b32 vcc_lo, exec_lo, s2
	s_cbranch_vccnz .LBB22_1542
; %bb.1541:
	global_load_u16 v1, v[14:15], off
	s_wait_loadcnt 0x0
	v_cvt_f32_u32_e32 v1, v1
.LBB22_1542:
	s_mov_b32 s2, 0
.LBB22_1543:
	s_delay_alu instid0(SALU_CYCLE_1)
	s_and_not1_b32 vcc_lo, exec_lo, s2
	s_cbranch_vccnz .LBB22_1551
; %bb.1544:
	global_load_u8 v3, v[14:15], off
	s_mov_b32 s2, 0
	s_mov_b32 s11, exec_lo
	s_wait_loadcnt 0x0
	v_cmpx_lt_i16_e32 0x7f, v3
	s_xor_b32 s11, exec_lo, s11
	s_cbranch_execz .LBB22_1565
; %bb.1545:
	s_mov_b32 s2, -1
	s_mov_b32 s12, exec_lo
	v_cmpx_eq_u16_e32 0x80, v3
; %bb.1546:
	s_xor_b32 s2, exec_lo, -1
; %bb.1547:
	s_or_b32 exec_lo, exec_lo, s12
	s_delay_alu instid0(SALU_CYCLE_1)
	s_and_b32 s2, s2, exec_lo
	s_or_saveexec_b32 s11, s11
	v_mov_b32_e32 v1, 0x7f800001
	s_xor_b32 exec_lo, exec_lo, s11
	s_cbranch_execnz .LBB22_1566
.LBB22_1548:
	s_or_b32 exec_lo, exec_lo, s11
	s_and_saveexec_b32 s11, s2
	s_cbranch_execz .LBB22_1550
.LBB22_1549:
	v_and_b32_e32 v1, 0xffff, v3
	s_delay_alu instid0(VALU_DEP_1) | instskip(SKIP_1) | instid1(VALU_DEP_2)
	v_and_b32_e32 v5, 7, v1
	v_bfe_u32 v11, v1, 3, 4
	v_clz_i32_u32_e32 v7, v5
	s_delay_alu instid0(VALU_DEP_2) | instskip(NEXT) | instid1(VALU_DEP_2)
	v_cmp_eq_u32_e32 vcc_lo, 0, v11
	v_min_u32_e32 v7, 32, v7
	s_delay_alu instid0(VALU_DEP_1) | instskip(NEXT) | instid1(VALU_DEP_1)
	v_subrev_nc_u32_e32 v9, 28, v7
	v_dual_lshlrev_b32 v1, v9, v1 :: v_dual_sub_nc_u32 v7, 29, v7
	s_delay_alu instid0(VALU_DEP_1) | instskip(NEXT) | instid1(VALU_DEP_1)
	v_dual_lshlrev_b32 v3, 24, v3 :: v_dual_bitop2_b32 v1, 7, v1 bitop3:0x40
	v_dual_cndmask_b32 v1, v5, v1, vcc_lo :: v_dual_cndmask_b32 v7, v11, v7, vcc_lo
	s_delay_alu instid0(VALU_DEP_2) | instskip(NEXT) | instid1(VALU_DEP_2)
	v_and_b32_e32 v3, 0x80000000, v3
	v_lshlrev_b32_e32 v1, 20, v1
	s_delay_alu instid0(VALU_DEP_3) | instskip(NEXT) | instid1(VALU_DEP_1)
	v_lshl_add_u32 v5, v7, 23, 0x3b800000
	v_or3_b32 v1, v3, v5, v1
.LBB22_1550:
	s_or_b32 exec_lo, exec_lo, s11
.LBB22_1551:
	s_mov_b32 s2, -1
.LBB22_1552:
	s_mov_b32 s11, 0
.LBB22_1553:
	s_delay_alu instid0(SALU_CYCLE_1)
	s_and_b32 vcc_lo, exec_lo, s11
	s_cbranch_vccz .LBB22_1586
; %bb.1554:
	s_cmp_gt_i32 s10, 22
	s_cbranch_scc0 .LBB22_1564
; %bb.1555:
	s_cmp_lt_i32 s10, 24
	s_cbranch_scc1 .LBB22_1567
; %bb.1556:
	s_cmp_gt_i32 s10, 24
	s_cbranch_scc0 .LBB22_1568
; %bb.1557:
	global_load_u8 v3, v[14:15], off
	s_mov_b32 s2, exec_lo
	s_wait_loadcnt 0x0
	v_cmpx_lt_i16_e32 0x7f, v3
	s_xor_b32 s2, exec_lo, s2
	s_cbranch_execz .LBB22_1580
; %bb.1558:
	s_mov_b32 s1, -1
	s_mov_b32 s11, exec_lo
	v_cmpx_eq_u16_e32 0x80, v3
; %bb.1559:
	s_xor_b32 s1, exec_lo, -1
; %bb.1560:
	s_or_b32 exec_lo, exec_lo, s11
	s_delay_alu instid0(SALU_CYCLE_1)
	s_and_b32 s1, s1, exec_lo
	s_or_saveexec_b32 s2, s2
	v_mov_b32_e32 v1, 0x7f800001
	s_xor_b32 exec_lo, exec_lo, s2
	s_cbranch_execnz .LBB22_1581
.LBB22_1561:
	s_or_b32 exec_lo, exec_lo, s2
	s_and_saveexec_b32 s2, s1
	s_cbranch_execz .LBB22_1563
.LBB22_1562:
	v_and_b32_e32 v1, 0xffff, v3
	s_delay_alu instid0(VALU_DEP_1) | instskip(SKIP_1) | instid1(VALU_DEP_2)
	v_and_b32_e32 v5, 3, v1
	v_bfe_u32 v11, v1, 2, 5
	v_clz_i32_u32_e32 v7, v5
	s_delay_alu instid0(VALU_DEP_2) | instskip(NEXT) | instid1(VALU_DEP_2)
	v_cmp_eq_u32_e32 vcc_lo, 0, v11
	v_min_u32_e32 v7, 32, v7
	s_delay_alu instid0(VALU_DEP_1) | instskip(NEXT) | instid1(VALU_DEP_1)
	v_subrev_nc_u32_e32 v9, 29, v7
	v_dual_lshlrev_b32 v1, v9, v1 :: v_dual_sub_nc_u32 v7, 30, v7
	s_delay_alu instid0(VALU_DEP_1) | instskip(NEXT) | instid1(VALU_DEP_1)
	v_dual_lshlrev_b32 v3, 24, v3 :: v_dual_bitop2_b32 v1, 3, v1 bitop3:0x40
	v_dual_cndmask_b32 v1, v5, v1, vcc_lo :: v_dual_cndmask_b32 v7, v11, v7, vcc_lo
	s_delay_alu instid0(VALU_DEP_2) | instskip(NEXT) | instid1(VALU_DEP_2)
	v_and_b32_e32 v3, 0x80000000, v3
	v_lshlrev_b32_e32 v1, 21, v1
	s_delay_alu instid0(VALU_DEP_3) | instskip(NEXT) | instid1(VALU_DEP_1)
	v_lshl_add_u32 v5, v7, 23, 0x37800000
	v_or3_b32 v1, v3, v5, v1
.LBB22_1563:
	s_or_b32 exec_lo, exec_lo, s2
	s_mov_b32 s1, 0
	s_branch .LBB22_1569
.LBB22_1564:
	s_mov_b32 s1, -1
                                        ; implicit-def: $vgpr1
	s_branch .LBB22_1575
.LBB22_1565:
	s_or_saveexec_b32 s11, s11
	v_mov_b32_e32 v1, 0x7f800001
	s_xor_b32 exec_lo, exec_lo, s11
	s_cbranch_execz .LBB22_1548
.LBB22_1566:
	v_cmp_ne_u16_e32 vcc_lo, 0, v3
	v_mov_b32_e32 v1, 0
	s_and_not1_b32 s2, s2, exec_lo
	s_and_b32 s12, vcc_lo, exec_lo
	s_delay_alu instid0(SALU_CYCLE_1)
	s_or_b32 s2, s2, s12
	s_or_b32 exec_lo, exec_lo, s11
	s_and_saveexec_b32 s11, s2
	s_cbranch_execnz .LBB22_1549
	s_branch .LBB22_1550
.LBB22_1567:
	s_mov_b32 s1, -1
                                        ; implicit-def: $vgpr1
	s_branch .LBB22_1572
.LBB22_1568:
	s_mov_b32 s1, -1
                                        ; implicit-def: $vgpr1
.LBB22_1569:
	s_delay_alu instid0(SALU_CYCLE_1)
	s_and_b32 vcc_lo, exec_lo, s1
	s_cbranch_vccz .LBB22_1571
; %bb.1570:
	global_load_u8 v1, v[14:15], off
	s_wait_loadcnt 0x0
	v_lshlrev_b32_e32 v1, 24, v1
	s_delay_alu instid0(VALU_DEP_1) | instskip(NEXT) | instid1(VALU_DEP_1)
	v_and_b32_e32 v3, 0x7f000000, v1
	v_clz_i32_u32_e32 v5, v3
	v_add_nc_u32_e32 v9, 0x1000000, v3
	v_cmp_ne_u32_e32 vcc_lo, 0, v3
	s_delay_alu instid0(VALU_DEP_3) | instskip(NEXT) | instid1(VALU_DEP_1)
	v_min_u32_e32 v5, 32, v5
	v_sub_nc_u32_e64 v5, v5, 4 clamp
	s_delay_alu instid0(VALU_DEP_1) | instskip(NEXT) | instid1(VALU_DEP_1)
	v_dual_lshlrev_b32 v7, v5, v3 :: v_dual_lshlrev_b32 v5, 23, v5
	v_lshrrev_b32_e32 v7, 4, v7
	s_delay_alu instid0(VALU_DEP_1) | instskip(SKIP_1) | instid1(VALU_DEP_2)
	v_sub_nc_u32_e32 v5, v7, v5
	v_ashrrev_i32_e32 v7, 8, v9
	v_add_nc_u32_e32 v5, 0x3c000000, v5
	s_delay_alu instid0(VALU_DEP_1) | instskip(NEXT) | instid1(VALU_DEP_1)
	v_and_or_b32 v5, 0x7f800000, v7, v5
	v_cndmask_b32_e32 v3, 0, v5, vcc_lo
	s_delay_alu instid0(VALU_DEP_1)
	v_and_or_b32 v1, 0x80000000, v1, v3
.LBB22_1571:
	s_mov_b32 s1, 0
.LBB22_1572:
	s_delay_alu instid0(SALU_CYCLE_1)
	s_and_not1_b32 vcc_lo, exec_lo, s1
	s_cbranch_vccnz .LBB22_1574
; %bb.1573:
	global_load_u8 v1, v[14:15], off
	s_wait_loadcnt 0x0
	v_lshlrev_b32_e32 v3, 25, v1
	v_lshlrev_b16 v1, 8, v1
	s_delay_alu instid0(VALU_DEP_1) | instskip(SKIP_1) | instid1(VALU_DEP_2)
	v_and_or_b32 v7, 0x7f00, v1, 0.5
	v_bfe_i32 v1, v1, 0, 16
	v_add_f32_e32 v7, -0.5, v7
	v_lshrrev_b32_e32 v5, 4, v3
	v_cmp_gt_u32_e32 vcc_lo, 0x8000000, v3
	s_delay_alu instid0(VALU_DEP_2) | instskip(NEXT) | instid1(VALU_DEP_1)
	v_or_b32_e32 v5, 0x70000000, v5
	v_mul_f32_e32 v5, 0x7800000, v5
	s_delay_alu instid0(VALU_DEP_1) | instskip(NEXT) | instid1(VALU_DEP_1)
	v_cndmask_b32_e32 v3, v5, v7, vcc_lo
	v_and_or_b32 v1, 0x80000000, v1, v3
.LBB22_1574:
	s_mov_b32 s1, 0
	s_mov_b32 s2, -1
.LBB22_1575:
	s_and_not1_b32 vcc_lo, exec_lo, s1
	s_mov_b32 s1, 0
	s_cbranch_vccnz .LBB22_1586
; %bb.1576:
	s_cmp_gt_i32 s10, 14
	s_cbranch_scc0 .LBB22_1579
; %bb.1577:
	s_cmp_eq_u32 s10, 15
	s_cbranch_scc0 .LBB22_1582
; %bb.1578:
	global_load_u16 v1, v[14:15], off
	s_mov_b32 s0, 0
	s_mov_b32 s2, -1
	s_wait_loadcnt 0x0
	v_lshlrev_b32_e32 v1, 16, v1
	s_branch .LBB22_1584
.LBB22_1579:
	s_mov_b32 s1, -1
	s_branch .LBB22_1583
.LBB22_1580:
	s_or_saveexec_b32 s2, s2
	v_mov_b32_e32 v1, 0x7f800001
	s_xor_b32 exec_lo, exec_lo, s2
	s_cbranch_execz .LBB22_1561
.LBB22_1581:
	v_cmp_ne_u16_e32 vcc_lo, 0, v3
	v_mov_b32_e32 v1, 0
	s_and_not1_b32 s1, s1, exec_lo
	s_and_b32 s11, vcc_lo, exec_lo
	s_delay_alu instid0(SALU_CYCLE_1)
	s_or_b32 s1, s1, s11
	s_or_b32 exec_lo, exec_lo, s2
	s_and_saveexec_b32 s2, s1
	s_cbranch_execnz .LBB22_1562
	s_branch .LBB22_1563
.LBB22_1582:
	s_mov_b32 s0, -1
.LBB22_1583:
                                        ; implicit-def: $vgpr1
.LBB22_1584:
	s_and_b32 vcc_lo, exec_lo, s1
	s_mov_b32 s1, 0
	s_cbranch_vccz .LBB22_1586
; %bb.1585:
	s_cmp_lg_u32 s10, 11
	s_mov_b32 s1, -1
	s_cselect_b32 s0, -1, 0
.LBB22_1586:
	s_delay_alu instid0(SALU_CYCLE_1)
	s_and_b32 vcc_lo, exec_lo, s0
	s_cbranch_vccnz .LBB22_1665
; %bb.1587:
	s_and_not1_b32 vcc_lo, exec_lo, s1
	s_cbranch_vccnz .LBB22_1589
.LBB22_1588:
	global_load_u8 v1, v[14:15], off
	s_mov_b32 s2, -1
	s_wait_loadcnt 0x0
	v_cmp_ne_u16_e32 vcc_lo, 0, v1
	v_cndmask_b32_e64 v1, 0, 1.0, vcc_lo
.LBB22_1589:
	s_branch .LBB22_1516
.LBB22_1590:
	s_cmp_lt_i32 s10, 5
	s_cbranch_scc1 .LBB22_1595
; %bb.1591:
	s_cmp_lt_i32 s10, 8
	s_cbranch_scc1 .LBB22_1596
; %bb.1592:
	;; [unrolled: 3-line block ×3, first 2 shown]
	s_cmp_gt_i32 s10, 9
	s_cbranch_scc0 .LBB22_1598
; %bb.1594:
	global_load_b64 v[16:17], v[14:15], off
	s_mov_b32 s0, 0
	s_wait_loadcnt 0x0
	v_cvt_f32_f64_e32 v1, v[16:17]
	s_branch .LBB22_1599
.LBB22_1595:
	s_mov_b32 s0, -1
                                        ; implicit-def: $vgpr1
	s_branch .LBB22_1617
.LBB22_1596:
	s_mov_b32 s0, -1
                                        ; implicit-def: $vgpr1
	s_branch .LBB22_1605
.LBB22_1597:
	s_mov_b32 s0, -1
                                        ; implicit-def: $vgpr1
	s_branch .LBB22_1602
.LBB22_1598:
	s_mov_b32 s0, -1
                                        ; implicit-def: $vgpr1
.LBB22_1599:
	s_delay_alu instid0(SALU_CYCLE_1)
	s_and_not1_b32 vcc_lo, exec_lo, s0
	s_cbranch_vccnz .LBB22_1601
; %bb.1600:
	global_load_b32 v1, v[14:15], off
.LBB22_1601:
	s_mov_b32 s0, 0
.LBB22_1602:
	s_delay_alu instid0(SALU_CYCLE_1)
	s_and_not1_b32 vcc_lo, exec_lo, s0
	s_cbranch_vccnz .LBB22_1604
; %bb.1603:
	s_wait_loadcnt 0x0
	global_load_b32 v1, v[14:15], off
	s_wait_loadcnt 0x0
	v_cvt_f32_f16_e32 v1, v1
.LBB22_1604:
	s_mov_b32 s0, 0
.LBB22_1605:
	s_delay_alu instid0(SALU_CYCLE_1)
	s_and_not1_b32 vcc_lo, exec_lo, s0
	s_cbranch_vccnz .LBB22_1616
; %bb.1606:
	s_cmp_lt_i32 s10, 6
	s_cbranch_scc1 .LBB22_1609
; %bb.1607:
	s_cmp_gt_i32 s10, 6
	s_cbranch_scc0 .LBB22_1610
; %bb.1608:
	global_load_b64 v[16:17], v[14:15], off
	s_mov_b32 s0, 0
	s_wait_loadcnt 0x0
	v_cvt_f32_f64_e32 v1, v[16:17]
	s_branch .LBB22_1611
.LBB22_1609:
	s_mov_b32 s0, -1
                                        ; implicit-def: $vgpr1
	s_branch .LBB22_1614
.LBB22_1610:
	s_mov_b32 s0, -1
                                        ; implicit-def: $vgpr1
.LBB22_1611:
	s_delay_alu instid0(SALU_CYCLE_1)
	s_and_not1_b32 vcc_lo, exec_lo, s0
	s_cbranch_vccnz .LBB22_1613
; %bb.1612:
	s_wait_loadcnt 0x0
	global_load_b32 v1, v[14:15], off
.LBB22_1613:
	s_mov_b32 s0, 0
.LBB22_1614:
	s_delay_alu instid0(SALU_CYCLE_1)
	s_and_not1_b32 vcc_lo, exec_lo, s0
	s_cbranch_vccnz .LBB22_1616
; %bb.1615:
	s_wait_loadcnt 0x0
	global_load_u16 v1, v[14:15], off
	s_wait_loadcnt 0x0
	v_cvt_f32_f16_e32 v1, v1
.LBB22_1616:
	s_mov_b32 s0, 0
.LBB22_1617:
	s_delay_alu instid0(SALU_CYCLE_1)
	s_and_not1_b32 vcc_lo, exec_lo, s0
	s_cbranch_vccnz .LBB22_1637
; %bb.1618:
	s_cmp_lt_i32 s10, 2
	s_cbranch_scc1 .LBB22_1622
; %bb.1619:
	s_cmp_lt_i32 s10, 3
	s_cbranch_scc1 .LBB22_1623
; %bb.1620:
	s_cmp_gt_i32 s10, 3
	s_cbranch_scc0 .LBB22_1624
; %bb.1621:
	global_load_b64 v[16:17], v[14:15], off
	s_mov_b32 s0, 0
	s_wait_loadcnt 0x0
	v_xor_b32_e32 v1, v16, v17
	v_cls_i32_e32 v3, v17
	s_delay_alu instid0(VALU_DEP_2) | instskip(NEXT) | instid1(VALU_DEP_1)
	v_ashrrev_i32_e32 v1, 31, v1
	v_add_nc_u32_e32 v1, 32, v1
	s_delay_alu instid0(VALU_DEP_1) | instskip(NEXT) | instid1(VALU_DEP_1)
	v_add_min_u32_e64 v1, v3, -1, v1
	v_lshlrev_b64_e32 v[16:17], v1, v[16:17]
	v_sub_nc_u32_e32 v1, 32, v1
	s_delay_alu instid0(VALU_DEP_2) | instskip(NEXT) | instid1(VALU_DEP_1)
	v_min_u32_e32 v3, 1, v16
	v_or_b32_e32 v3, v17, v3
	s_delay_alu instid0(VALU_DEP_1) | instskip(NEXT) | instid1(VALU_DEP_1)
	v_cvt_f32_i32_e32 v3, v3
	v_ldexp_f32 v1, v3, v1
	s_branch .LBB22_1625
.LBB22_1622:
	s_mov_b32 s0, -1
                                        ; implicit-def: $vgpr1
	s_branch .LBB22_1631
.LBB22_1623:
	s_mov_b32 s0, -1
                                        ; implicit-def: $vgpr1
	s_branch .LBB22_1628
.LBB22_1624:
	s_mov_b32 s0, -1
                                        ; implicit-def: $vgpr1
.LBB22_1625:
	s_delay_alu instid0(SALU_CYCLE_1)
	s_and_not1_b32 vcc_lo, exec_lo, s0
	s_cbranch_vccnz .LBB22_1627
; %bb.1626:
	s_wait_loadcnt 0x0
	global_load_b32 v1, v[14:15], off
	s_wait_loadcnt 0x0
	v_cvt_f32_i32_e32 v1, v1
.LBB22_1627:
	s_mov_b32 s0, 0
.LBB22_1628:
	s_delay_alu instid0(SALU_CYCLE_1)
	s_and_not1_b32 vcc_lo, exec_lo, s0
	s_cbranch_vccnz .LBB22_1630
; %bb.1629:
	s_wait_loadcnt 0x0
	global_load_i16 v1, v[14:15], off
	s_wait_loadcnt 0x0
	v_cvt_f32_i32_e32 v1, v1
.LBB22_1630:
	s_mov_b32 s0, 0
.LBB22_1631:
	s_delay_alu instid0(SALU_CYCLE_1)
	s_and_not1_b32 vcc_lo, exec_lo, s0
	s_cbranch_vccnz .LBB22_1637
; %bb.1632:
	s_cmp_gt_i32 s10, 0
	s_mov_b32 s0, 0
	s_cbranch_scc0 .LBB22_1634
; %bb.1633:
	s_wait_loadcnt 0x0
	global_load_i8 v1, v[14:15], off
	s_wait_loadcnt 0x0
	v_cvt_f32_i32_e32 v1, v1
	s_branch .LBB22_1635
.LBB22_1634:
	s_mov_b32 s0, -1
                                        ; implicit-def: $vgpr1
.LBB22_1635:
	s_delay_alu instid0(SALU_CYCLE_1)
	s_and_not1_b32 vcc_lo, exec_lo, s0
	s_cbranch_vccnz .LBB22_1637
; %bb.1636:
	s_wait_loadcnt 0x0
	global_load_u8 v1, v[14:15], off
	s_wait_loadcnt 0x0
	v_cvt_f32_ubyte0_e32 v1, v1
.LBB22_1637:
.LBB22_1638:
                                        ; implicit-def: $vgpr14
	s_mov_b32 s0, exec_lo
	s_wait_loadcnt 0x0
	s_delay_alu instid0(VALU_DEP_1)
	v_cmpx_ge_f32_e32 0x40a00000, v1
	s_xor_b32 s11, exec_lo, s0
	s_cbranch_execz .LBB22_1644
; %bb.1639:
	v_mov_b32_e32 v14, 0xff800000
	s_mov_b32 s12, exec_lo
	v_cmpx_neq_f32_e32 0, v1
	s_cbranch_execz .LBB22_1643
; %bb.1640:
	v_mov_b32_e32 v14, 0x7fc00000
	s_mov_b32 s13, exec_lo
	v_cmpx_nge_f32_e32 0, v1
	s_cbranch_execz .LBB22_1642
; %bb.1641:
	v_mul_f32_e32 v14, v1, v1
	v_mov_b64_e32 v[16:17], 0x4c8c277d4e9695f3
	v_mov_b64_e32 v[20:21], 0x508bc61dd316b96b
	;; [unrolled: 1-line block ×4, first 2 shown]
	v_dual_fmaak_f32 v3, 0, v14, 0x4414934d :: v_dual_mul_f32 v18, 0, v14
	v_fmaak_f32 v5, 0, v14, 0x441b3589
	v_mov_b64_e32 v[26:27], 0x5832585252d295d0
	v_cmp_gt_f32_e64 s0, 0x800000, v1
	s_delay_alu instid0(VALU_DEP_4) | instskip(SKIP_2) | instid1(VALU_DEP_4)
	v_fmaak_f32 v3, v14, v3, 0x48660b06
	v_div_scale_f32 v13, null, v1, v1, -1.0
	v_fmaak_f32 v5, v14, v5, 0x487af6d0
	v_cndmask_b32_e64 v7, 0, 32, s0
	s_delay_alu instid0(VALU_DEP_4) | instskip(NEXT) | instid1(VALU_DEP_3)
	v_mul_f32_e32 v19, v14, v3
	v_fmaak_f32 v3, v14, v5, 0x4c9f4aa7
	s_delay_alu instid0(VALU_DEP_3) | instskip(NEXT) | instid1(VALU_DEP_3)
	v_ldexp_f32 v7, v1, v7
	v_pk_add_f32 v[16:17], v[18:19], v[16:17]
	s_delay_alu instid0(VALU_DEP_3) | instskip(NEXT) | instid1(VALU_DEP_3)
	v_fmaak_f32 v3, v14, v3, 0x50a509fc
	v_log_f32_e32 v7, v7
	s_delay_alu instid0(VALU_DEP_2) | instskip(SKIP_1) | instid1(VALU_DEP_2)
	v_pk_fma_f32 v[16:17], v[14:15], v[16:17], v[20:21] op_sel_hi:[0,1,1]
	v_mov_b64_e32 v[20:21], 0x580d1937d9e700d2
	v_pk_fma_f32 v[16:17], v[14:15], v[16:17], v[22:23] op_sel_hi:[0,1,1]
	v_mov_b64_e32 v[22:23], 0x5b741f1e5c33cd68
	s_delay_alu instid0(VALU_DEP_2) | instskip(SKIP_1) | instid1(VALU_DEP_2)
	v_pk_fma_f32 v[16:17], v[14:15], v[16:17], v[20:21] op_sel_hi:[0,1,1]
	v_mov_b64_e32 v[20:21], 0x5e5c878ddd2cf20b
	v_pk_fma_f32 v[16:17], v[14:15], v[16:17], v[22:23] op_sel_hi:[0,1,1]
	v_rcp_f32_e32 v23, v13
	s_delay_alu instid0(VALU_DEP_1) | instskip(NEXT) | instid1(VALU_DEP_1)
	v_pk_fma_f32 v[16:17], v[14:15], v[16:17], v[20:21] op_sel_hi:[0,1,1]
	v_div_scale_f32 v21, vcc_lo, v16, v17, v16
	v_mul_f32_e32 v19, v14, v3
	v_div_scale_f32 v3, null, v17, v17, v16
	s_delay_alu instid0(VALU_DEP_2) | instskip(SKIP_1) | instid1(VALU_DEP_3)
	v_pk_add_f32 v[18:19], v[18:19], v[24:25]
	v_mov_b64_e32 v[24:25], 0x5b9f0600d6845497
	v_rcp_f32_e32 v9, v3
	s_delay_alu instid0(VALU_DEP_2) | instskip(SKIP_1) | instid1(VALU_DEP_2)
	v_pk_fma_f32 v[18:19], v[14:15], v[18:19], v[26:27] op_sel_hi:[0,1,1]
	v_mov_b64_e32 v[26:27], 0x5e93bcac59515a15
	v_pk_fma_f32 v[18:19], v[14:15], v[18:19], v[24:25] op_sel_hi:[0,1,1]
	v_fma_f32 v24, -v13, v23, 1.0
	s_delay_alu instid0(VALU_DEP_2) | instskip(NEXT) | instid1(TRANS32_DEP_1)
	v_pk_fma_f32 v[18:19], v[14:15], v[18:19], v[26:27] op_sel_hi:[0,1,1]
	v_fma_f32 v15, -v3, v9, 1.0
	v_div_scale_f32 v27, s2, -1.0, v1, -1.0
	s_delay_alu instid0(VALU_DEP_3) | instskip(NEXT) | instid1(VALU_DEP_3)
	v_div_scale_f32 v5, null, v19, v19, v18
	v_fmac_f32_e32 v9, v15, v9
	v_div_scale_f32 v22, s1, v18, v19, v18
	s_delay_alu instid0(VALU_DEP_3) | instskip(NEXT) | instid1(VALU_DEP_2)
	v_rcp_f32_e32 v11, v5
	v_mul_f32_e32 v15, v21, v9
	s_delay_alu instid0(TRANS32_DEP_1) | instskip(NEXT) | instid1(VALU_DEP_1)
	v_fma_f32 v20, -v5, v11, 1.0
	v_fmac_f32_e32 v11, v20, v11
	s_delay_alu instid0(VALU_DEP_1) | instskip(NEXT) | instid1(VALU_DEP_1)
	v_mul_f32_e32 v20, v22, v11
	v_dual_fma_f32 v25, -v3, v15, v21 :: v_dual_fma_f32 v26, -v5, v20, v22
	s_delay_alu instid0(VALU_DEP_1) | instskip(NEXT) | instid1(VALU_DEP_2)
	v_dual_mul_f32 v28, 0x3f317217, v7 :: v_dual_fmac_f32 v15, v25, v9
	v_fmac_f32_e32 v20, v26, v11
	v_fmac_f32_e32 v23, v24, v23
	s_delay_alu instid0(VALU_DEP_3) | instskip(NEXT) | instid1(VALU_DEP_4)
	v_fma_f32 v3, -v3, v15, v21
	v_fma_f32 v24, 0x3f317217, v7, -v28
	s_delay_alu instid0(VALU_DEP_3) | instskip(NEXT) | instid1(VALU_DEP_3)
	v_dual_fma_f32 v5, -v5, v20, v22 :: v_dual_mul_f32 v25, v27, v23
	v_div_fmas_f32 v3, v3, v9, v15
	s_mov_b32 vcc_lo, s1
	s_delay_alu instid0(VALU_DEP_2) | instskip(NEXT) | instid1(VALU_DEP_3)
	v_fma_f32 v9, -v13, v25, v27
	v_div_fmas_f32 v5, v5, v11, v20
	v_mov_b64_e32 v[20:21], 0xc16ae95ac244dfb3
	v_fmamk_f32 v11, v7, 0x3377d1cf, v24
	v_cmp_gt_f32_e64 vcc_lo, 0x7f800000, |v7|
	v_div_fixup_f32 v3, v3, v17, v16
	v_div_fixup_f32 v5, v5, v19, v18
	s_delay_alu instid0(VALU_DEP_4) | instskip(SKIP_1) | instid1(VALU_DEP_2)
	v_fmac_f32_e32 v11, 0x3f317217, v7
	v_pk_add_f32 v[14:15], v[14:15], v[20:21] op_sel_hi:[0,1]
	v_dual_mul_f32 v5, v1, v5 :: v_dual_cndmask_b32 v7, v7, v11, vcc_lo
	s_mov_b32 vcc_lo, s2
	s_delay_alu instid0(VALU_DEP_1) | instskip(NEXT) | instid1(VALU_DEP_1)
	v_mul_f32_e32 v5, v15, v5
	v_dual_mul_f32 v5, v14, v5 :: v_dual_fmac_f32 v25, v9, v23
	v_cndmask_b32_e64 v9, 0, 0x41b17218, s0
	s_delay_alu instid0(VALU_DEP_1) | instskip(NEXT) | instid1(VALU_DEP_3)
	v_sub_f32_e32 v7, v7, v9
	v_fma_f32 v13, -v13, v25, v27
	s_delay_alu instid0(VALU_DEP_1) | instskip(NEXT) | instid1(VALU_DEP_1)
	v_div_fmas_f32 v11, v13, v23, v25
	v_div_fixup_f32 v9, v11, v1, -1.0
	s_delay_alu instid0(VALU_DEP_1) | instskip(NEXT) | instid1(VALU_DEP_1)
	v_fmac_f32_e32 v9, v7, v5
	v_mul_f32_e32 v14, 0x3f22f983, v9
	s_delay_alu instid0(VALU_DEP_1)
	v_fmac_f32_e32 v14, v1, v3
.LBB22_1642:
	s_or_b32 exec_lo, exec_lo, s13
.LBB22_1643:
	s_delay_alu instid0(SALU_CYCLE_1)
	s_or_b32 exec_lo, exec_lo, s12
                                        ; implicit-def: $vgpr1
.LBB22_1644:
	s_and_not1_saveexec_b32 s11, s11
	s_cbranch_execz .LBB22_1654
; %bb.1645:
	v_add_f32_e32 v3, 0xc016cbe4, v1
                                        ; implicit-def: $vgpr9
                                        ; implicit-def: $vgpr7
	s_delay_alu instid0(VALU_DEP_1) | instskip(SKIP_2) | instid1(SALU_CYCLE_1)
	v_and_b32_e32 v5, 0x7fffffff, v3
	v_cmp_ngt_f32_e64 s2, 0x48000000, |v3|
	s_and_saveexec_b32 s0, s2
	s_xor_b32 s12, exec_lo, s0
	s_cbranch_execz .LBB22_1647
; %bb.1646:
	s_mov_b32 s0, 0x7fffff
	v_mov_b32_e32 v15, 0
	v_and_or_b32 v14, v5, s0, 0x800000
	s_mov_b64 s[0:1], 0xfe5163ab
	v_lshrrev_b32_e32 v7, 23, v5
	s_delay_alu instid0(VALU_DEP_2) | instskip(NEXT) | instid1(VALU_DEP_1)
	v_mul_u64_e32 v[16:17], s[0:1], v[14:15]
	v_dual_mov_b32 v18, v17 :: v_dual_mov_b32 v19, v15
	v_dual_mov_b32 v21, v15 :: v_dual_mov_b32 v23, v15
	;; [unrolled: 1-line block ×3, first 2 shown]
	s_delay_alu instid0(VALU_DEP_3) | instskip(NEXT) | instid1(VALU_DEP_1)
	v_mad_nc_u64_u32 v[18:19], 0x3c439041, v14, v[18:19]
	v_mov_b32_e32 v20, v19
	s_delay_alu instid0(VALU_DEP_1) | instskip(NEXT) | instid1(VALU_DEP_1)
	v_mad_nc_u64_u32 v[20:21], 0xdb629599, v14, v[20:21]
	v_mov_b32_e32 v22, v21
	s_delay_alu instid0(VALU_DEP_1) | instskip(NEXT) | instid1(VALU_DEP_1)
	;; [unrolled: 3-line block ×3, first 2 shown]
	v_mad_nc_u64_u32 v[24:25], 0xfc2757d1, v14, v[24:25]
	v_dual_mov_b32 v27, v15 :: v_dual_mov_b32 v26, v25
	s_delay_alu instid0(VALU_DEP_1) | instskip(NEXT) | instid1(VALU_DEP_1)
	v_mad_nc_u64_u32 v[26:27], 0x4e441529, v14, v[26:27]
	v_dual_mov_b32 v28, v27 :: v_dual_add_nc_u32 v7, 0xffffff88, v7
	s_delay_alu instid0(VALU_DEP_1) | instskip(NEXT) | instid1(VALU_DEP_2)
	v_cmp_lt_u32_e32 vcc_lo, 63, v7
	v_mad_nc_u64_u32 v[14:15], 0xa2f9836e, v14, v[28:29]
	v_cndmask_b32_e64 v9, 0, 0xffffffc0, vcc_lo
	v_dual_cndmask_b32 v11, v26, v22 :: v_dual_cndmask_b32 v16, v20, v16
	s_delay_alu instid0(VALU_DEP_2) | instskip(NEXT) | instid1(VALU_DEP_1)
	v_add_nc_u32_e32 v7, v9, v7
	v_cmp_lt_u32_e64 s0, 31, v7
	v_dual_cndmask_b32 v13, v14, v24 :: v_dual_cndmask_b32 v14, v15, v26
	s_delay_alu instid0(VALU_DEP_2) | instskip(NEXT) | instid1(VALU_DEP_2)
	v_cndmask_b32_e64 v9, 0, 0xffffffe0, s0
	v_cndmask_b32_e64 v17, v13, v11, s0
	s_delay_alu instid0(VALU_DEP_2) | instskip(NEXT) | instid1(VALU_DEP_1)
	v_add_nc_u32_e32 v7, v9, v7
	v_cmp_lt_u32_e64 s1, 31, v7
	s_delay_alu instid0(VALU_DEP_1) | instskip(NEXT) | instid1(VALU_DEP_1)
	v_cndmask_b32_e64 v9, 0, 0xffffffe0, s1
	v_dual_cndmask_b32 v15, v24, v20, vcc_lo :: v_dual_add_nc_u32 v7, v9, v7
	v_cndmask_b32_e32 v9, v22, v18, vcc_lo
	s_delay_alu instid0(VALU_DEP_2) | instskip(NEXT) | instid1(VALU_DEP_2)
	v_dual_cndmask_b32 v13, v14, v13, s0 :: v_dual_cndmask_b32 v11, v11, v15, s0
	v_dual_sub_nc_u32 v14, 32, v7 :: v_dual_cndmask_b32 v15, v15, v9, s0
	s_delay_alu instid0(VALU_DEP_2) | instskip(NEXT) | instid1(VALU_DEP_3)
	v_cndmask_b32_e64 v13, v13, v17, s1
	v_cndmask_b32_e64 v17, v17, v11, s1
	v_cmp_eq_u32_e32 vcc_lo, 0, v7
	s_delay_alu instid0(VALU_DEP_4) | instskip(NEXT) | instid1(VALU_DEP_3)
	v_dual_cndmask_b32 v9, v9, v16, s0 :: v_dual_cndmask_b32 v11, v11, v15, s1
	v_alignbit_b32 v18, v13, v17, v14
	s_delay_alu instid0(VALU_DEP_2) | instskip(NEXT) | instid1(VALU_DEP_3)
	v_cndmask_b32_e64 v9, v15, v9, s1
	v_alignbit_b32 v19, v17, v11, v14
	s_delay_alu instid0(VALU_DEP_3) | instskip(NEXT) | instid1(VALU_DEP_3)
	v_cndmask_b32_e32 v7, v18, v13, vcc_lo
	v_alignbit_b32 v14, v11, v9, v14
	s_delay_alu instid0(VALU_DEP_2) | instskip(NEXT) | instid1(VALU_DEP_2)
	v_bfe_u32 v16, v7, 29, 1
	v_dual_cndmask_b32 v13, v19, v17, vcc_lo :: v_dual_cndmask_b32 v11, v14, v11, vcc_lo
	s_delay_alu instid0(VALU_DEP_2) | instskip(NEXT) | instid1(VALU_DEP_2)
	v_sub_nc_u32_e32 v17, 0, v16
	v_alignbit_b32 v15, v7, v13, 30
	s_delay_alu instid0(VALU_DEP_3) | instskip(SKIP_1) | instid1(VALU_DEP_3)
	v_alignbit_b32 v13, v13, v11, 30
	v_alignbit_b32 v9, v11, v9, 30
	v_xor_b32_e32 v15, v15, v17
	s_delay_alu instid0(VALU_DEP_3) | instskip(NEXT) | instid1(VALU_DEP_3)
	v_xor_b32_e32 v11, v13, v17
	v_dual_lshrrev_b32 v17, 29, v7 :: v_dual_bitop2_b32 v9, v9, v17 bitop3:0x14
	s_delay_alu instid0(VALU_DEP_3) | instskip(NEXT) | instid1(VALU_DEP_1)
	v_clz_i32_u32_e32 v14, v15
	v_min_u32_e32 v14, 32, v14
	s_delay_alu instid0(VALU_DEP_1) | instskip(NEXT) | instid1(VALU_DEP_1)
	v_dual_sub_nc_u32 v13, 31, v14 :: v_dual_lshlrev_b32 v18, 23, v14
	v_alignbit_b32 v15, v15, v11, v13
	v_alignbit_b32 v9, v11, v9, v13
	v_lshlrev_b32_e32 v11, 31, v17
	s_delay_alu instid0(VALU_DEP_2) | instskip(NEXT) | instid1(VALU_DEP_2)
	v_alignbit_b32 v13, v15, v9, 9
	v_or_b32_e32 v17, 0.5, v11
	v_lshrrev_b32_e32 v15, 9, v15
	v_or_b32_e32 v11, 0x33000000, v11
	s_delay_alu instid0(VALU_DEP_4) | instskip(NEXT) | instid1(VALU_DEP_4)
	v_clz_i32_u32_e32 v19, v13
	v_sub_nc_u32_e32 v17, v17, v18
	s_delay_alu instid0(VALU_DEP_2) | instskip(NEXT) | instid1(VALU_DEP_2)
	v_min_u32_e32 v18, 32, v19
	v_or_b32_e32 v15, v15, v17
	s_delay_alu instid0(VALU_DEP_2) | instskip(NEXT) | instid1(VALU_DEP_2)
	v_not_b32_e32 v17, v18
	v_mul_f32_e32 v19, 0x3fc90fda, v15
	v_add_lshl_u32 v14, v18, v14, 23
	s_delay_alu instid0(VALU_DEP_3) | instskip(NEXT) | instid1(VALU_DEP_3)
	v_alignbit_b32 v9, v13, v9, v17
	v_fma_f32 v13, 0x3fc90fda, v15, -v19
	s_delay_alu instid0(VALU_DEP_2) | instskip(NEXT) | instid1(VALU_DEP_2)
	v_dual_sub_nc_u32 v11, v11, v14 :: v_dual_lshrrev_b32 v9, 9, v9
	v_fmamk_f32 v13, v15, 0x33a22168, v13
	s_delay_alu instid0(VALU_DEP_2) | instskip(NEXT) | instid1(VALU_DEP_1)
	v_or_b32_e32 v9, v11, v9
	v_fmac_f32_e32 v13, 0x3fc90fda, v9
	s_delay_alu instid0(VALU_DEP_1) | instskip(NEXT) | instid1(VALU_DEP_1)
	v_dual_lshrrev_b32 v9, 30, v7 :: v_dual_add_f32 v7, v19, v13
	v_add_nc_u32_e32 v9, v16, v9
	s_and_not1_saveexec_b32 s0, s12
	s_branch .LBB22_1648
.LBB22_1647:
	s_and_not1_saveexec_b32 s0, s12
.LBB22_1648:
	v_mul_f32_e64 v7, 0x3f22f983, |v3|
	s_delay_alu instid0(VALU_DEP_1) | instskip(NEXT) | instid1(VALU_DEP_1)
	v_rndne_f32_e32 v9, v7
	v_fma_f32 v7, 0xbfc90fda, v9, |v3|
	s_delay_alu instid0(VALU_DEP_1) | instskip(NEXT) | instid1(VALU_DEP_1)
	v_fmamk_f32 v7, v9, 0xb3a22168, v7
	v_fmamk_f32 v7, v9, 0xa7c234c4, v7
	v_cvt_i32_f32_e32 v9, v9
; %bb.1649:
	s_or_b32 exec_lo, exec_lo, s0
                                        ; implicit-def: $vgpr13
                                        ; implicit-def: $vgpr11
	s_and_saveexec_b32 s0, s2
	s_delay_alu instid0(SALU_CYCLE_1)
	s_xor_b32 s2, exec_lo, s0
	s_cbranch_execz .LBB22_1651
; %bb.1650:
	s_mov_b32 s0, 0x7fffff
	v_mov_b32_e32 v15, 0
	v_and_or_b32 v14, v5, s0, 0x800000
	s_mov_b64 s[0:1], 0xfe5163ab
	v_lshrrev_b32_e32 v11, 23, v5
	s_delay_alu instid0(VALU_DEP_2) | instskip(NEXT) | instid1(VALU_DEP_1)
	v_mul_u64_e32 v[16:17], s[0:1], v[14:15]
	v_dual_mov_b32 v18, v17 :: v_dual_mov_b32 v19, v15
	v_dual_mov_b32 v21, v15 :: v_dual_mov_b32 v23, v15
	v_dual_mov_b32 v25, v15 :: v_dual_mov_b32 v29, v15
	s_delay_alu instid0(VALU_DEP_3) | instskip(NEXT) | instid1(VALU_DEP_1)
	v_mad_nc_u64_u32 v[18:19], 0x3c439041, v14, v[18:19]
	v_mov_b32_e32 v20, v19
	s_delay_alu instid0(VALU_DEP_1) | instskip(NEXT) | instid1(VALU_DEP_1)
	v_mad_nc_u64_u32 v[20:21], 0xdb629599, v14, v[20:21]
	v_mov_b32_e32 v22, v21
	s_delay_alu instid0(VALU_DEP_1) | instskip(NEXT) | instid1(VALU_DEP_1)
	;; [unrolled: 3-line block ×3, first 2 shown]
	v_mad_nc_u64_u32 v[24:25], 0xfc2757d1, v14, v[24:25]
	v_dual_mov_b32 v27, v15 :: v_dual_mov_b32 v26, v25
	s_delay_alu instid0(VALU_DEP_1) | instskip(NEXT) | instid1(VALU_DEP_1)
	v_mad_nc_u64_u32 v[26:27], 0x4e441529, v14, v[26:27]
	v_dual_mov_b32 v28, v27 :: v_dual_add_nc_u32 v11, 0xffffff88, v11
	s_delay_alu instid0(VALU_DEP_1) | instskip(NEXT) | instid1(VALU_DEP_2)
	v_cmp_lt_u32_e32 vcc_lo, 63, v11
	v_mad_nc_u64_u32 v[14:15], 0xa2f9836e, v14, v[28:29]
	v_cndmask_b32_e64 v13, 0, 0xffffffc0, vcc_lo
	v_dual_cndmask_b32 v17, v26, v22 :: v_dual_cndmask_b32 v16, v20, v16
	s_delay_alu instid0(VALU_DEP_2) | instskip(NEXT) | instid1(VALU_DEP_1)
	v_add_nc_u32_e32 v11, v13, v11
	v_cmp_lt_u32_e64 s0, 31, v11
	v_dual_cndmask_b32 v14, v14, v24 :: v_dual_cndmask_b32 v15, v15, v26
	s_delay_alu instid0(VALU_DEP_2) | instskip(NEXT) | instid1(VALU_DEP_1)
	v_cndmask_b32_e64 v13, 0, 0xffffffe0, s0
	v_add_nc_u32_e32 v11, v13, v11
	s_delay_alu instid0(VALU_DEP_1) | instskip(NEXT) | instid1(VALU_DEP_1)
	v_cmp_lt_u32_e64 s1, 31, v11
	v_cndmask_b32_e64 v13, 0, 0xffffffe0, s1
	s_delay_alu instid0(VALU_DEP_1) | instskip(SKIP_2) | instid1(VALU_DEP_3)
	v_dual_cndmask_b32 v19, v24, v20, vcc_lo :: v_dual_add_nc_u32 v11, v13, v11
	v_cndmask_b32_e32 v13, v22, v18, vcc_lo
	v_dual_cndmask_b32 v18, v14, v17, s0 :: v_dual_cndmask_b32 v14, v15, v14, s0
	v_cndmask_b32_e64 v15, v17, v19, s0
	s_delay_alu instid0(VALU_DEP_3) | instskip(SKIP_1) | instid1(VALU_DEP_4)
	v_dual_sub_nc_u32 v17, 32, v11 :: v_dual_cndmask_b32 v19, v19, v13, s0
	v_cmp_eq_u32_e32 vcc_lo, 0, v11
	v_cndmask_b32_e64 v14, v14, v18, s1
	s_delay_alu instid0(VALU_DEP_4) | instskip(NEXT) | instid1(VALU_DEP_4)
	v_cndmask_b32_e64 v18, v18, v15, s1
	v_cndmask_b32_e64 v15, v15, v19, s1
	s_delay_alu instid0(VALU_DEP_2) | instskip(NEXT) | instid1(VALU_DEP_2)
	v_alignbit_b32 v21, v14, v18, v17
	v_alignbit_b32 v20, v18, v15, v17
	v_cndmask_b32_e64 v13, v13, v16, s0
	s_delay_alu instid0(VALU_DEP_3) | instskip(NEXT) | instid1(VALU_DEP_2)
	v_cndmask_b32_e32 v11, v21, v14, vcc_lo
	v_dual_cndmask_b32 v14, v20, v18, vcc_lo :: v_dual_cndmask_b32 v13, v19, v13, s1
	s_delay_alu instid0(VALU_DEP_2) | instskip(NEXT) | instid1(VALU_DEP_2)
	v_bfe_u32 v16, v11, 29, 1
	v_alignbit_b32 v18, v11, v14, 30
	s_delay_alu instid0(VALU_DEP_3) | instskip(NEXT) | instid1(VALU_DEP_1)
	v_alignbit_b32 v17, v15, v13, v17
	v_dual_sub_nc_u32 v19, 0, v16 :: v_dual_cndmask_b32 v15, v17, v15, vcc_lo
	s_delay_alu instid0(VALU_DEP_1) | instskip(NEXT) | instid1(VALU_DEP_2)
	v_xor_b32_e32 v18, v18, v19
	v_alignbit_b32 v14, v14, v15, 30
	v_alignbit_b32 v13, v15, v13, 30
	s_delay_alu instid0(VALU_DEP_3) | instskip(NEXT) | instid1(VALU_DEP_2)
	v_clz_i32_u32_e32 v17, v18
	v_xor_b32_e32 v13, v13, v19
	s_delay_alu instid0(VALU_DEP_2) | instskip(NEXT) | instid1(VALU_DEP_1)
	v_min_u32_e32 v17, 32, v17
	v_dual_lshlrev_b32 v20, 23, v17 :: v_dual_bitop2_b32 v14, v14, v19 bitop3:0x14
	v_sub_nc_u32_e32 v15, 31, v17
	s_delay_alu instid0(VALU_DEP_1) | instskip(SKIP_2) | instid1(VALU_DEP_1)
	v_alignbit_b32 v18, v18, v14, v15
	v_lshrrev_b32_e32 v19, 29, v11
	v_alignbit_b32 v13, v14, v13, v15
	v_alignbit_b32 v15, v18, v13, 9
	s_delay_alu instid0(VALU_DEP_3) | instskip(NEXT) | instid1(VALU_DEP_2)
	v_dual_lshrrev_b32 v18, 9, v18 :: v_dual_lshlrev_b32 v14, 31, v19
	v_clz_i32_u32_e32 v21, v15
	s_delay_alu instid0(VALU_DEP_2) | instskip(SKIP_1) | instid1(VALU_DEP_2)
	v_or_b32_e32 v19, 0.5, v14
	v_or_b32_e32 v14, 0x33000000, v14
	v_sub_nc_u32_e32 v19, v19, v20
	s_delay_alu instid0(VALU_DEP_4) | instskip(NEXT) | instid1(VALU_DEP_2)
	v_min_u32_e32 v20, 32, v21
	v_or_b32_e32 v18, v18, v19
	s_delay_alu instid0(VALU_DEP_2) | instskip(SKIP_1) | instid1(VALU_DEP_3)
	v_not_b32_e32 v19, v20
	v_add_lshl_u32 v17, v20, v17, 23
	v_mul_f32_e32 v21, 0x3fc90fda, v18
	s_delay_alu instid0(VALU_DEP_3) | instskip(NEXT) | instid1(VALU_DEP_3)
	v_alignbit_b32 v13, v15, v13, v19
	v_sub_nc_u32_e32 v14, v14, v17
	s_delay_alu instid0(VALU_DEP_3) | instskip(NEXT) | instid1(VALU_DEP_3)
	v_fma_f32 v15, 0x3fc90fda, v18, -v21
	v_lshrrev_b32_e32 v13, 9, v13
	s_delay_alu instid0(VALU_DEP_2) | instskip(NEXT) | instid1(VALU_DEP_2)
	v_fmamk_f32 v15, v18, 0x33a22168, v15
	v_or_b32_e32 v13, v14, v13
	s_delay_alu instid0(VALU_DEP_1) | instskip(SKIP_1) | instid1(VALU_DEP_1)
	v_fmac_f32_e32 v15, 0x3fc90fda, v13
	v_lshrrev_b32_e32 v13, 30, v11
	v_dual_add_f32 v11, v21, v15 :: v_dual_add_nc_u32 v13, v16, v13
	s_and_not1_saveexec_b32 s0, s2
	s_cbranch_execnz .LBB22_1652
	s_branch .LBB22_1653
.LBB22_1651:
	s_and_not1_saveexec_b32 s0, s2
.LBB22_1652:
	v_mul_f32_e64 v11, 0x3f22f983, |v3|
	s_delay_alu instid0(VALU_DEP_1) | instskip(NEXT) | instid1(VALU_DEP_1)
	v_rndne_f32_e32 v13, v11
	v_fma_f32 v11, 0xbfc90fda, v13, |v3|
	s_delay_alu instid0(VALU_DEP_1) | instskip(NEXT) | instid1(VALU_DEP_1)
	v_fmamk_f32 v11, v13, 0xb3a22168, v11
	v_fmamk_f32 v11, v13, 0xa7c234c4, v11
	v_cvt_i32_f32_e32 v13, v13
.LBB22_1653:
	s_or_b32 exec_lo, exec_lo, s0
	v_div_scale_f32 v14, null, v1, v1, 0x40a00000
	v_div_scale_f32 v17, vcc_lo, 0x40a00000, v1, 0x40a00000
	s_mov_b32 s0, 0xb94c1982
	v_rcp_f32_e32 v15, v14
	v_mul_f32_e32 v24, 0x4f800000, v1
	s_mov_b32 s1, 0x37d75334
	v_xor_b32_e32 v5, v5, v3
	s_delay_alu instid0(TRANS32_DEP_1) | instskip(NEXT) | instid1(VALU_DEP_1)
	v_fma_f32 v16, -v14, v15, 1.0
	v_fmac_f32_e32 v15, v16, v15
	s_delay_alu instid0(VALU_DEP_1) | instskip(NEXT) | instid1(VALU_DEP_1)
	v_mul_f32_e32 v16, v17, v15
	v_fma_f32 v18, -v14, v16, v17
	s_delay_alu instid0(VALU_DEP_1) | instskip(NEXT) | instid1(VALU_DEP_1)
	v_fmac_f32_e32 v16, v18, v15
	v_dual_mul_f32 v18, v11, v11 :: v_dual_fma_f32 v14, -v14, v16, v17
	s_delay_alu instid0(VALU_DEP_1) | instskip(SKIP_1) | instid1(VALU_DEP_3)
	v_fmaak_f32 v27, s0, v18, 0x3c0881c4
	v_fmaak_f32 v28, s1, v18, 0xbab64f3b
	v_div_fmas_f32 v14, v14, v15, v16
	v_dual_mul_f32 v15, v7, v7 :: v_dual_bitop2_b32 v16, 1, v9 bitop3:0x40
	v_lshlrev_b32_e32 v9, 30, v9
	v_fmaak_f32 v27, v18, v27, 0xbe2aaa9d
	s_delay_alu instid0(VALU_DEP_4) | instskip(NEXT) | instid1(VALU_DEP_4)
	v_div_fixup_f32 v14, v14, v1, 0x40a00000
	v_fmaak_f32 v25, s0, v15, 0x3c0881c4
	v_cmp_gt_f32_e64 s0, 0xf800000, v1
	v_and_b32_e32 v19, 1, v13
	v_fmaak_f32 v28, v18, v28, 0x3d2aabf7
	v_mul_f32_e32 v17, v14, v14
	v_fmaak_f32 v25, v15, v25, 0xbe2aaa9d
	v_cndmask_b32_e64 v1, v1, v24, s0
	v_cmp_eq_u32_e64 s2, 0, v16
	v_lshlrev_b32_e32 v13, 30, v13
	v_fmaak_f32 v21, 0, v17, 0x3a15c4d9
	v_dual_fmaak_f32 v20, 0, v17, 0x3d513fd3 :: v_dual_mul_f32 v27, v18, v27
	v_sqrt_f32_e32 v31, v1
	v_fmaak_f32 v23, 0, v17, 0x3a47c962
	s_delay_alu instid0(VALU_DEP_3) | instskip(SKIP_3) | instid1(TRANS32_DEP_1)
	v_fmaak_f32 v21, v17, v21, 0x3d8cfeeb
	v_fmaak_f32 v22, 0, v17, 0x42947983
	v_dual_fmaak_f32 v20, v17, v20, 0x409f6dae :: v_dual_mul_f32 v25, v15, v25
	v_fmaak_f32 v28, v18, v28, 0xbf000004
	v_add_nc_u32_e32 v36, 1, v31
	v_fmaak_f32 v23, v17, v23, 0x3d95ca45
	v_fmaak_f32 v21, v17, v21, 0x3f8d754e
	v_dual_fmaak_f32 v22, v17, v22, 0x44840e5d :: v_dual_fmac_f32 v7, v7, v25
	v_fma_f32 v18, v18, v28, 1.0
	s_delay_alu instid0(VALU_DEP_4) | instskip(NEXT) | instid1(VALU_DEP_4)
	v_fmaak_f32 v23, v17, v23, 0x3f9047f6
	v_fmaak_f32 v21, v17, v21, 0x40a25d18
	s_delay_alu instid0(VALU_DEP_4)
	v_fmaak_f32 v22, v17, v22, 0x459bd349
	v_and_b32_e32 v9, 0x80000000, v9
	v_fmac_f32_e32 v11, v11, v27
	v_fmaak_f32 v23, v17, v23, 0x40a39628
	v_fmaak_f32 v21, v17, v21, 0x410665cf
	;; [unrolled: 1-line block ×3, first 2 shown]
	s_delay_alu instid0(VALU_DEP_3) | instskip(NEXT) | instid1(VALU_DEP_3)
	v_fmaak_f32 v23, v17, v23, 0x4106c8e4
	v_fmaak_f32 v21, v17, v21, 0x40a6b6ea
	s_delay_alu instid0(VALU_DEP_3) | instskip(NEXT) | instid1(VALU_DEP_3)
	v_fmaak_f32 v22, v17, v22, 0x45f9e855
	v_fmaak_f32 v23, v17, v23, 0x40a6dd51
	s_delay_alu instid0(VALU_DEP_3) | instskip(NEXT) | instid1(VALU_DEP_3)
	v_fma_f32 v21, v17, v21, 1.0
	v_fmaak_f32 v22, v17, v22, 0x4530a316
	s_delay_alu instid0(VALU_DEP_3) | instskip(NEXT) | instid1(VALU_DEP_2)
	v_fma_f32 v23, v17, v23, 1.0
	v_fmaak_f32 v22, v17, v22, 0x43a80bfb
	s_delay_alu instid0(VALU_DEP_2) | instskip(SKIP_1) | instid1(VALU_DEP_1)
	v_div_scale_f32 v34, vcc_lo, v23, v21, v23
	v_fmaak_f32 v20, v17, v20, 0x4297a5cd
	v_fmaak_f32 v20, v17, v20, 0x43b763ca
	s_delay_alu instid0(VALU_DEP_1) | instskip(NEXT) | instid1(VALU_DEP_1)
	v_fmaak_f32 v20, v17, v20, 0x4431b6ce
	v_fmaak_f32 v20, v17, v20, 0x44155f56
	s_delay_alu instid0(VALU_DEP_1) | instskip(NEXT) | instid1(VALU_DEP_1)
	v_fmaak_f32 v20, v17, v20, 0x4353b052
	v_fmaak_f32 v17, v17, v20, 0x41c9a7fa
	v_div_scale_f32 v20, null, v21, v21, v23
	s_delay_alu instid0(VALU_DEP_2) | instskip(NEXT) | instid1(VALU_DEP_2)
	v_div_scale_f32 v24, null, v22, v22, v17
	v_rcp_f32_e32 v29, v20
	s_delay_alu instid0(VALU_DEP_1) | instskip(NEXT) | instid1(TRANS32_DEP_2)
	v_rcp_f32_e32 v30, v24
	v_fma_f32 v32, -v20, v29, 1.0
	s_delay_alu instid0(TRANS32_DEP_1) | instskip(NEXT) | instid1(VALU_DEP_1)
	v_fma_f32 v33, -v24, v30, 1.0
	v_dual_fmac_f32 v29, v32, v29 :: v_dual_fmac_f32 v30, v33, v30
	s_delay_alu instid0(VALU_DEP_1) | instskip(NEXT) | instid1(VALU_DEP_1)
	v_dual_add_nc_u32 v33, -1, v31 :: v_dual_mul_f32 v35, v34, v29
	v_fma_f32 v27, -v33, v31, v1
	s_delay_alu instid0(VALU_DEP_2) | instskip(SKIP_2) | instid1(VALU_DEP_2)
	v_fma_f32 v25, -v20, v35, v34
	v_fmaak_f32 v26, s1, v15, 0xbab64f3b
	v_div_scale_f32 v32, s1, v17, v22, v17
	v_dual_fmac_f32 v35, v25, v29 :: v_dual_fmaak_f32 v26, v15, v26, 0x3d2aabf7
	s_delay_alu instid0(VALU_DEP_2) | instskip(NEXT) | instid1(VALU_DEP_2)
	v_mul_f32_e32 v37, v32, v30
	v_fmaak_f32 v26, v15, v26, 0xbf000004
	s_delay_alu instid0(VALU_DEP_1) | instskip(NEXT) | instid1(VALU_DEP_3)
	v_fma_f32 v15, v15, v26, 1.0
	v_fma_f32 v26, -v24, v37, v32
	s_delay_alu instid0(VALU_DEP_1) | instskip(SKIP_3) | instid1(VALU_DEP_4)
	v_dual_fmac_f32 v37, v26, v30 :: v_dual_cndmask_b32 v7, v15, v7, s2
	v_fma_f32 v15, -v20, v35, v34
	v_cmp_eq_u32_e64 s2, 0, v19
	v_fma_f32 v25, -v36, v31, v1
	v_fma_f32 v16, -v24, v37, v32
	v_xor3_b32 v5, v5, v9, v7
	v_div_fmas_f32 v15, v15, v29, v35
	s_mov_b32 vcc_lo, s1
	v_cndmask_b32_e64 v11, -v11, v18, s2
	v_div_fmas_f32 v16, v16, v30, v37
	v_cmp_ge_f32_e32 vcc_lo, 0, v27
	v_cmp_lt_f32_e64 s1, 0, v25
	s_delay_alu instid0(VALU_DEP_3)
	v_div_fixup_f32 v7, v16, v22, v17
	v_cndmask_b32_e32 v18, v31, v33, vcc_lo
	v_cmp_class_f32_e64 vcc_lo, v3, 0x1f8
	v_bitop3_b32 v3, v13, v11, 0x80000000 bitop3:0x6c
	v_div_fixup_f32 v13, v15, v21, v23
	v_mul_f32_e32 v7, v14, v7
	v_cndmask_b32_e64 v9, v18, v36, s1
	v_cndmask_b32_e32 v5, 0x7fc00000, v5, vcc_lo
	v_cndmask_b32_e32 v3, 0x7fc00000, v3, vcc_lo
	v_cmp_class_f32_e64 vcc_lo, v1, 0x260
	s_delay_alu instid0(VALU_DEP_4) | instskip(NEXT) | instid1(VALU_DEP_3)
	v_mul_f32_e32 v11, 0x37800000, v9
	v_mul_f32_e32 v3, v7, v3
	s_delay_alu instid0(VALU_DEP_2) | instskip(NEXT) | instid1(VALU_DEP_2)
	v_cndmask_b32_e64 v7, v9, v11, s0
	v_fmac_f32_e32 v3, v13, v5
	s_delay_alu instid0(VALU_DEP_2) | instskip(NEXT) | instid1(VALU_DEP_2)
	v_cndmask_b32_e32 v1, v7, v1, vcc_lo
	v_mul_f32_e32 v3, 0x3f4c422a, v3
	s_delay_alu instid0(VALU_DEP_1) | instskip(NEXT) | instid1(VALU_DEP_1)
	v_div_scale_f32 v5, null, v1, v1, v3
	v_rcp_f32_e32 v7, v5
	v_nop
	s_delay_alu instid0(TRANS32_DEP_1) | instskip(NEXT) | instid1(VALU_DEP_1)
	v_fma_f32 v9, -v5, v7, 1.0
	v_fmac_f32_e32 v7, v9, v7
	v_div_scale_f32 v9, vcc_lo, v3, v1, v3
	s_delay_alu instid0(VALU_DEP_1) | instskip(NEXT) | instid1(VALU_DEP_1)
	v_mul_f32_e32 v11, v9, v7
	v_fma_f32 v13, -v5, v11, v9
	s_delay_alu instid0(VALU_DEP_1) | instskip(NEXT) | instid1(VALU_DEP_1)
	v_fmac_f32_e32 v11, v13, v7
	v_fma_f32 v5, -v5, v11, v9
	s_delay_alu instid0(VALU_DEP_1) | instskip(NEXT) | instid1(VALU_DEP_1)
	v_div_fmas_f32 v5, v5, v7, v11
	v_div_fixup_f32 v14, v5, v1, v3
.LBB22_1654:
	s_or_b32 exec_lo, exec_lo, s11
	v_mov_b32_e32 v13, 0
	s_cmp_lt_i32 s10, 11
	s_delay_alu instid0(VALU_DEP_1)
	v_add_nc_u64_e32 v[12:13], s[6:7], v[12:13]
	s_cbranch_scc1 .LBB22_1661
; %bb.1655:
	s_cmp_gt_i32 s10, 25
	s_mov_b32 s1, 0
	s_cbranch_scc0 .LBB22_1662
; %bb.1656:
	s_cmp_gt_i32 s10, 28
	s_cbranch_scc0 .LBB22_1663
; %bb.1657:
	s_cmp_gt_i32 s10, 43
	;; [unrolled: 3-line block ×3, first 2 shown]
	s_cbranch_scc0 .LBB22_1666
; %bb.1659:
	s_cmp_eq_u32 s10, 46
	s_mov_b32 s6, 0
	s_cbranch_scc0 .LBB22_1667
; %bb.1660:
	global_load_b32 v1, v[12:13], off
	s_mov_b32 s0, 0
	s_mov_b32 s2, -1
	s_wait_loadcnt 0x0
	v_lshlrev_b32_e32 v1, 16, v1
	s_branch .LBB22_1669
.LBB22_1661:
	s_mov_b32 s0, -1
	s_mov_b32 s2, 0
                                        ; implicit-def: $vgpr1
	s_branch .LBB22_1735
.LBB22_1662:
	s_mov_b32 s6, -1
	s_mov_b32 s2, 0
	s_mov_b32 s0, 0
                                        ; implicit-def: $vgpr1
	s_branch .LBB22_1698
.LBB22_1663:
	s_mov_b32 s6, -1
	s_mov_b32 s2, 0
	s_mov_b32 s0, 0
                                        ; implicit-def: $vgpr1
	s_branch .LBB22_1679
.LBB22_1664:
	s_mov_b32 s6, -1
	s_mov_b32 s2, 0
	s_mov_b32 s0, 0
                                        ; implicit-def: $vgpr1
	s_branch .LBB22_1674
.LBB22_1665:
	s_or_b32 s3, s3, exec_lo
	s_trap 2
	s_cbranch_execz .LBB22_1588
	s_branch .LBB22_1589
.LBB22_1666:
	s_mov_b32 s6, -1
	s_mov_b32 s2, 0
	s_mov_b32 s0, 0
	s_branch .LBB22_1668
.LBB22_1667:
	s_mov_b32 s0, -1
	s_mov_b32 s2, 0
.LBB22_1668:
                                        ; implicit-def: $vgpr1
.LBB22_1669:
	s_and_b32 vcc_lo, exec_lo, s6
	s_cbranch_vccz .LBB22_1673
; %bb.1670:
	s_cmp_eq_u32 s10, 44
	s_cbranch_scc0 .LBB22_1672
; %bb.1671:
	global_load_u8 v1, v[12:13], off
	s_mov_b32 s0, 0
	s_mov_b32 s2, -1
	s_wait_loadcnt 0x0
	v_lshlrev_b32_e32 v3, 23, v1
	v_cmp_ne_u32_e32 vcc_lo, 0xff, v1
	s_delay_alu instid0(VALU_DEP_2) | instskip(SKIP_1) | instid1(VALU_DEP_2)
	v_cndmask_b32_e32 v3, 0x7f800001, v3, vcc_lo
	v_cmp_ne_u32_e32 vcc_lo, 0, v1
	v_cndmask_b32_e32 v1, 0x400000, v3, vcc_lo
	s_branch .LBB22_1673
.LBB22_1672:
	s_mov_b32 s0, -1
                                        ; implicit-def: $vgpr1
.LBB22_1673:
	s_mov_b32 s6, 0
.LBB22_1674:
	s_delay_alu instid0(SALU_CYCLE_1)
	s_and_b32 vcc_lo, exec_lo, s6
	s_cbranch_vccz .LBB22_1678
; %bb.1675:
	s_cmp_eq_u32 s10, 29
	s_cbranch_scc0 .LBB22_1677
; %bb.1676:
	global_load_b64 v[16:17], v[12:13], off
	s_mov_b32 s0, 0
	s_mov_b32 s2, -1
	s_mov_b32 s6, 0
	s_wait_loadcnt 0x0
	v_clz_i32_u32_e32 v1, v17
	s_delay_alu instid0(VALU_DEP_1) | instskip(NEXT) | instid1(VALU_DEP_1)
	v_min_u32_e32 v1, 32, v1
	v_lshlrev_b64_e32 v[16:17], v1, v[16:17]
	v_sub_nc_u32_e32 v1, 32, v1
	s_delay_alu instid0(VALU_DEP_2) | instskip(NEXT) | instid1(VALU_DEP_1)
	v_min_u32_e32 v3, 1, v16
	v_or_b32_e32 v3, v17, v3
	s_delay_alu instid0(VALU_DEP_1) | instskip(NEXT) | instid1(VALU_DEP_1)
	v_cvt_f32_u32_e32 v3, v3
	v_ldexp_f32 v1, v3, v1
	s_branch .LBB22_1679
.LBB22_1677:
	s_mov_b32 s0, -1
                                        ; implicit-def: $vgpr1
.LBB22_1678:
	s_mov_b32 s6, 0
.LBB22_1679:
	s_delay_alu instid0(SALU_CYCLE_1)
	s_and_b32 vcc_lo, exec_lo, s6
	s_cbranch_vccz .LBB22_1697
; %bb.1680:
	s_cmp_lt_i32 s10, 27
	s_cbranch_scc1 .LBB22_1683
; %bb.1681:
	s_cmp_gt_i32 s10, 27
	s_cbranch_scc0 .LBB22_1684
; %bb.1682:
	global_load_b32 v1, v[12:13], off
	s_mov_b32 s2, 0
	s_wait_loadcnt 0x0
	v_cvt_f32_u32_e32 v1, v1
	s_branch .LBB22_1685
.LBB22_1683:
	s_mov_b32 s2, -1
                                        ; implicit-def: $vgpr1
	s_branch .LBB22_1688
.LBB22_1684:
	s_mov_b32 s2, -1
                                        ; implicit-def: $vgpr1
.LBB22_1685:
	s_delay_alu instid0(SALU_CYCLE_1)
	s_and_not1_b32 vcc_lo, exec_lo, s2
	s_cbranch_vccnz .LBB22_1687
; %bb.1686:
	global_load_u16 v1, v[12:13], off
	s_wait_loadcnt 0x0
	v_cvt_f32_u32_e32 v1, v1
.LBB22_1687:
	s_mov_b32 s2, 0
.LBB22_1688:
	s_delay_alu instid0(SALU_CYCLE_1)
	s_and_not1_b32 vcc_lo, exec_lo, s2
	s_cbranch_vccnz .LBB22_1696
; %bb.1689:
	global_load_u8 v3, v[12:13], off
	s_mov_b32 s2, 0
	s_mov_b32 s6, exec_lo
	s_wait_loadcnt 0x0
	v_cmpx_lt_i16_e32 0x7f, v3
	s_xor_b32 s6, exec_lo, s6
	s_cbranch_execz .LBB22_1710
; %bb.1690:
	s_mov_b32 s2, -1
	s_mov_b32 s7, exec_lo
	v_cmpx_eq_u16_e32 0x80, v3
; %bb.1691:
	s_xor_b32 s2, exec_lo, -1
; %bb.1692:
	s_or_b32 exec_lo, exec_lo, s7
	s_delay_alu instid0(SALU_CYCLE_1)
	s_and_b32 s2, s2, exec_lo
	s_or_saveexec_b32 s6, s6
	v_mov_b32_e32 v1, 0x7f800001
	s_xor_b32 exec_lo, exec_lo, s6
	s_cbranch_execnz .LBB22_1711
.LBB22_1693:
	s_or_b32 exec_lo, exec_lo, s6
	s_and_saveexec_b32 s6, s2
	s_cbranch_execz .LBB22_1695
.LBB22_1694:
	v_and_b32_e32 v1, 0xffff, v3
	s_delay_alu instid0(VALU_DEP_1) | instskip(SKIP_1) | instid1(VALU_DEP_2)
	v_and_b32_e32 v5, 7, v1
	v_bfe_u32 v11, v1, 3, 4
	v_clz_i32_u32_e32 v7, v5
	s_delay_alu instid0(VALU_DEP_2) | instskip(NEXT) | instid1(VALU_DEP_2)
	v_cmp_eq_u32_e32 vcc_lo, 0, v11
	v_min_u32_e32 v7, 32, v7
	s_delay_alu instid0(VALU_DEP_1) | instskip(NEXT) | instid1(VALU_DEP_1)
	v_subrev_nc_u32_e32 v9, 28, v7
	v_dual_lshlrev_b32 v1, v9, v1 :: v_dual_sub_nc_u32 v7, 29, v7
	s_delay_alu instid0(VALU_DEP_1) | instskip(NEXT) | instid1(VALU_DEP_1)
	v_dual_lshlrev_b32 v3, 24, v3 :: v_dual_bitop2_b32 v1, 7, v1 bitop3:0x40
	v_dual_cndmask_b32 v1, v5, v1, vcc_lo :: v_dual_cndmask_b32 v7, v11, v7, vcc_lo
	s_delay_alu instid0(VALU_DEP_2) | instskip(NEXT) | instid1(VALU_DEP_2)
	v_and_b32_e32 v3, 0x80000000, v3
	v_lshlrev_b32_e32 v1, 20, v1
	s_delay_alu instid0(VALU_DEP_3) | instskip(NEXT) | instid1(VALU_DEP_1)
	v_lshl_add_u32 v5, v7, 23, 0x3b800000
	v_or3_b32 v1, v3, v5, v1
.LBB22_1695:
	s_or_b32 exec_lo, exec_lo, s6
.LBB22_1696:
	s_mov_b32 s2, -1
.LBB22_1697:
	s_mov_b32 s6, 0
.LBB22_1698:
	s_delay_alu instid0(SALU_CYCLE_1)
	s_and_b32 vcc_lo, exec_lo, s6
	s_cbranch_vccz .LBB22_1731
; %bb.1699:
	s_cmp_gt_i32 s10, 22
	s_cbranch_scc0 .LBB22_1709
; %bb.1700:
	s_cmp_lt_i32 s10, 24
	s_cbranch_scc1 .LBB22_1712
; %bb.1701:
	s_cmp_gt_i32 s10, 24
	s_cbranch_scc0 .LBB22_1713
; %bb.1702:
	global_load_u8 v3, v[12:13], off
	s_mov_b32 s2, exec_lo
	s_wait_loadcnt 0x0
	v_cmpx_lt_i16_e32 0x7f, v3
	s_xor_b32 s2, exec_lo, s2
	s_cbranch_execz .LBB22_1725
; %bb.1703:
	s_mov_b32 s1, -1
	s_mov_b32 s6, exec_lo
	v_cmpx_eq_u16_e32 0x80, v3
; %bb.1704:
	s_xor_b32 s1, exec_lo, -1
; %bb.1705:
	s_or_b32 exec_lo, exec_lo, s6
	s_delay_alu instid0(SALU_CYCLE_1)
	s_and_b32 s1, s1, exec_lo
	s_or_saveexec_b32 s2, s2
	v_mov_b32_e32 v1, 0x7f800001
	s_xor_b32 exec_lo, exec_lo, s2
	s_cbranch_execnz .LBB22_1726
.LBB22_1706:
	s_or_b32 exec_lo, exec_lo, s2
	s_and_saveexec_b32 s2, s1
	s_cbranch_execz .LBB22_1708
.LBB22_1707:
	v_and_b32_e32 v1, 0xffff, v3
	s_delay_alu instid0(VALU_DEP_1) | instskip(SKIP_1) | instid1(VALU_DEP_2)
	v_and_b32_e32 v5, 3, v1
	v_bfe_u32 v11, v1, 2, 5
	v_clz_i32_u32_e32 v7, v5
	s_delay_alu instid0(VALU_DEP_2) | instskip(NEXT) | instid1(VALU_DEP_2)
	v_cmp_eq_u32_e32 vcc_lo, 0, v11
	v_min_u32_e32 v7, 32, v7
	s_delay_alu instid0(VALU_DEP_1) | instskip(NEXT) | instid1(VALU_DEP_1)
	v_subrev_nc_u32_e32 v9, 29, v7
	v_dual_lshlrev_b32 v1, v9, v1 :: v_dual_sub_nc_u32 v7, 30, v7
	s_delay_alu instid0(VALU_DEP_1) | instskip(NEXT) | instid1(VALU_DEP_1)
	v_dual_lshlrev_b32 v3, 24, v3 :: v_dual_bitop2_b32 v1, 3, v1 bitop3:0x40
	v_dual_cndmask_b32 v1, v5, v1, vcc_lo :: v_dual_cndmask_b32 v7, v11, v7, vcc_lo
	s_delay_alu instid0(VALU_DEP_2) | instskip(NEXT) | instid1(VALU_DEP_2)
	v_and_b32_e32 v3, 0x80000000, v3
	v_lshlrev_b32_e32 v1, 21, v1
	s_delay_alu instid0(VALU_DEP_3) | instskip(NEXT) | instid1(VALU_DEP_1)
	v_lshl_add_u32 v5, v7, 23, 0x37800000
	v_or3_b32 v1, v3, v5, v1
.LBB22_1708:
	s_or_b32 exec_lo, exec_lo, s2
	s_mov_b32 s1, 0
	s_branch .LBB22_1714
.LBB22_1709:
	s_mov_b32 s1, -1
                                        ; implicit-def: $vgpr1
	s_branch .LBB22_1720
.LBB22_1710:
	s_or_saveexec_b32 s6, s6
	v_mov_b32_e32 v1, 0x7f800001
	s_xor_b32 exec_lo, exec_lo, s6
	s_cbranch_execz .LBB22_1693
.LBB22_1711:
	v_cmp_ne_u16_e32 vcc_lo, 0, v3
	v_mov_b32_e32 v1, 0
	s_and_not1_b32 s2, s2, exec_lo
	s_and_b32 s7, vcc_lo, exec_lo
	s_delay_alu instid0(SALU_CYCLE_1)
	s_or_b32 s2, s2, s7
	s_or_b32 exec_lo, exec_lo, s6
	s_and_saveexec_b32 s6, s2
	s_cbranch_execnz .LBB22_1694
	s_branch .LBB22_1695
.LBB22_1712:
	s_mov_b32 s1, -1
                                        ; implicit-def: $vgpr1
	s_branch .LBB22_1717
.LBB22_1713:
	s_mov_b32 s1, -1
                                        ; implicit-def: $vgpr1
.LBB22_1714:
	s_delay_alu instid0(SALU_CYCLE_1)
	s_and_b32 vcc_lo, exec_lo, s1
	s_cbranch_vccz .LBB22_1716
; %bb.1715:
	global_load_u8 v1, v[12:13], off
	s_wait_loadcnt 0x0
	v_lshlrev_b32_e32 v1, 24, v1
	s_delay_alu instid0(VALU_DEP_1) | instskip(NEXT) | instid1(VALU_DEP_1)
	v_and_b32_e32 v3, 0x7f000000, v1
	v_clz_i32_u32_e32 v5, v3
	v_add_nc_u32_e32 v9, 0x1000000, v3
	v_cmp_ne_u32_e32 vcc_lo, 0, v3
	s_delay_alu instid0(VALU_DEP_3) | instskip(NEXT) | instid1(VALU_DEP_1)
	v_min_u32_e32 v5, 32, v5
	v_sub_nc_u32_e64 v5, v5, 4 clamp
	s_delay_alu instid0(VALU_DEP_1) | instskip(NEXT) | instid1(VALU_DEP_1)
	v_dual_lshlrev_b32 v7, v5, v3 :: v_dual_lshlrev_b32 v5, 23, v5
	v_lshrrev_b32_e32 v7, 4, v7
	s_delay_alu instid0(VALU_DEP_1) | instskip(SKIP_1) | instid1(VALU_DEP_2)
	v_sub_nc_u32_e32 v5, v7, v5
	v_ashrrev_i32_e32 v7, 8, v9
	v_add_nc_u32_e32 v5, 0x3c000000, v5
	s_delay_alu instid0(VALU_DEP_1) | instskip(NEXT) | instid1(VALU_DEP_1)
	v_and_or_b32 v5, 0x7f800000, v7, v5
	v_cndmask_b32_e32 v3, 0, v5, vcc_lo
	s_delay_alu instid0(VALU_DEP_1)
	v_and_or_b32 v1, 0x80000000, v1, v3
.LBB22_1716:
	s_mov_b32 s1, 0
.LBB22_1717:
	s_delay_alu instid0(SALU_CYCLE_1)
	s_and_not1_b32 vcc_lo, exec_lo, s1
	s_cbranch_vccnz .LBB22_1719
; %bb.1718:
	global_load_u8 v1, v[12:13], off
	s_wait_loadcnt 0x0
	v_lshlrev_b32_e32 v3, 25, v1
	v_lshlrev_b16 v1, 8, v1
	s_delay_alu instid0(VALU_DEP_1) | instskip(SKIP_1) | instid1(VALU_DEP_2)
	v_and_or_b32 v7, 0x7f00, v1, 0.5
	v_bfe_i32 v1, v1, 0, 16
	v_add_f32_e32 v7, -0.5, v7
	v_lshrrev_b32_e32 v5, 4, v3
	v_cmp_gt_u32_e32 vcc_lo, 0x8000000, v3
	s_delay_alu instid0(VALU_DEP_2) | instskip(NEXT) | instid1(VALU_DEP_1)
	v_or_b32_e32 v5, 0x70000000, v5
	v_mul_f32_e32 v5, 0x7800000, v5
	s_delay_alu instid0(VALU_DEP_1) | instskip(NEXT) | instid1(VALU_DEP_1)
	v_cndmask_b32_e32 v3, v5, v7, vcc_lo
	v_and_or_b32 v1, 0x80000000, v1, v3
.LBB22_1719:
	s_mov_b32 s1, 0
	s_mov_b32 s2, -1
.LBB22_1720:
	s_and_not1_b32 vcc_lo, exec_lo, s1
	s_mov_b32 s1, 0
	s_cbranch_vccnz .LBB22_1731
; %bb.1721:
	s_cmp_gt_i32 s10, 14
	s_cbranch_scc0 .LBB22_1724
; %bb.1722:
	s_cmp_eq_u32 s10, 15
	s_cbranch_scc0 .LBB22_1727
; %bb.1723:
	global_load_u16 v1, v[12:13], off
	s_mov_b32 s0, 0
	s_mov_b32 s2, -1
	s_wait_loadcnt 0x0
	v_lshlrev_b32_e32 v1, 16, v1
	s_branch .LBB22_1729
.LBB22_1724:
	s_mov_b32 s1, -1
	s_branch .LBB22_1728
.LBB22_1725:
	s_or_saveexec_b32 s2, s2
	v_mov_b32_e32 v1, 0x7f800001
	s_xor_b32 exec_lo, exec_lo, s2
	s_cbranch_execz .LBB22_1706
.LBB22_1726:
	v_cmp_ne_u16_e32 vcc_lo, 0, v3
	v_mov_b32_e32 v1, 0
	s_and_not1_b32 s1, s1, exec_lo
	s_and_b32 s6, vcc_lo, exec_lo
	s_delay_alu instid0(SALU_CYCLE_1)
	s_or_b32 s1, s1, s6
	s_or_b32 exec_lo, exec_lo, s2
	s_and_saveexec_b32 s2, s1
	s_cbranch_execnz .LBB22_1707
	s_branch .LBB22_1708
.LBB22_1727:
	s_mov_b32 s0, -1
.LBB22_1728:
                                        ; implicit-def: $vgpr1
.LBB22_1729:
	s_and_b32 vcc_lo, exec_lo, s1
	s_mov_b32 s1, 0
	s_cbranch_vccz .LBB22_1731
; %bb.1730:
	s_cmp_lg_u32 s10, 11
	s_mov_b32 s1, -1
	s_cselect_b32 s0, -1, 0
.LBB22_1731:
	s_delay_alu instid0(SALU_CYCLE_1)
	s_and_b32 vcc_lo, exec_lo, s0
	s_cbranch_vccnz .LBB22_2281
; %bb.1732:
	s_and_not1_b32 vcc_lo, exec_lo, s1
	s_cbranch_vccnz .LBB22_1734
.LBB22_1733:
	global_load_u8 v1, v[12:13], off
	s_mov_b32 s2, -1
	s_wait_loadcnt 0x0
	v_cmp_ne_u16_e32 vcc_lo, 0, v1
	v_cndmask_b32_e64 v1, 0, 1.0, vcc_lo
.LBB22_1734:
	s_mov_b32 s0, 0
.LBB22_1735:
	s_delay_alu instid0(SALU_CYCLE_1)
	s_and_b32 vcc_lo, exec_lo, s0
	s_cbranch_vccz .LBB22_1784
; %bb.1736:
	s_cmp_lt_i32 s10, 5
	s_cbranch_scc1 .LBB22_1741
; %bb.1737:
	s_cmp_lt_i32 s10, 8
	s_cbranch_scc1 .LBB22_1742
; %bb.1738:
	s_cmp_lt_i32 s10, 9
	s_cbranch_scc1 .LBB22_1743
; %bb.1739:
	s_cmp_gt_i32 s10, 9
	s_cbranch_scc0 .LBB22_1744
; %bb.1740:
	global_load_b64 v[16:17], v[12:13], off
	s_mov_b32 s0, 0
	s_wait_loadcnt 0x0
	v_cvt_f32_f64_e32 v1, v[16:17]
	s_branch .LBB22_1745
.LBB22_1741:
	s_mov_b32 s0, -1
                                        ; implicit-def: $vgpr1
	s_branch .LBB22_1763
.LBB22_1742:
	s_mov_b32 s0, -1
                                        ; implicit-def: $vgpr1
	s_branch .LBB22_1751
.LBB22_1743:
	s_mov_b32 s0, -1
                                        ; implicit-def: $vgpr1
	s_branch .LBB22_1748
.LBB22_1744:
	s_mov_b32 s0, -1
                                        ; implicit-def: $vgpr1
.LBB22_1745:
	s_delay_alu instid0(SALU_CYCLE_1)
	s_and_not1_b32 vcc_lo, exec_lo, s0
	s_cbranch_vccnz .LBB22_1747
; %bb.1746:
	global_load_b32 v1, v[12:13], off
.LBB22_1747:
	s_mov_b32 s0, 0
.LBB22_1748:
	s_delay_alu instid0(SALU_CYCLE_1)
	s_and_not1_b32 vcc_lo, exec_lo, s0
	s_cbranch_vccnz .LBB22_1750
; %bb.1749:
	s_wait_loadcnt 0x0
	global_load_b32 v1, v[12:13], off
	s_wait_loadcnt 0x0
	v_cvt_f32_f16_e32 v1, v1
.LBB22_1750:
	s_mov_b32 s0, 0
.LBB22_1751:
	s_delay_alu instid0(SALU_CYCLE_1)
	s_and_not1_b32 vcc_lo, exec_lo, s0
	s_cbranch_vccnz .LBB22_1762
; %bb.1752:
	s_cmp_lt_i32 s10, 6
	s_cbranch_scc1 .LBB22_1755
; %bb.1753:
	s_cmp_gt_i32 s10, 6
	s_cbranch_scc0 .LBB22_1756
; %bb.1754:
	global_load_b64 v[16:17], v[12:13], off
	s_mov_b32 s0, 0
	s_wait_loadcnt 0x0
	v_cvt_f32_f64_e32 v1, v[16:17]
	s_branch .LBB22_1757
.LBB22_1755:
	s_mov_b32 s0, -1
                                        ; implicit-def: $vgpr1
	s_branch .LBB22_1760
.LBB22_1756:
	s_mov_b32 s0, -1
                                        ; implicit-def: $vgpr1
.LBB22_1757:
	s_delay_alu instid0(SALU_CYCLE_1)
	s_and_not1_b32 vcc_lo, exec_lo, s0
	s_cbranch_vccnz .LBB22_1759
; %bb.1758:
	s_wait_loadcnt 0x0
	global_load_b32 v1, v[12:13], off
.LBB22_1759:
	s_mov_b32 s0, 0
.LBB22_1760:
	s_delay_alu instid0(SALU_CYCLE_1)
	s_and_not1_b32 vcc_lo, exec_lo, s0
	s_cbranch_vccnz .LBB22_1762
; %bb.1761:
	s_wait_loadcnt 0x0
	global_load_u16 v1, v[12:13], off
	s_wait_loadcnt 0x0
	v_cvt_f32_f16_e32 v1, v1
.LBB22_1762:
	s_mov_b32 s0, 0
.LBB22_1763:
	s_delay_alu instid0(SALU_CYCLE_1)
	s_and_not1_b32 vcc_lo, exec_lo, s0
	s_cbranch_vccnz .LBB22_1783
; %bb.1764:
	s_cmp_lt_i32 s10, 2
	s_cbranch_scc1 .LBB22_1768
; %bb.1765:
	s_cmp_lt_i32 s10, 3
	s_cbranch_scc1 .LBB22_1769
; %bb.1766:
	s_cmp_gt_i32 s10, 3
	s_cbranch_scc0 .LBB22_1770
; %bb.1767:
	global_load_b64 v[16:17], v[12:13], off
	s_mov_b32 s0, 0
	s_wait_loadcnt 0x0
	v_xor_b32_e32 v1, v16, v17
	v_cls_i32_e32 v3, v17
	s_delay_alu instid0(VALU_DEP_2) | instskip(NEXT) | instid1(VALU_DEP_1)
	v_ashrrev_i32_e32 v1, 31, v1
	v_add_nc_u32_e32 v1, 32, v1
	s_delay_alu instid0(VALU_DEP_1) | instskip(NEXT) | instid1(VALU_DEP_1)
	v_add_min_u32_e64 v1, v3, -1, v1
	v_lshlrev_b64_e32 v[16:17], v1, v[16:17]
	v_sub_nc_u32_e32 v1, 32, v1
	s_delay_alu instid0(VALU_DEP_2) | instskip(NEXT) | instid1(VALU_DEP_1)
	v_min_u32_e32 v3, 1, v16
	v_or_b32_e32 v3, v17, v3
	s_delay_alu instid0(VALU_DEP_1) | instskip(NEXT) | instid1(VALU_DEP_1)
	v_cvt_f32_i32_e32 v3, v3
	v_ldexp_f32 v1, v3, v1
	s_branch .LBB22_1771
.LBB22_1768:
	s_mov_b32 s0, -1
                                        ; implicit-def: $vgpr1
	s_branch .LBB22_1777
.LBB22_1769:
	s_mov_b32 s0, -1
                                        ; implicit-def: $vgpr1
	s_branch .LBB22_1774
.LBB22_1770:
	s_mov_b32 s0, -1
                                        ; implicit-def: $vgpr1
.LBB22_1771:
	s_delay_alu instid0(SALU_CYCLE_1)
	s_and_not1_b32 vcc_lo, exec_lo, s0
	s_cbranch_vccnz .LBB22_1773
; %bb.1772:
	s_wait_loadcnt 0x0
	global_load_b32 v1, v[12:13], off
	s_wait_loadcnt 0x0
	v_cvt_f32_i32_e32 v1, v1
.LBB22_1773:
	s_mov_b32 s0, 0
.LBB22_1774:
	s_delay_alu instid0(SALU_CYCLE_1)
	s_and_not1_b32 vcc_lo, exec_lo, s0
	s_cbranch_vccnz .LBB22_1776
; %bb.1775:
	s_wait_loadcnt 0x0
	global_load_i16 v1, v[12:13], off
	s_wait_loadcnt 0x0
	v_cvt_f32_i32_e32 v1, v1
.LBB22_1776:
	s_mov_b32 s0, 0
.LBB22_1777:
	s_delay_alu instid0(SALU_CYCLE_1)
	s_and_not1_b32 vcc_lo, exec_lo, s0
	s_cbranch_vccnz .LBB22_1783
; %bb.1778:
	s_cmp_gt_i32 s10, 0
	s_mov_b32 s0, 0
	s_cbranch_scc0 .LBB22_1780
; %bb.1779:
	s_wait_loadcnt 0x0
	global_load_i8 v1, v[12:13], off
	s_wait_loadcnt 0x0
	v_cvt_f32_i32_e32 v1, v1
	s_branch .LBB22_1781
.LBB22_1780:
	s_mov_b32 s0, -1
                                        ; implicit-def: $vgpr1
.LBB22_1781:
	s_delay_alu instid0(SALU_CYCLE_1)
	s_and_not1_b32 vcc_lo, exec_lo, s0
	s_cbranch_vccnz .LBB22_1783
; %bb.1782:
	s_wait_loadcnt 0x0
	global_load_u8 v1, v[12:13], off
	s_wait_loadcnt 0x0
	v_cvt_f32_ubyte0_e32 v1, v1
.LBB22_1783:
	s_mov_b32 s2, -1
.LBB22_1784:
	s_delay_alu instid0(SALU_CYCLE_1)
	s_and_not1_b32 vcc_lo, exec_lo, s2
	s_cbranch_vccnz .LBB22_1794
; %bb.1785:
                                        ; implicit-def: $vgpr12
	s_mov_b32 s0, exec_lo
	s_wait_loadcnt 0x0
	s_delay_alu instid0(VALU_DEP_1)
	v_cmpx_ge_f32_e32 0x40a00000, v1
	s_xor_b32 s6, exec_lo, s0
	s_cbranch_execz .LBB22_1791
; %bb.1786:
	v_mov_b32_e32 v12, 0xff800000
	s_mov_b32 s7, exec_lo
	v_cmpx_neq_f32_e32 0, v1
	s_cbranch_execz .LBB22_1790
; %bb.1787:
	v_mov_b32_e32 v12, 0x7fc00000
	s_mov_b32 s10, exec_lo
	v_cmpx_nge_f32_e32 0, v1
	s_cbranch_execz .LBB22_1789
; %bb.1788:
	v_mul_f32_e32 v12, v1, v1
	v_mov_b64_e32 v[16:17], 0x4c8c277d4e9695f3
	v_mov_b64_e32 v[20:21], 0x508bc61dd316b96b
	;; [unrolled: 1-line block ×4, first 2 shown]
	v_dual_fmaak_f32 v3, 0, v12, 0x4414934d :: v_dual_mul_f32 v18, 0, v12
	v_fmaak_f32 v5, 0, v12, 0x441b3589
	v_mov_b64_e32 v[26:27], 0x5832585252d295d0
	v_cmp_gt_f32_e64 s0, 0x800000, v1
	s_delay_alu instid0(VALU_DEP_4) | instskip(SKIP_2) | instid1(VALU_DEP_4)
	v_fmaak_f32 v3, v12, v3, 0x48660b06
	v_div_scale_f32 v15, null, v1, v1, -1.0
	v_fmaak_f32 v5, v12, v5, 0x487af6d0
	v_cndmask_b32_e64 v7, 0, 32, s0
	s_delay_alu instid0(VALU_DEP_4) | instskip(NEXT) | instid1(VALU_DEP_3)
	v_mul_f32_e32 v19, v12, v3
	v_fmaak_f32 v3, v12, v5, 0x4c9f4aa7
	s_delay_alu instid0(VALU_DEP_3) | instskip(NEXT) | instid1(VALU_DEP_3)
	v_ldexp_f32 v7, v1, v7
	v_pk_add_f32 v[16:17], v[18:19], v[16:17]
	s_delay_alu instid0(VALU_DEP_3) | instskip(NEXT) | instid1(VALU_DEP_3)
	v_fmaak_f32 v3, v12, v3, 0x50a509fc
	v_log_f32_e32 v7, v7
	s_delay_alu instid0(VALU_DEP_2) | instskip(SKIP_1) | instid1(VALU_DEP_2)
	v_pk_fma_f32 v[16:17], v[12:13], v[16:17], v[20:21] op_sel_hi:[0,1,1]
	v_mov_b64_e32 v[20:21], 0x580d1937d9e700d2
	v_pk_fma_f32 v[16:17], v[12:13], v[16:17], v[22:23] op_sel_hi:[0,1,1]
	v_mov_b64_e32 v[22:23], 0x5b741f1e5c33cd68
	s_delay_alu instid0(VALU_DEP_2) | instskip(SKIP_1) | instid1(VALU_DEP_2)
	v_pk_fma_f32 v[16:17], v[12:13], v[16:17], v[20:21] op_sel_hi:[0,1,1]
	v_mov_b64_e32 v[20:21], 0x5e5c878ddd2cf20b
	v_pk_fma_f32 v[16:17], v[12:13], v[16:17], v[22:23] op_sel_hi:[0,1,1]
	v_rcp_f32_e32 v23, v15
	s_delay_alu instid0(VALU_DEP_1) | instskip(NEXT) | instid1(VALU_DEP_1)
	v_pk_fma_f32 v[16:17], v[12:13], v[16:17], v[20:21] op_sel_hi:[0,1,1]
	v_div_scale_f32 v21, vcc_lo, v16, v17, v16
	v_mul_f32_e32 v19, v12, v3
	v_div_scale_f32 v3, null, v17, v17, v16
	s_delay_alu instid0(VALU_DEP_2) | instskip(SKIP_1) | instid1(VALU_DEP_3)
	v_pk_add_f32 v[18:19], v[18:19], v[24:25]
	v_mov_b64_e32 v[24:25], 0x5b9f0600d6845497
	v_rcp_f32_e32 v9, v3
	s_delay_alu instid0(VALU_DEP_2) | instskip(SKIP_1) | instid1(VALU_DEP_2)
	v_pk_fma_f32 v[18:19], v[12:13], v[18:19], v[26:27] op_sel_hi:[0,1,1]
	v_mov_b64_e32 v[26:27], 0x5e93bcac59515a15
	v_pk_fma_f32 v[18:19], v[12:13], v[18:19], v[24:25] op_sel_hi:[0,1,1]
	v_fma_f32 v24, -v15, v23, 1.0
	s_delay_alu instid0(VALU_DEP_2) | instskip(NEXT) | instid1(TRANS32_DEP_1)
	v_pk_fma_f32 v[18:19], v[12:13], v[18:19], v[26:27] op_sel_hi:[0,1,1]
	v_fma_f32 v13, -v3, v9, 1.0
	v_div_scale_f32 v27, s2, -1.0, v1, -1.0
	s_delay_alu instid0(VALU_DEP_3) | instskip(NEXT) | instid1(VALU_DEP_3)
	v_div_scale_f32 v5, null, v19, v19, v18
	v_fmac_f32_e32 v9, v13, v9
	v_div_scale_f32 v22, s1, v18, v19, v18
	s_delay_alu instid0(VALU_DEP_3) | instskip(NEXT) | instid1(VALU_DEP_2)
	v_rcp_f32_e32 v11, v5
	v_mul_f32_e32 v13, v21, v9
	s_delay_alu instid0(TRANS32_DEP_1) | instskip(NEXT) | instid1(VALU_DEP_1)
	v_fma_f32 v20, -v5, v11, 1.0
	v_fmac_f32_e32 v11, v20, v11
	s_delay_alu instid0(VALU_DEP_1) | instskip(NEXT) | instid1(VALU_DEP_1)
	v_dual_mul_f32 v20, v22, v11 :: v_dual_fma_f32 v25, -v3, v13, v21
	v_fma_f32 v26, -v5, v20, v22
	s_delay_alu instid0(VALU_DEP_2) | instskip(SKIP_1) | instid1(VALU_DEP_3)
	v_dual_mul_f32 v28, 0x3f317217, v7 :: v_dual_fmac_f32 v13, v25, v9
	v_fmac_f32_e32 v23, v24, v23
	v_fmac_f32_e32 v20, v26, v11
	s_delay_alu instid0(VALU_DEP_3) | instskip(NEXT) | instid1(VALU_DEP_4)
	v_fma_f32 v24, 0x3f317217, v7, -v28
	v_fma_f32 v3, -v3, v13, v21
	s_delay_alu instid0(VALU_DEP_3) | instskip(NEXT) | instid1(VALU_DEP_2)
	v_dual_mul_f32 v25, v27, v23 :: v_dual_fma_f32 v5, -v5, v20, v22
	v_div_fmas_f32 v3, v3, v9, v13
	s_mov_b32 vcc_lo, s1
	s_delay_alu instid0(VALU_DEP_2) | instskip(NEXT) | instid1(VALU_DEP_3)
	v_fma_f32 v9, -v15, v25, v27
	v_div_fmas_f32 v5, v5, v11, v20
	v_fmamk_f32 v11, v7, 0x3377d1cf, v24
	v_cmp_gt_f32_e64 vcc_lo, 0x7f800000, |v7|
	v_mov_b64_e32 v[20:21], 0xc16ae95ac244dfb3
	v_div_fixup_f32 v3, v3, v17, v16
	v_div_fixup_f32 v5, v5, v19, v18
	v_fmac_f32_e32 v11, 0x3f317217, v7
	s_delay_alu instid0(VALU_DEP_4) | instskip(NEXT) | instid1(VALU_DEP_2)
	v_pk_add_f32 v[12:13], v[12:13], v[20:21] op_sel_hi:[0,1]
	v_dual_mul_f32 v5, v1, v5 :: v_dual_cndmask_b32 v7, v7, v11, vcc_lo
	v_fmac_f32_e32 v25, v9, v23
	v_cndmask_b32_e64 v9, 0, 0x41b17218, s0
	s_mov_b32 vcc_lo, s2
	s_delay_alu instid0(VALU_DEP_3) | instskip(NEXT) | instid1(VALU_DEP_2)
	v_mul_f32_e32 v5, v13, v5
	v_sub_f32_e32 v7, v7, v9
	v_fma_f32 v15, -v15, v25, v27
	s_delay_alu instid0(VALU_DEP_3) | instskip(NEXT) | instid1(VALU_DEP_2)
	v_mul_f32_e32 v5, v12, v5
	v_div_fmas_f32 v11, v15, v23, v25
	s_delay_alu instid0(VALU_DEP_1) | instskip(NEXT) | instid1(VALU_DEP_1)
	v_div_fixup_f32 v9, v11, v1, -1.0
	v_fmac_f32_e32 v9, v7, v5
	s_delay_alu instid0(VALU_DEP_1) | instskip(NEXT) | instid1(VALU_DEP_1)
	v_mul_f32_e32 v12, 0x3f22f983, v9
	v_fmac_f32_e32 v12, v1, v3
.LBB22_1789:
	s_or_b32 exec_lo, exec_lo, s10
.LBB22_1790:
	s_delay_alu instid0(SALU_CYCLE_1)
	s_or_b32 exec_lo, exec_lo, s7
                                        ; implicit-def: $vgpr1
.LBB22_1791:
	s_and_not1_saveexec_b32 s6, s6
	s_cbranch_execz .LBB22_1846
; %bb.1792:
	v_add_f32_e32 v3, 0xc016cbe4, v1
                                        ; implicit-def: $vgpr9
                                        ; implicit-def: $vgpr7
	s_delay_alu instid0(VALU_DEP_1) | instskip(SKIP_2) | instid1(SALU_CYCLE_1)
	v_and_b32_e32 v5, 0x7fffffff, v3
	v_cmp_ngt_f32_e64 s2, 0x48000000, |v3|
	s_and_saveexec_b32 s0, s2
	s_xor_b32 s7, exec_lo, s0
	s_cbranch_execz .LBB22_1839
; %bb.1793:
	s_mov_b32 s0, 0x7fffff
	v_mov_b32_e32 v13, 0
	v_and_or_b32 v12, v5, s0, 0x800000
	s_mov_b64 s[0:1], 0xfe5163ab
	v_lshrrev_b32_e32 v7, 23, v5
	s_delay_alu instid0(VALU_DEP_2) | instskip(NEXT) | instid1(VALU_DEP_1)
	v_mul_u64_e32 v[16:17], s[0:1], v[12:13]
	v_dual_mov_b32 v18, v17 :: v_dual_mov_b32 v19, v13
	v_dual_mov_b32 v21, v13 :: v_dual_mov_b32 v23, v13
	v_mov_b32_e32 v25, v13
	s_delay_alu instid0(VALU_DEP_3) | instskip(NEXT) | instid1(VALU_DEP_1)
	v_mad_nc_u64_u32 v[18:19], 0x3c439041, v12, v[18:19]
	v_mov_b32_e32 v20, v19
	s_delay_alu instid0(VALU_DEP_1) | instskip(NEXT) | instid1(VALU_DEP_1)
	v_mad_nc_u64_u32 v[20:21], 0xdb629599, v12, v[20:21]
	v_mov_b32_e32 v22, v21
	s_delay_alu instid0(VALU_DEP_1) | instskip(NEXT) | instid1(VALU_DEP_1)
	;; [unrolled: 3-line block ×3, first 2 shown]
	v_mad_nc_u64_u32 v[24:25], 0xfc2757d1, v12, v[24:25]
	v_dual_mov_b32 v27, v13 :: v_dual_mov_b32 v26, v25
	s_delay_alu instid0(VALU_DEP_1) | instskip(NEXT) | instid1(VALU_DEP_1)
	v_mad_nc_u64_u32 v[26:27], 0x4e441529, v12, v[26:27]
	v_dual_mov_b32 v28, v27 :: v_dual_add_nc_u32 v7, 0xffffff88, v7
	s_delay_alu instid0(VALU_DEP_1) | instskip(SKIP_2) | instid1(VALU_DEP_2)
	v_cmp_lt_u32_e32 vcc_lo, 63, v7
	v_mov_b32_e32 v29, v13
	v_cndmask_b32_e64 v9, 0, 0xffffffc0, vcc_lo
	v_mad_nc_u64_u32 v[12:13], 0xa2f9836e, v12, v[28:29]
	v_dual_cndmask_b32 v11, v26, v22, vcc_lo :: v_dual_cndmask_b32 v15, v24, v20, vcc_lo
	s_delay_alu instid0(VALU_DEP_3) | instskip(NEXT) | instid1(VALU_DEP_1)
	v_dual_cndmask_b32 v16, v20, v16 :: v_dual_add_nc_u32 v7, v9, v7
	v_cmp_lt_u32_e64 s0, 31, v7
	s_delay_alu instid0(VALU_DEP_4) | instskip(NEXT) | instid1(VALU_DEP_2)
	v_dual_cndmask_b32 v12, v12, v24 :: v_dual_cndmask_b32 v13, v13, v26
	v_cndmask_b32_e64 v9, 0, 0xffffffe0, s0
	s_delay_alu instid0(VALU_DEP_2) | instskip(SKIP_1) | instid1(VALU_DEP_3)
	v_dual_cndmask_b32 v17, v12, v11, s0 :: v_dual_cndmask_b32 v12, v13, v12, s0
	v_cndmask_b32_e64 v11, v11, v15, s0
	v_add_nc_u32_e32 v7, v9, v7
	s_delay_alu instid0(VALU_DEP_1) | instskip(NEXT) | instid1(VALU_DEP_1)
	v_cmp_lt_u32_e64 s1, 31, v7
	v_cndmask_b32_e64 v9, 0, 0xffffffe0, s1
	s_delay_alu instid0(VALU_DEP_4) | instskip(NEXT) | instid1(VALU_DEP_2)
	v_dual_cndmask_b32 v12, v12, v17, s1 :: v_dual_cndmask_b32 v17, v17, v11, s1
	v_dual_add_nc_u32 v7, v9, v7 :: v_dual_cndmask_b32 v9, v22, v18, vcc_lo
	s_delay_alu instid0(VALU_DEP_1) | instskip(SKIP_2) | instid1(VALU_DEP_3)
	v_dual_sub_nc_u32 v13, 32, v7 :: v_dual_cndmask_b32 v15, v15, v9, s0
	v_cmp_eq_u32_e32 vcc_lo, 0, v7
	v_cndmask_b32_e64 v9, v9, v16, s0
	v_alignbit_b32 v18, v12, v17, v13
	s_delay_alu instid0(VALU_DEP_4) | instskip(NEXT) | instid1(VALU_DEP_1)
	v_cndmask_b32_e64 v11, v11, v15, s1
	v_alignbit_b32 v19, v17, v11, v13
	s_delay_alu instid0(VALU_DEP_1) | instskip(NEXT) | instid1(VALU_DEP_1)
	v_dual_cndmask_b32 v7, v18, v12 :: v_dual_cndmask_b32 v12, v19, v17
	v_bfe_u32 v16, v7, 29, 1
	s_delay_alu instid0(VALU_DEP_1) | instskip(NEXT) | instid1(VALU_DEP_3)
	v_dual_sub_nc_u32 v17, 0, v16 :: v_dual_cndmask_b32 v9, v15, v9, s1
	v_alignbit_b32 v15, v7, v12, 30
	s_delay_alu instid0(VALU_DEP_2) | instskip(NEXT) | instid1(VALU_DEP_1)
	v_alignbit_b32 v13, v11, v9, v13
	v_dual_cndmask_b32 v11, v13, v11, vcc_lo :: v_dual_bitop2_b32 v15, v15, v17 bitop3:0x14
	s_delay_alu instid0(VALU_DEP_1) | instskip(SKIP_1) | instid1(VALU_DEP_2)
	v_alignbit_b32 v12, v12, v11, 30
	v_alignbit_b32 v9, v11, v9, 30
	v_xor_b32_e32 v11, v12, v17
	s_delay_alu instid0(VALU_DEP_2) | instskip(SKIP_1) | instid1(VALU_DEP_1)
	v_dual_lshrrev_b32 v17, 29, v7 :: v_dual_bitop2_b32 v9, v9, v17 bitop3:0x14
	v_clz_i32_u32_e32 v13, v15
	v_min_u32_e32 v13, 32, v13
	s_delay_alu instid0(VALU_DEP_1) | instskip(NEXT) | instid1(VALU_DEP_1)
	v_sub_nc_u32_e32 v12, 31, v13
	v_alignbit_b32 v15, v15, v11, v12
	v_alignbit_b32 v9, v11, v9, v12
	v_lshlrev_b32_e32 v11, 31, v17
	v_lshlrev_b32_e32 v18, 23, v13
	s_delay_alu instid0(VALU_DEP_3) | instskip(NEXT) | instid1(VALU_DEP_3)
	v_alignbit_b32 v12, v15, v9, 9
	v_or_b32_e32 v17, 0.5, v11
	v_lshrrev_b32_e32 v15, 9, v15
	v_or_b32_e32 v11, 0x33000000, v11
	s_delay_alu instid0(VALU_DEP_4) | instskip(NEXT) | instid1(VALU_DEP_4)
	v_clz_i32_u32_e32 v19, v12
	v_sub_nc_u32_e32 v17, v17, v18
	s_delay_alu instid0(VALU_DEP_2) | instskip(NEXT) | instid1(VALU_DEP_2)
	v_min_u32_e32 v18, 32, v19
	v_or_b32_e32 v15, v15, v17
	s_delay_alu instid0(VALU_DEP_2) | instskip(SKIP_1) | instid1(VALU_DEP_2)
	v_not_b32_e32 v17, v18
	v_add_lshl_u32 v13, v18, v13, 23
	v_alignbit_b32 v9, v12, v9, v17
	s_delay_alu instid0(VALU_DEP_2) | instskip(NEXT) | instid1(VALU_DEP_2)
	v_sub_nc_u32_e32 v11, v11, v13
	v_lshrrev_b32_e32 v9, 9, v9
	s_delay_alu instid0(VALU_DEP_1) | instskip(SKIP_1) | instid1(VALU_DEP_1)
	v_or_b32_e32 v9, v11, v9
	v_mul_f32_e32 v19, 0x3fc90fda, v15
	v_fma_f32 v12, 0x3fc90fda, v15, -v19
	s_delay_alu instid0(VALU_DEP_1) | instskip(NEXT) | instid1(VALU_DEP_1)
	v_fmamk_f32 v12, v15, 0x33a22168, v12
	v_dual_fmac_f32 v12, 0x3fc90fda, v9 :: v_dual_lshrrev_b32 v9, 30, v7
	s_delay_alu instid0(VALU_DEP_1)
	v_dual_add_f32 v7, v19, v12 :: v_dual_add_nc_u32 v9, v16, v9
	s_and_not1_saveexec_b32 s0, s7
	s_branch .LBB22_1840
.LBB22_1794:
	s_mov_b32 s0, 0
	s_mov_b32 s4, 0
                                        ; implicit-def: $vgpr2_vgpr3
                                        ; implicit-def: $sgpr1
                                        ; implicit-def: $vgpr12
.LBB22_1795:
	s_and_not1_b32 s2, s8, exec_lo
	s_and_b32 s3, s3, exec_lo
	s_and_b32 s0, s0, exec_lo
	;; [unrolled: 1-line block ×3, first 2 shown]
	s_or_b32 s8, s2, s3
.LBB22_1796:
	s_wait_xcnt 0x0
	s_or_b32 exec_lo, exec_lo, s9
	s_and_saveexec_b32 s2, s8
	s_cbranch_execz .LBB22_1799
; %bb.1797:
	; divergent unreachable
	s_or_b32 exec_lo, exec_lo, s2
	s_and_saveexec_b32 s2, s30
	s_delay_alu instid0(SALU_CYCLE_1)
	s_xor_b32 s2, exec_lo, s2
	s_cbranch_execnz .LBB22_1800
.LBB22_1798:
	s_or_b32 exec_lo, exec_lo, s2
	s_and_saveexec_b32 s2, s0
	s_cbranch_execnz .LBB22_1801
	s_branch .LBB22_1838
.LBB22_1799:
	s_or_b32 exec_lo, exec_lo, s2
	s_and_saveexec_b32 s2, s30
	s_delay_alu instid0(SALU_CYCLE_1)
	s_xor_b32 s2, exec_lo, s2
	s_cbranch_execz .LBB22_1798
.LBB22_1800:
	v_cmp_neq_f32_e32 vcc_lo, 0, v12
	v_cndmask_b32_e64 v0, 0, 1, vcc_lo
	global_store_b8 v[2:3], v0, off
	s_wait_xcnt 0x0
	s_or_b32 exec_lo, exec_lo, s2
	s_and_saveexec_b32 s2, s0
	s_cbranch_execz .LBB22_1838
.LBB22_1801:
	s_sext_i32_i16 s2, s1
	s_mov_b32 s0, -1
	s_cmp_lt_i32 s2, 5
	s_cbranch_scc1 .LBB22_1822
; %bb.1802:
	s_cmp_lt_i32 s2, 8
	s_cbranch_scc1 .LBB22_1812
; %bb.1803:
	;; [unrolled: 3-line block ×3, first 2 shown]
	s_cmp_gt_i32 s2, 9
	s_cbranch_scc0 .LBB22_1806
; %bb.1805:
	v_cvt_f64_f32_e32 v[4:5], v12
	v_mov_b32_e32 v6, 0
	s_mov_b32 s0, 0
	s_delay_alu instid0(VALU_DEP_1)
	v_mov_b32_e32 v7, v6
	global_store_b128 v[2:3], v[4:7], off
.LBB22_1806:
	s_and_not1_b32 vcc_lo, exec_lo, s0
	s_cbranch_vccnz .LBB22_1808
; %bb.1807:
	v_mov_b32_e32 v13, 0
	global_store_b64 v[2:3], v[12:13], off
.LBB22_1808:
	s_mov_b32 s0, 0
.LBB22_1809:
	s_delay_alu instid0(SALU_CYCLE_1)
	s_and_not1_b32 vcc_lo, exec_lo, s0
	s_cbranch_vccnz .LBB22_1811
; %bb.1810:
	v_cvt_f16_f32_e32 v0, v12
	s_delay_alu instid0(VALU_DEP_1)
	v_and_b32_e32 v0, 0xffff, v0
	global_store_b32 v[2:3], v0, off
.LBB22_1811:
	s_mov_b32 s0, 0
.LBB22_1812:
	s_delay_alu instid0(SALU_CYCLE_1)
	s_and_not1_b32 vcc_lo, exec_lo, s0
	s_cbranch_vccnz .LBB22_1821
; %bb.1813:
	s_sext_i32_i16 s2, s1
	s_mov_b32 s0, -1
	s_cmp_lt_i32 s2, 6
	s_cbranch_scc1 .LBB22_1819
; %bb.1814:
	s_cmp_gt_i32 s2, 6
	s_cbranch_scc0 .LBB22_1816
; %bb.1815:
	s_wait_loadcnt 0x0
	v_cvt_f64_f32_e32 v[0:1], v12
	s_mov_b32 s0, 0
	global_store_b64 v[2:3], v[0:1], off
.LBB22_1816:
	s_and_not1_b32 vcc_lo, exec_lo, s0
	s_cbranch_vccnz .LBB22_1818
; %bb.1817:
	global_store_b32 v[2:3], v12, off
.LBB22_1818:
	s_mov_b32 s0, 0
.LBB22_1819:
	s_delay_alu instid0(SALU_CYCLE_1)
	s_and_not1_b32 vcc_lo, exec_lo, s0
	s_cbranch_vccnz .LBB22_1821
; %bb.1820:
	s_wait_xcnt 0x0
	v_cvt_f16_f32_e32 v0, v12
	global_store_b16 v[2:3], v0, off
.LBB22_1821:
	s_mov_b32 s0, 0
.LBB22_1822:
	s_delay_alu instid0(SALU_CYCLE_1)
	s_and_not1_b32 vcc_lo, exec_lo, s0
	s_cbranch_vccnz .LBB22_1838
; %bb.1823:
	s_sext_i32_i16 s2, s1
	s_mov_b32 s0, -1
	s_cmp_lt_i32 s2, 2
	s_cbranch_scc1 .LBB22_1833
; %bb.1824:
	s_cmp_lt_i32 s2, 3
	s_cbranch_scc1 .LBB22_1830
; %bb.1825:
	s_cmp_gt_i32 s2, 3
	s_cbranch_scc0 .LBB22_1827
; %bb.1826:
	s_wait_xcnt 0x0
	v_trunc_f32_e32 v0, v12
	s_mov_b32 s0, 0
	s_wait_loadcnt 0x0
	s_delay_alu instid0(VALU_DEP_1) | instskip(NEXT) | instid1(VALU_DEP_1)
	v_mul_f32_e64 v1, 0x2f800000, |v0|
	v_floor_f32_e32 v1, v1
	s_delay_alu instid0(VALU_DEP_1) | instskip(SKIP_2) | instid1(VALU_DEP_3)
	v_fma_f32 v4, 0xcf800000, v1, |v0|
	v_ashrrev_i32_e32 v0, 31, v0
	v_cvt_u32_f32_e32 v5, v1
	v_cvt_u32_f32_e32 v4, v4
	s_delay_alu instid0(VALU_DEP_2) | instskip(NEXT) | instid1(VALU_DEP_2)
	v_dual_mov_b32 v1, v0 :: v_dual_bitop2_b32 v5, v5, v0 bitop3:0x14
	v_xor_b32_e32 v4, v4, v0
	s_delay_alu instid0(VALU_DEP_1)
	v_sub_nc_u64_e32 v[0:1], v[4:5], v[0:1]
	global_store_b64 v[2:3], v[0:1], off
.LBB22_1827:
	s_and_not1_b32 vcc_lo, exec_lo, s0
	s_cbranch_vccnz .LBB22_1829
; %bb.1828:
	s_wait_xcnt 0x0
	v_cvt_i32_f32_e32 v0, v12
	global_store_b32 v[2:3], v0, off
.LBB22_1829:
	s_mov_b32 s0, 0
.LBB22_1830:
	s_delay_alu instid0(SALU_CYCLE_1)
	s_and_not1_b32 vcc_lo, exec_lo, s0
	s_cbranch_vccnz .LBB22_1832
; %bb.1831:
	s_wait_xcnt 0x0
	v_cvt_i32_f32_e32 v0, v12
	global_store_b16 v[2:3], v0, off
.LBB22_1832:
	s_mov_b32 s0, 0
.LBB22_1833:
	s_delay_alu instid0(SALU_CYCLE_1)
	s_and_not1_b32 vcc_lo, exec_lo, s0
	s_cbranch_vccnz .LBB22_1838
; %bb.1834:
	s_sext_i32_i16 s0, s1
	s_delay_alu instid0(SALU_CYCLE_1)
	s_cmp_gt_i32 s0, 0
	s_mov_b32 s0, -1
	s_cbranch_scc0 .LBB22_1836
; %bb.1835:
	s_wait_xcnt 0x0
	v_cvt_i32_f32_e32 v0, v12
	s_mov_b32 s0, 0
	global_store_b8 v[2:3], v0, off
.LBB22_1836:
	s_and_not1_b32 vcc_lo, exec_lo, s0
	s_cbranch_vccnz .LBB22_1838
; %bb.1837:
	s_wait_xcnt 0x0
	v_trunc_f32_e32 v0, v12
	s_wait_loadcnt 0x0
	s_delay_alu instid0(VALU_DEP_1) | instskip(NEXT) | instid1(VALU_DEP_1)
	v_mul_f32_e64 v1, 0x2f800000, |v0|
	v_floor_f32_e32 v1, v1
	s_delay_alu instid0(VALU_DEP_1) | instskip(SKIP_1) | instid1(VALU_DEP_2)
	v_fma_f32 v1, 0xcf800000, v1, |v0|
	v_ashrrev_i32_e32 v0, 31, v0
	v_cvt_u32_f32_e32 v1, v1
	s_delay_alu instid0(VALU_DEP_1) | instskip(NEXT) | instid1(VALU_DEP_1)
	v_xor_b32_e32 v1, v1, v0
	v_sub_nc_u32_e32 v0, v1, v0
	global_store_b8 v[2:3], v0, off
	s_endpgm
.LBB22_1838:
	s_endpgm
.LBB22_1839:
	s_and_not1_saveexec_b32 s0, s7
.LBB22_1840:
	v_mul_f32_e64 v7, 0x3f22f983, |v3|
	s_delay_alu instid0(VALU_DEP_1) | instskip(NEXT) | instid1(VALU_DEP_1)
	v_rndne_f32_e32 v9, v7
	v_fma_f32 v7, 0xbfc90fda, v9, |v3|
	s_delay_alu instid0(VALU_DEP_1) | instskip(NEXT) | instid1(VALU_DEP_1)
	v_fmamk_f32 v7, v9, 0xb3a22168, v7
	v_fmamk_f32 v7, v9, 0xa7c234c4, v7
	v_cvt_i32_f32_e32 v9, v9
; %bb.1841:
	s_or_b32 exec_lo, exec_lo, s0
                                        ; implicit-def: $vgpr12
                                        ; implicit-def: $vgpr11
	s_and_saveexec_b32 s0, s2
	s_delay_alu instid0(SALU_CYCLE_1)
	s_xor_b32 s2, exec_lo, s0
	s_cbranch_execz .LBB22_1843
; %bb.1842:
	s_mov_b32 s0, 0x7fffff
	v_mov_b32_e32 v13, 0
	v_and_or_b32 v12, v5, s0, 0x800000
	s_mov_b64 s[0:1], 0xfe5163ab
	v_lshrrev_b32_e32 v11, 23, v5
	s_delay_alu instid0(VALU_DEP_2) | instskip(NEXT) | instid1(VALU_DEP_1)
	v_mul_u64_e32 v[16:17], s[0:1], v[12:13]
	v_dual_mov_b32 v18, v17 :: v_dual_mov_b32 v19, v13
	v_dual_mov_b32 v21, v13 :: v_dual_mov_b32 v23, v13
	;; [unrolled: 1-line block ×3, first 2 shown]
	s_delay_alu instid0(VALU_DEP_3) | instskip(NEXT) | instid1(VALU_DEP_1)
	v_mad_nc_u64_u32 v[18:19], 0x3c439041, v12, v[18:19]
	v_mov_b32_e32 v20, v19
	s_delay_alu instid0(VALU_DEP_1) | instskip(NEXT) | instid1(VALU_DEP_1)
	v_mad_nc_u64_u32 v[20:21], 0xdb629599, v12, v[20:21]
	v_mov_b32_e32 v22, v21
	s_delay_alu instid0(VALU_DEP_1) | instskip(NEXT) | instid1(VALU_DEP_1)
	;; [unrolled: 3-line block ×3, first 2 shown]
	v_mad_nc_u64_u32 v[24:25], 0xfc2757d1, v12, v[24:25]
	v_dual_mov_b32 v27, v13 :: v_dual_mov_b32 v26, v25
	s_delay_alu instid0(VALU_DEP_1) | instskip(NEXT) | instid1(VALU_DEP_1)
	v_mad_nc_u64_u32 v[26:27], 0x4e441529, v12, v[26:27]
	v_dual_mov_b32 v28, v27 :: v_dual_add_nc_u32 v11, 0xffffff88, v11
	s_delay_alu instid0(VALU_DEP_1) | instskip(NEXT) | instid1(VALU_DEP_2)
	v_cmp_lt_u32_e32 vcc_lo, 63, v11
	v_mad_nc_u64_u32 v[12:13], 0xa2f9836e, v12, v[28:29]
	v_cndmask_b32_e64 v15, 0, 0xffffffc0, vcc_lo
	v_dual_cndmask_b32 v17, v26, v22 :: v_dual_cndmask_b32 v16, v20, v16
	s_delay_alu instid0(VALU_DEP_2) | instskip(NEXT) | instid1(VALU_DEP_1)
	v_add_nc_u32_e32 v11, v15, v11
	v_cmp_lt_u32_e64 s0, 31, v11
	v_dual_cndmask_b32 v12, v12, v24 :: v_dual_cndmask_b32 v13, v13, v26
	s_delay_alu instid0(VALU_DEP_2) | instskip(NEXT) | instid1(VALU_DEP_1)
	v_cndmask_b32_e64 v15, 0, 0xffffffe0, s0
	v_add_nc_u32_e32 v11, v15, v11
	s_delay_alu instid0(VALU_DEP_1) | instskip(NEXT) | instid1(VALU_DEP_1)
	v_cmp_lt_u32_e64 s1, 31, v11
	v_cndmask_b32_e64 v15, 0, 0xffffffe0, s1
	s_delay_alu instid0(VALU_DEP_1) | instskip(SKIP_2) | instid1(VALU_DEP_3)
	v_dual_cndmask_b32 v19, v24, v20, vcc_lo :: v_dual_add_nc_u32 v11, v15, v11
	v_dual_cndmask_b32 v15, v22, v18, vcc_lo :: v_dual_cndmask_b32 v18, v12, v17, s0
	v_cndmask_b32_e64 v12, v13, v12, s0
	v_cndmask_b32_e64 v13, v17, v19, s0
	s_delay_alu instid0(VALU_DEP_4) | instskip(NEXT) | instid1(VALU_DEP_4)
	v_sub_nc_u32_e32 v17, 32, v11
	v_cndmask_b32_e64 v19, v19, v15, s0
	v_cmp_eq_u32_e32 vcc_lo, 0, v11
	s_delay_alu instid0(VALU_DEP_4) | instskip(NEXT) | instid1(VALU_DEP_3)
	v_dual_cndmask_b32 v12, v12, v18, s1 :: v_dual_cndmask_b32 v18, v18, v13, s1
	v_cndmask_b32_e64 v13, v13, v19, s1
	s_delay_alu instid0(VALU_DEP_2) | instskip(NEXT) | instid1(VALU_DEP_2)
	v_alignbit_b32 v21, v12, v18, v17
	v_alignbit_b32 v20, v18, v13, v17
	s_delay_alu instid0(VALU_DEP_2) | instskip(NEXT) | instid1(VALU_DEP_2)
	v_cndmask_b32_e32 v11, v21, v12, vcc_lo
	v_dual_cndmask_b32 v12, v15, v16, s0 :: v_dual_cndmask_b32 v15, v20, v18, vcc_lo
	s_delay_alu instid0(VALU_DEP_2) | instskip(NEXT) | instid1(VALU_DEP_2)
	v_bfe_u32 v16, v11, 29, 1
	v_alignbit_b32 v18, v11, v15, 30
	s_delay_alu instid0(VALU_DEP_3) | instskip(NEXT) | instid1(VALU_DEP_3)
	v_cndmask_b32_e64 v12, v19, v12, s1
	v_sub_nc_u32_e32 v19, 0, v16
	s_delay_alu instid0(VALU_DEP_1) | instskip(NEXT) | instid1(VALU_DEP_3)
	v_xor_b32_e32 v18, v18, v19
	v_alignbit_b32 v17, v13, v12, v17
	s_delay_alu instid0(VALU_DEP_1) | instskip(NEXT) | instid1(VALU_DEP_3)
	v_cndmask_b32_e32 v13, v17, v13, vcc_lo
	v_clz_i32_u32_e32 v17, v18
	s_delay_alu instid0(VALU_DEP_2) | instskip(NEXT) | instid1(VALU_DEP_2)
	v_alignbit_b32 v12, v13, v12, 30
	v_min_u32_e32 v17, 32, v17
	s_delay_alu instid0(VALU_DEP_2) | instskip(SKIP_1) | instid1(VALU_DEP_1)
	v_xor_b32_e32 v12, v12, v19
	v_alignbit_b32 v15, v15, v13, 30
	v_dual_lshlrev_b32 v20, 23, v17 :: v_dual_bitop2_b32 v13, v15, v19 bitop3:0x14
	v_dual_sub_nc_u32 v15, 31, v17 :: v_dual_lshrrev_b32 v19, 29, v11
	s_delay_alu instid0(VALU_DEP_1) | instskip(SKIP_1) | instid1(VALU_DEP_3)
	v_alignbit_b32 v18, v18, v13, v15
	v_alignbit_b32 v12, v13, v12, v15
	v_lshlrev_b32_e32 v13, 31, v19
	s_delay_alu instid0(VALU_DEP_2) | instskip(NEXT) | instid1(VALU_DEP_2)
	v_alignbit_b32 v15, v18, v12, 9
	v_dual_lshrrev_b32 v18, 9, v18 :: v_dual_bitop2_b32 v19, 0.5, v13 bitop3:0x54
	s_delay_alu instid0(VALU_DEP_2) | instskip(NEXT) | instid1(VALU_DEP_2)
	v_clz_i32_u32_e32 v21, v15
	v_sub_nc_u32_e32 v19, v19, v20
	v_or_b32_e32 v13, 0x33000000, v13
	s_delay_alu instid0(VALU_DEP_3) | instskip(NEXT) | instid1(VALU_DEP_1)
	v_min_u32_e32 v20, 32, v21
	v_add_lshl_u32 v17, v20, v17, 23
	s_delay_alu instid0(VALU_DEP_4) | instskip(SKIP_1) | instid1(VALU_DEP_3)
	v_or_b32_e32 v18, v18, v19
	v_not_b32_e32 v19, v20
	v_sub_nc_u32_e32 v13, v13, v17
	s_delay_alu instid0(VALU_DEP_2) | instskip(NEXT) | instid1(VALU_DEP_1)
	v_alignbit_b32 v12, v15, v12, v19
	v_dual_mul_f32 v21, 0x3fc90fda, v18 :: v_dual_lshrrev_b32 v12, 9, v12
	s_delay_alu instid0(VALU_DEP_1) | instskip(NEXT) | instid1(VALU_DEP_2)
	v_fma_f32 v15, 0x3fc90fda, v18, -v21
	v_or_b32_e32 v12, v13, v12
	s_delay_alu instid0(VALU_DEP_2) | instskip(NEXT) | instid1(VALU_DEP_1)
	v_fmamk_f32 v15, v18, 0x33a22168, v15
	v_dual_fmac_f32 v15, 0x3fc90fda, v12 :: v_dual_lshrrev_b32 v12, 30, v11
	s_delay_alu instid0(VALU_DEP_1)
	v_dual_add_f32 v11, v21, v15 :: v_dual_add_nc_u32 v12, v16, v12
	s_and_not1_saveexec_b32 s0, s2
	s_cbranch_execnz .LBB22_1844
	s_branch .LBB22_1845
.LBB22_1843:
	s_and_not1_saveexec_b32 s0, s2
.LBB22_1844:
	v_mul_f32_e64 v11, 0x3f22f983, |v3|
	s_delay_alu instid0(VALU_DEP_1) | instskip(NEXT) | instid1(VALU_DEP_1)
	v_rndne_f32_e32 v12, v11
	v_fma_f32 v11, 0xbfc90fda, v12, |v3|
	s_delay_alu instid0(VALU_DEP_1) | instskip(NEXT) | instid1(VALU_DEP_1)
	v_fmamk_f32 v11, v12, 0xb3a22168, v11
	v_fmamk_f32 v11, v12, 0xa7c234c4, v11
	v_cvt_i32_f32_e32 v12, v12
.LBB22_1845:
	s_or_b32 exec_lo, exec_lo, s0
	v_div_scale_f32 v13, null, v1, v1, 0x40a00000
	v_div_scale_f32 v17, vcc_lo, 0x40a00000, v1, 0x40a00000
	s_mov_b32 s0, 0xb94c1982
	v_rcp_f32_e32 v15, v13
	v_mul_f32_e32 v24, 0x4f800000, v1
	s_mov_b32 s1, 0x37d75334
	v_xor_b32_e32 v5, v5, v3
	s_delay_alu instid0(TRANS32_DEP_1) | instskip(NEXT) | instid1(VALU_DEP_1)
	v_fma_f32 v16, -v13, v15, 1.0
	v_fmac_f32_e32 v15, v16, v15
	s_delay_alu instid0(VALU_DEP_1) | instskip(NEXT) | instid1(VALU_DEP_1)
	v_mul_f32_e32 v16, v17, v15
	v_fma_f32 v18, -v13, v16, v17
	s_delay_alu instid0(VALU_DEP_1) | instskip(NEXT) | instid1(VALU_DEP_1)
	v_fmac_f32_e32 v16, v18, v15
	v_dual_mul_f32 v18, v11, v11 :: v_dual_fma_f32 v13, -v13, v16, v17
	s_delay_alu instid0(VALU_DEP_1) | instskip(NEXT) | instid1(VALU_DEP_2)
	v_fmaak_f32 v27, s0, v18, 0x3c0881c4
	v_div_fmas_f32 v13, v13, v15, v16
	v_dual_mul_f32 v15, v7, v7 :: v_dual_bitop2_b32 v16, 1, v9 bitop3:0x40
	v_lshlrev_b32_e32 v9, 30, v9
	s_delay_alu instid0(VALU_DEP_4) | instskip(NEXT) | instid1(VALU_DEP_4)
	v_fmaak_f32 v27, v18, v27, 0xbe2aaa9d
	v_div_fixup_f32 v13, v13, v1, 0x40a00000
	s_delay_alu instid0(VALU_DEP_4)
	v_fmaak_f32 v25, s0, v15, 0x3c0881c4
	v_cmp_gt_f32_e64 s0, 0xf800000, v1
	v_fmaak_f32 v28, s1, v18, 0xbab64f3b
	v_cmp_eq_u32_e64 s2, 0, v16
	v_mul_f32_e32 v17, v13, v13
	v_fmaak_f32 v25, v15, v25, 0xbe2aaa9d
	v_cndmask_b32_e64 v1, v1, v24, s0
	v_and_b32_e32 v19, 1, v12
	v_and_b32_e32 v9, 0x80000000, v9
	v_fmaak_f32 v21, 0, v17, 0x3a15c4d9
	v_dual_fmaak_f32 v20, 0, v17, 0x3d513fd3 :: v_dual_mul_f32 v27, v18, v27
	v_sqrt_f32_e32 v31, v1
	v_fmaak_f32 v23, 0, v17, 0x3a47c962
	s_delay_alu instid0(VALU_DEP_3) | instskip(SKIP_2) | instid1(TRANS32_DEP_1)
	v_fmaak_f32 v21, v17, v21, 0x3d8cfeeb
	v_fmaak_f32 v22, 0, v17, 0x42947983
	v_dual_fmaak_f32 v20, v17, v20, 0x409f6dae :: v_dual_mul_f32 v25, v15, v25
	v_dual_lshlrev_b32 v12, 30, v12 :: v_dual_add_nc_u32 v36, 1, v31
	v_fmaak_f32 v23, v17, v23, 0x3d95ca45
	v_fmaak_f32 v21, v17, v21, 0x3f8d754e
	s_delay_alu instid0(VALU_DEP_4) | instskip(SKIP_1) | instid1(VALU_DEP_4)
	v_dual_fmaak_f32 v20, v17, v20, 0x4297a5cd :: v_dual_fmac_f32 v7, v7, v25
	v_fmac_f32_e32 v11, v11, v27
	v_fmaak_f32 v23, v17, v23, 0x3f9047f6
	s_delay_alu instid0(VALU_DEP_4) | instskip(NEXT) | instid1(VALU_DEP_4)
	v_fmaak_f32 v21, v17, v21, 0x40a25d18
	v_fmaak_f32 v20, v17, v20, 0x43b763ca
	s_delay_alu instid0(VALU_DEP_3) | instskip(NEXT) | instid1(VALU_DEP_3)
	v_fmaak_f32 v23, v17, v23, 0x40a39628
	v_fmaak_f32 v21, v17, v21, 0x410665cf
	s_delay_alu instid0(VALU_DEP_3) | instskip(NEXT) | instid1(VALU_DEP_3)
	;; [unrolled: 3-line block ×4, first 2 shown]
	v_fmaak_f32 v23, v17, v23, 0x40a6dd51
	v_fma_f32 v21, v17, v21, 1.0
	s_delay_alu instid0(VALU_DEP_3) | instskip(NEXT) | instid1(VALU_DEP_3)
	v_fmaak_f32 v20, v17, v20, 0x4353b052
	v_fma_f32 v23, v17, v23, 1.0
	s_delay_alu instid0(VALU_DEP_1) | instskip(SKIP_1) | instid1(VALU_DEP_1)
	v_div_scale_f32 v34, vcc_lo, v23, v21, v23
	v_fmaak_f32 v22, v17, v22, 0x44840e5d
	v_fmaak_f32 v22, v17, v22, 0x459bd349
	s_delay_alu instid0(VALU_DEP_1) | instskip(NEXT) | instid1(VALU_DEP_1)
	v_fmaak_f32 v22, v17, v22, 0x46156947
	v_fmaak_f32 v22, v17, v22, 0x45f9e855
	s_delay_alu instid0(VALU_DEP_1) | instskip(NEXT) | instid1(VALU_DEP_1)
	v_fmaak_f32 v22, v17, v22, 0x4530a316
	v_fmaak_f32 v22, v17, v22, 0x43a80bfb
	;; [unrolled: 1-line block ×3, first 2 shown]
	v_div_scale_f32 v20, null, v21, v21, v23
	s_delay_alu instid0(VALU_DEP_2) | instskip(NEXT) | instid1(VALU_DEP_2)
	v_div_scale_f32 v24, null, v22, v22, v17
	v_rcp_f32_e32 v29, v20
	s_delay_alu instid0(VALU_DEP_1) | instskip(NEXT) | instid1(TRANS32_DEP_2)
	v_rcp_f32_e32 v30, v24
	v_fma_f32 v32, -v20, v29, 1.0
	s_delay_alu instid0(TRANS32_DEP_1) | instskip(NEXT) | instid1(VALU_DEP_1)
	v_fma_f32 v33, -v24, v30, 1.0
	v_dual_fmac_f32 v29, v32, v29 :: v_dual_fmac_f32 v30, v33, v30
	s_delay_alu instid0(VALU_DEP_1) | instskip(NEXT) | instid1(VALU_DEP_1)
	v_dual_add_nc_u32 v33, -1, v31 :: v_dual_mul_f32 v35, v34, v29
	v_fma_f32 v25, -v20, v35, v34
	v_fmaak_f32 v26, s1, v15, 0xbab64f3b
	v_div_scale_f32 v32, s1, v17, v22, v17
	s_delay_alu instid0(VALU_DEP_4) | instskip(NEXT) | instid1(VALU_DEP_3)
	v_fma_f32 v27, -v33, v31, v1
	v_dual_fmac_f32 v35, v25, v29 :: v_dual_fmaak_f32 v26, v15, v26, 0x3d2aabf7
	s_delay_alu instid0(VALU_DEP_3) | instskip(NEXT) | instid1(VALU_DEP_2)
	v_mul_f32_e32 v37, v32, v30
	v_fmaak_f32 v26, v15, v26, 0xbf000004
	s_delay_alu instid0(VALU_DEP_1) | instskip(NEXT) | instid1(VALU_DEP_3)
	v_fma_f32 v15, v15, v26, 1.0
	v_fma_f32 v26, -v24, v37, v32
	s_delay_alu instid0(VALU_DEP_1) | instskip(SKIP_2) | instid1(VALU_DEP_3)
	v_dual_fmac_f32 v37, v26, v30 :: v_dual_cndmask_b32 v7, v15, v7, s2
	v_fma_f32 v15, -v20, v35, v34
	v_cmp_eq_u32_e64 s2, 0, v19
	v_fma_f32 v16, -v24, v37, v32
	s_delay_alu instid0(VALU_DEP_4) | instskip(NEXT) | instid1(VALU_DEP_4)
	v_xor3_b32 v5, v5, v9, v7
	v_div_fmas_f32 v15, v15, v29, v35
	s_mov_b32 vcc_lo, s1
	s_delay_alu instid0(VALU_DEP_3) | instskip(SKIP_1) | instid1(VALU_DEP_2)
	v_div_fmas_f32 v16, v16, v30, v37
	v_cmp_ge_f32_e32 vcc_lo, 0, v27
	v_div_fixup_f32 v7, v16, v22, v17
	s_delay_alu instid0(VALU_DEP_1) | instskip(NEXT) | instid1(VALU_DEP_1)
	v_dual_mul_f32 v7, v13, v7 :: v_dual_fmaak_f32 v28, v18, v28, 0x3d2aabf7
	v_fmaak_f32 v28, v18, v28, 0xbf000004
	s_delay_alu instid0(VALU_DEP_1) | instskip(NEXT) | instid1(VALU_DEP_1)
	v_fma_f32 v18, v18, v28, 1.0
	v_dual_fma_f32 v25, -v36, v31, v1 :: v_dual_cndmask_b32 v11, -v11, v18, s2
	v_cndmask_b32_e32 v18, v31, v33, vcc_lo
	v_cmp_class_f32_e64 vcc_lo, v3, 0x1f8
	s_delay_alu instid0(VALU_DEP_3) | instskip(NEXT) | instid1(VALU_DEP_4)
	v_cmp_lt_f32_e64 s1, 0, v25
	v_bitop3_b32 v3, v12, v11, 0x80000000 bitop3:0x6c
	v_div_fixup_f32 v12, v15, v21, v23
	v_cndmask_b32_e32 v5, 0x7fc00000, v5, vcc_lo
	s_delay_alu instid0(VALU_DEP_4) | instskip(NEXT) | instid1(VALU_DEP_4)
	v_cndmask_b32_e64 v9, v18, v36, s1
	v_cndmask_b32_e32 v3, 0x7fc00000, v3, vcc_lo
	v_cmp_class_f32_e64 vcc_lo, v1, 0x260
	s_delay_alu instid0(VALU_DEP_3) | instskip(NEXT) | instid1(VALU_DEP_3)
	v_mul_f32_e32 v11, 0x37800000, v9
	v_mul_f32_e32 v3, v7, v3
	s_delay_alu instid0(VALU_DEP_1) | instskip(NEXT) | instid1(VALU_DEP_1)
	v_dual_cndmask_b32 v7, v9, v11, s0 :: v_dual_fmac_f32 v3, v12, v5
	v_cndmask_b32_e32 v1, v7, v1, vcc_lo
	s_delay_alu instid0(VALU_DEP_2) | instskip(NEXT) | instid1(VALU_DEP_1)
	v_mul_f32_e32 v3, 0x3f4c422a, v3
	v_div_scale_f32 v5, null, v1, v1, v3
	s_delay_alu instid0(VALU_DEP_1) | instskip(SKIP_1) | instid1(TRANS32_DEP_1)
	v_rcp_f32_e32 v7, v5
	v_nop
	v_fma_f32 v9, -v5, v7, 1.0
	s_delay_alu instid0(VALU_DEP_1) | instskip(SKIP_1) | instid1(VALU_DEP_1)
	v_fmac_f32_e32 v7, v9, v7
	v_div_scale_f32 v9, vcc_lo, v3, v1, v3
	v_mul_f32_e32 v11, v9, v7
	s_delay_alu instid0(VALU_DEP_1) | instskip(NEXT) | instid1(VALU_DEP_1)
	v_fma_f32 v12, -v5, v11, v9
	v_fmac_f32_e32 v11, v12, v7
	s_delay_alu instid0(VALU_DEP_1) | instskip(NEXT) | instid1(VALU_DEP_1)
	v_fma_f32 v5, -v5, v11, v9
	v_div_fmas_f32 v5, v5, v7, v11
	s_delay_alu instid0(VALU_DEP_1)
	v_div_fixup_f32 v12, v5, v1, v3
.LBB22_1846:
	s_or_b32 exec_lo, exec_lo, s6
	v_mov_b32_e32 v7, 0
	global_load_u8 v1, v7, s[16:17] offset:345
	s_wait_xcnt 0x0
	v_add_nc_u64_e32 v[6:7], s[4:5], v[6:7]
	s_wait_loadcnt 0x0
	v_and_b32_e32 v3, 0xffff, v1
	v_readfirstlane_b32 s1, v1
	s_delay_alu instid0(VALU_DEP_2)
	v_cmp_gt_i32_e32 vcc_lo, 11, v3
	s_cbranch_vccnz .LBB22_1924
; %bb.1847:
	s_and_b32 s2, 0xffff, s1
	s_mov_b32 s10, -1
	s_mov_b32 s6, 0
	s_cmp_gt_i32 s2, 25
	s_mov_b32 s7, 0
	s_mov_b32 s0, 0
	s_cbranch_scc0 .LBB22_1880
; %bb.1848:
	s_cmp_gt_i32 s2, 28
	s_cbranch_scc0 .LBB22_1863
; %bb.1849:
	s_cmp_gt_i32 s2, 43
	;; [unrolled: 3-line block ×3, first 2 shown]
	s_cbranch_scc0 .LBB22_1853
; %bb.1851:
	s_mov_b32 s0, -1
	s_mov_b32 s10, 0
	s_cmp_eq_u32 s2, 46
	s_cbranch_scc0 .LBB22_1853
; %bb.1852:
	v_bfe_u32 v1, v8, 16, 1
	v_cmp_o_f32_e32 vcc_lo, v8, v8
	s_mov_b32 s0, 0
	s_mov_b32 s7, -1
	s_delay_alu instid0(VALU_DEP_2) | instskip(NEXT) | instid1(VALU_DEP_1)
	v_add3_u32 v1, v8, v1, 0x7fff
	v_lshrrev_b32_e32 v1, 16, v1
	s_delay_alu instid0(VALU_DEP_1)
	v_cndmask_b32_e32 v1, 0x7fc0, v1, vcc_lo
	global_store_b32 v[6:7], v1, off
.LBB22_1853:
	s_and_b32 vcc_lo, exec_lo, s10
	s_cbranch_vccz .LBB22_1858
; %bb.1854:
	s_cmp_eq_u32 s2, 44
	s_mov_b32 s0, -1
	s_cbranch_scc0 .LBB22_1858
; %bb.1855:
	v_bfe_u32 v3, v8, 23, 8
	s_wait_xcnt 0x0
	v_mov_b32_e32 v1, 0xff
	s_mov_b32 s7, exec_lo
	s_delay_alu instid0(VALU_DEP_2)
	v_cmpx_ne_u32_e32 0xff, v3
	s_cbranch_execz .LBB22_1857
; %bb.1856:
	v_and_b32_e32 v1, 0x400000, v8
	v_and_or_b32 v3, 0x3fffff, v8, v3
	s_delay_alu instid0(VALU_DEP_2) | instskip(NEXT) | instid1(VALU_DEP_2)
	v_cmp_ne_u32_e32 vcc_lo, 0, v1
	v_cmp_ne_u32_e64 s0, 0, v3
	v_lshrrev_b32_e32 v1, 23, v8
	s_and_b32 s0, vcc_lo, s0
	s_delay_alu instid0(SALU_CYCLE_1) | instskip(NEXT) | instid1(VALU_DEP_1)
	v_cndmask_b32_e64 v3, 0, 1, s0
	v_add_nc_u32_e32 v1, v1, v3
.LBB22_1857:
	s_or_b32 exec_lo, exec_lo, s7
	s_mov_b32 s0, 0
	s_mov_b32 s7, -1
	global_store_b8 v[6:7], v1, off
.LBB22_1858:
	s_mov_b32 s10, 0
.LBB22_1859:
	s_delay_alu instid0(SALU_CYCLE_1)
	s_and_b32 vcc_lo, exec_lo, s10
	s_cbranch_vccz .LBB22_1862
; %bb.1860:
	s_cmp_eq_u32 s2, 29
	s_mov_b32 s0, -1
	s_cbranch_scc0 .LBB22_1862
; %bb.1861:
	s_wait_xcnt 0x0
	v_trunc_f32_e32 v1, v8
	s_mov_b32 s0, 0
	s_mov_b32 s7, -1
	s_delay_alu instid0(VALU_DEP_1) | instskip(NEXT) | instid1(VALU_DEP_1)
	v_mul_f32_e32 v3, 0x2f800000, v1
	v_floor_f32_e32 v3, v3
	s_delay_alu instid0(VALU_DEP_1) | instskip(SKIP_1) | instid1(VALU_DEP_2)
	v_fmamk_f32 v1, v3, 0xcf800000, v1
	v_cvt_u32_f32_e32 v17, v3
	v_cvt_u32_f32_e32 v16, v1
	global_store_b64 v[6:7], v[16:17], off
.LBB22_1862:
	s_mov_b32 s10, 0
.LBB22_1863:
	s_delay_alu instid0(SALU_CYCLE_1)
	s_and_b32 vcc_lo, exec_lo, s10
	s_cbranch_vccz .LBB22_1879
; %bb.1864:
	s_cmp_lt_i32 s2, 27
	s_mov_b32 s7, -1
	s_cbranch_scc1 .LBB22_1870
; %bb.1865:
	s_wait_xcnt 0x0
	v_cvt_u32_f32_e32 v1, v8
	s_cmp_gt_i32 s2, 27
	s_cbranch_scc0 .LBB22_1867
; %bb.1866:
	s_mov_b32 s7, 0
	global_store_b32 v[6:7], v1, off
.LBB22_1867:
	s_and_not1_b32 vcc_lo, exec_lo, s7
	s_cbranch_vccnz .LBB22_1869
; %bb.1868:
	global_store_b16 v[6:7], v1, off
.LBB22_1869:
	s_mov_b32 s7, 0
.LBB22_1870:
	s_delay_alu instid0(SALU_CYCLE_1)
	s_and_not1_b32 vcc_lo, exec_lo, s7
	s_cbranch_vccnz .LBB22_1878
; %bb.1871:
	s_wait_xcnt 0x0
	v_and_b32_e32 v1, 0x7fffffff, v8
	v_mov_b32_e32 v3, 0x80
	s_mov_b32 s7, exec_lo
	s_delay_alu instid0(VALU_DEP_2)
	v_cmpx_gt_u32_e32 0x43800000, v1
	s_cbranch_execz .LBB22_1877
; %bb.1872:
	v_cmp_lt_u32_e32 vcc_lo, 0x3bffffff, v1
	s_mov_b32 s10, 0
                                        ; implicit-def: $vgpr1
	s_and_saveexec_b32 s11, vcc_lo
	s_delay_alu instid0(SALU_CYCLE_1)
	s_xor_b32 s11, exec_lo, s11
	s_cbranch_execz .LBB22_2282
; %bb.1873:
	v_bfe_u32 v1, v8, 20, 1
	s_mov_b32 s10, exec_lo
	s_delay_alu instid0(VALU_DEP_1) | instskip(NEXT) | instid1(VALU_DEP_1)
	v_add3_u32 v1, v8, v1, 0x487ffff
	v_lshrrev_b32_e32 v1, 20, v1
	s_and_not1_saveexec_b32 s11, s11
	s_cbranch_execnz .LBB22_2283
.LBB22_1874:
	s_or_b32 exec_lo, exec_lo, s11
	v_mov_b32_e32 v3, 0
	s_and_saveexec_b32 s11, s10
.LBB22_1875:
	v_lshrrev_b32_e32 v3, 24, v8
	s_delay_alu instid0(VALU_DEP_1)
	v_and_or_b32 v3, 0x80, v3, v1
.LBB22_1876:
	s_or_b32 exec_lo, exec_lo, s11
.LBB22_1877:
	s_delay_alu instid0(SALU_CYCLE_1)
	s_or_b32 exec_lo, exec_lo, s7
	global_store_b8 v[6:7], v3, off
.LBB22_1878:
	s_mov_b32 s7, -1
.LBB22_1879:
	s_mov_b32 s10, 0
.LBB22_1880:
	s_delay_alu instid0(SALU_CYCLE_1)
	s_and_b32 vcc_lo, exec_lo, s10
	s_cbranch_vccz .LBB22_1920
; %bb.1881:
	s_cmp_gt_i32 s2, 22
	s_mov_b32 s6, -1
	s_cbranch_scc0 .LBB22_1913
; %bb.1882:
	s_cmp_lt_i32 s2, 24
	s_cbranch_scc1 .LBB22_1902
; %bb.1883:
	s_cmp_gt_i32 s2, 24
	s_cbranch_scc0 .LBB22_1891
; %bb.1884:
	s_wait_xcnt 0x0
	v_and_b32_e32 v1, 0x7fffffff, v8
	v_mov_b32_e32 v3, 0x80
	s_mov_b32 s6, exec_lo
	s_delay_alu instid0(VALU_DEP_2)
	v_cmpx_gt_u32_e32 0x47800000, v1
	s_cbranch_execz .LBB22_1890
; %bb.1885:
	v_cmp_lt_u32_e32 vcc_lo, 0x37ffffff, v1
	s_mov_b32 s7, 0
                                        ; implicit-def: $vgpr1
	s_and_saveexec_b32 s10, vcc_lo
	s_delay_alu instid0(SALU_CYCLE_1)
	s_xor_b32 s10, exec_lo, s10
	s_cbranch_execz .LBB22_2285
; %bb.1886:
	v_bfe_u32 v1, v8, 21, 1
	s_mov_b32 s7, exec_lo
	s_delay_alu instid0(VALU_DEP_1) | instskip(NEXT) | instid1(VALU_DEP_1)
	v_add3_u32 v1, v8, v1, 0x88fffff
	v_lshrrev_b32_e32 v1, 21, v1
	s_and_not1_saveexec_b32 s10, s10
	s_cbranch_execnz .LBB22_2286
.LBB22_1887:
	s_or_b32 exec_lo, exec_lo, s10
	v_mov_b32_e32 v3, 0
	s_and_saveexec_b32 s10, s7
.LBB22_1888:
	v_lshrrev_b32_e32 v3, 24, v8
	s_delay_alu instid0(VALU_DEP_1)
	v_and_or_b32 v3, 0x80, v3, v1
.LBB22_1889:
	s_or_b32 exec_lo, exec_lo, s10
.LBB22_1890:
	s_delay_alu instid0(SALU_CYCLE_1)
	s_or_b32 exec_lo, exec_lo, s6
	s_mov_b32 s6, 0
	global_store_b8 v[6:7], v3, off
.LBB22_1891:
	s_and_b32 vcc_lo, exec_lo, s6
	s_cbranch_vccz .LBB22_1901
; %bb.1892:
	s_wait_xcnt 0x0
	v_and_b32_e32 v3, 0x7fffffff, v8
	s_mov_b32 s6, exec_lo
                                        ; implicit-def: $vgpr1
	s_delay_alu instid0(VALU_DEP_1)
	v_cmpx_gt_u32_e32 0x43f00000, v3
	s_xor_b32 s6, exec_lo, s6
	s_cbranch_execz .LBB22_1898
; %bb.1893:
	s_mov_b32 s7, exec_lo
                                        ; implicit-def: $vgpr1
	v_cmpx_lt_u32_e32 0x3c7fffff, v3
	s_xor_b32 s7, exec_lo, s7
; %bb.1894:
	v_bfe_u32 v1, v8, 20, 1
	s_delay_alu instid0(VALU_DEP_1) | instskip(NEXT) | instid1(VALU_DEP_1)
	v_add3_u32 v1, v8, v1, 0x407ffff
	v_and_b32_e32 v3, 0xff00000, v1
	v_lshrrev_b32_e32 v1, 20, v1
	s_delay_alu instid0(VALU_DEP_2) | instskip(NEXT) | instid1(VALU_DEP_2)
	v_cmp_ne_u32_e32 vcc_lo, 0x7f00000, v3
	v_cndmask_b32_e32 v1, 0x7e, v1, vcc_lo
; %bb.1895:
	s_and_not1_saveexec_b32 s7, s7
; %bb.1896:
	v_add_f32_e64 v1, 0x46800000, |v8|
; %bb.1897:
	s_or_b32 exec_lo, exec_lo, s7
                                        ; implicit-def: $vgpr3
.LBB22_1898:
	s_and_not1_saveexec_b32 s6, s6
; %bb.1899:
	v_mov_b32_e32 v1, 0x7f
	v_cmp_lt_u32_e32 vcc_lo, 0x7f800000, v3
	s_delay_alu instid0(VALU_DEP_2)
	v_cndmask_b32_e32 v1, 0x7e, v1, vcc_lo
; %bb.1900:
	s_or_b32 exec_lo, exec_lo, s6
	v_lshrrev_b32_e32 v3, 24, v8
	s_delay_alu instid0(VALU_DEP_1)
	v_and_or_b32 v1, 0x80, v3, v1
	global_store_b8 v[6:7], v1, off
.LBB22_1901:
	s_mov_b32 s6, 0
.LBB22_1902:
	s_delay_alu instid0(SALU_CYCLE_1)
	s_and_not1_b32 vcc_lo, exec_lo, s6
	s_cbranch_vccnz .LBB22_1912
; %bb.1903:
	s_wait_xcnt 0x0
	v_and_b32_e32 v3, 0x7fffffff, v8
	s_mov_b32 s6, exec_lo
                                        ; implicit-def: $vgpr1
	s_delay_alu instid0(VALU_DEP_1)
	v_cmpx_gt_u32_e32 0x47800000, v3
	s_xor_b32 s6, exec_lo, s6
	s_cbranch_execz .LBB22_1909
; %bb.1904:
	s_mov_b32 s7, exec_lo
                                        ; implicit-def: $vgpr1
	v_cmpx_lt_u32_e32 0x387fffff, v3
	s_xor_b32 s7, exec_lo, s7
; %bb.1905:
	v_bfe_u32 v1, v8, 21, 1
	s_delay_alu instid0(VALU_DEP_1) | instskip(NEXT) | instid1(VALU_DEP_1)
	v_add3_u32 v1, v8, v1, 0x80fffff
	v_lshrrev_b32_e32 v1, 21, v1
; %bb.1906:
	s_and_not1_saveexec_b32 s7, s7
; %bb.1907:
	v_add_f32_e64 v1, 0x43000000, |v8|
; %bb.1908:
	s_or_b32 exec_lo, exec_lo, s7
                                        ; implicit-def: $vgpr3
.LBB22_1909:
	s_and_not1_saveexec_b32 s6, s6
; %bb.1910:
	v_mov_b32_e32 v1, 0x7f
	v_cmp_lt_u32_e32 vcc_lo, 0x7f800000, v3
	s_delay_alu instid0(VALU_DEP_2)
	v_cndmask_b32_e32 v1, 0x7c, v1, vcc_lo
; %bb.1911:
	s_or_b32 exec_lo, exec_lo, s6
	v_lshrrev_b32_e32 v3, 24, v8
	s_delay_alu instid0(VALU_DEP_1)
	v_and_or_b32 v1, 0x80, v3, v1
	global_store_b8 v[6:7], v1, off
.LBB22_1912:
	s_mov_b32 s6, 0
	s_mov_b32 s7, -1
.LBB22_1913:
	s_and_not1_b32 vcc_lo, exec_lo, s6
	s_mov_b32 s6, 0
	s_cbranch_vccnz .LBB22_1920
; %bb.1914:
	s_cmp_gt_i32 s2, 14
	s_mov_b32 s6, -1
	s_cbranch_scc0 .LBB22_1918
; %bb.1915:
	s_cmp_eq_u32 s2, 15
	s_mov_b32 s0, -1
	s_cbranch_scc0 .LBB22_1917
; %bb.1916:
	s_wait_xcnt 0x0
	v_bfe_u32 v1, v8, 16, 1
	v_cmp_o_f32_e32 vcc_lo, v8, v8
	s_mov_b32 s0, 0
	s_mov_b32 s7, -1
	s_delay_alu instid0(VALU_DEP_2) | instskip(NEXT) | instid1(VALU_DEP_1)
	v_add3_u32 v1, v8, v1, 0x7fff
	v_lshrrev_b32_e32 v1, 16, v1
	s_delay_alu instid0(VALU_DEP_1)
	v_cndmask_b32_e32 v1, 0x7fc0, v1, vcc_lo
	global_store_b16 v[6:7], v1, off
.LBB22_1917:
	s_mov_b32 s6, 0
.LBB22_1918:
	s_delay_alu instid0(SALU_CYCLE_1)
	s_and_b32 vcc_lo, exec_lo, s6
	s_mov_b32 s6, 0
	s_cbranch_vccz .LBB22_1920
; %bb.1919:
	s_cmp_lg_u32 s2, 11
	s_mov_b32 s6, -1
	s_cselect_b32 s0, -1, 0
.LBB22_1920:
	s_delay_alu instid0(SALU_CYCLE_1)
	s_and_b32 vcc_lo, exec_lo, s0
	s_cbranch_vccnz .LBB22_2284
; %bb.1921:
	s_and_not1_b32 vcc_lo, exec_lo, s6
	s_cbranch_vccnz .LBB22_1923
.LBB22_1922:
	v_cmp_neq_f32_e32 vcc_lo, 0, v8
	s_mov_b32 s7, -1
	s_wait_xcnt 0x0
	v_cndmask_b32_e64 v1, 0, 1, vcc_lo
	global_store_b8 v[6:7], v1, off
.LBB22_1923:
	s_mov_b32 s0, 0
	s_branch .LBB22_1925
.LBB22_1924:
	s_mov_b32 s0, -1
	s_mov_b32 s7, 0
.LBB22_1925:
	s_and_b32 vcc_lo, exec_lo, s0
	s_cbranch_vccz .LBB22_1964
; %bb.1926:
	s_and_b32 s0, 0xffff, s1
	s_mov_b32 s2, -1
	s_cmp_lt_i32 s0, 5
	s_cbranch_scc1 .LBB22_1947
; %bb.1927:
	s_cmp_lt_i32 s0, 8
	s_cbranch_scc1 .LBB22_1937
; %bb.1928:
	;; [unrolled: 3-line block ×3, first 2 shown]
	s_cmp_gt_i32 s0, 9
	s_cbranch_scc0 .LBB22_1931
; %bb.1930:
	s_wait_xcnt 0x0
	v_cvt_f64_f32_e32 v[16:17], v8
	v_mov_b32_e32 v18, 0
	s_mov_b32 s2, 0
	s_delay_alu instid0(VALU_DEP_1)
	v_mov_b32_e32 v19, v18
	global_store_b128 v[6:7], v[16:19], off
.LBB22_1931:
	s_and_not1_b32 vcc_lo, exec_lo, s2
	s_cbranch_vccnz .LBB22_1933
; %bb.1932:
	v_mov_b32_e32 v9, 0
	global_store_b64 v[6:7], v[8:9], off
.LBB22_1933:
	s_mov_b32 s2, 0
.LBB22_1934:
	s_delay_alu instid0(SALU_CYCLE_1)
	s_and_not1_b32 vcc_lo, exec_lo, s2
	s_cbranch_vccnz .LBB22_1936
; %bb.1935:
	s_wait_xcnt 0x0
	v_cvt_f16_f32_e32 v1, v8
	s_delay_alu instid0(VALU_DEP_1)
	v_and_b32_e32 v1, 0xffff, v1
	global_store_b32 v[6:7], v1, off
.LBB22_1936:
	s_mov_b32 s2, 0
.LBB22_1937:
	s_delay_alu instid0(SALU_CYCLE_1)
	s_and_not1_b32 vcc_lo, exec_lo, s2
	s_cbranch_vccnz .LBB22_1946
; %bb.1938:
	s_cmp_lt_i32 s0, 6
	s_mov_b32 s2, -1
	s_cbranch_scc1 .LBB22_1944
; %bb.1939:
	s_cmp_gt_i32 s0, 6
	s_cbranch_scc0 .LBB22_1941
; %bb.1940:
	s_wait_xcnt 0x0
	v_cvt_f64_f32_e32 v[16:17], v8
	s_mov_b32 s2, 0
	global_store_b64 v[6:7], v[16:17], off
.LBB22_1941:
	s_and_not1_b32 vcc_lo, exec_lo, s2
	s_cbranch_vccnz .LBB22_1943
; %bb.1942:
	global_store_b32 v[6:7], v8, off
.LBB22_1943:
	s_mov_b32 s2, 0
.LBB22_1944:
	s_delay_alu instid0(SALU_CYCLE_1)
	s_and_not1_b32 vcc_lo, exec_lo, s2
	s_cbranch_vccnz .LBB22_1946
; %bb.1945:
	s_wait_xcnt 0x0
	v_cvt_f16_f32_e32 v1, v8
	global_store_b16 v[6:7], v1, off
.LBB22_1946:
	s_mov_b32 s2, 0
.LBB22_1947:
	s_delay_alu instid0(SALU_CYCLE_1)
	s_and_not1_b32 vcc_lo, exec_lo, s2
	s_cbranch_vccnz .LBB22_1963
; %bb.1948:
	s_cmp_lt_i32 s0, 2
	s_mov_b32 s2, -1
	s_cbranch_scc1 .LBB22_1958
; %bb.1949:
	s_cmp_lt_i32 s0, 3
	s_cbranch_scc1 .LBB22_1955
; %bb.1950:
	s_cmp_gt_i32 s0, 3
	s_cbranch_scc0 .LBB22_1952
; %bb.1951:
	s_wait_xcnt 0x0
	v_trunc_f32_e32 v1, v8
	s_mov_b32 s2, 0
	s_delay_alu instid0(VALU_DEP_1) | instskip(SKIP_1) | instid1(VALU_DEP_2)
	v_mul_f32_e64 v3, 0x2f800000, |v1|
	v_ashrrev_i32_e32 v16, 31, v1
	v_floor_f32_e32 v3, v3
	s_delay_alu instid0(VALU_DEP_1) | instskip(SKIP_1) | instid1(VALU_DEP_4)
	v_fma_f32 v5, 0xcf800000, v3, |v1|
	v_cvt_u32_f32_e32 v1, v3
	v_mov_b32_e32 v17, v16
	s_delay_alu instid0(VALU_DEP_3) | instskip(NEXT) | instid1(VALU_DEP_3)
	v_cvt_u32_f32_e32 v3, v5
	v_xor_b32_e32 v19, v1, v16
	s_delay_alu instid0(VALU_DEP_2) | instskip(NEXT) | instid1(VALU_DEP_1)
	v_xor_b32_e32 v18, v3, v16
	v_sub_nc_u64_e32 v[16:17], v[18:19], v[16:17]
	global_store_b64 v[6:7], v[16:17], off
.LBB22_1952:
	s_and_not1_b32 vcc_lo, exec_lo, s2
	s_cbranch_vccnz .LBB22_1954
; %bb.1953:
	s_wait_xcnt 0x0
	v_cvt_i32_f32_e32 v1, v8
	global_store_b32 v[6:7], v1, off
.LBB22_1954:
	s_mov_b32 s2, 0
.LBB22_1955:
	s_delay_alu instid0(SALU_CYCLE_1)
	s_and_not1_b32 vcc_lo, exec_lo, s2
	s_cbranch_vccnz .LBB22_1957
; %bb.1956:
	s_wait_xcnt 0x0
	v_cvt_i32_f32_e32 v1, v8
	global_store_b16 v[6:7], v1, off
.LBB22_1957:
	s_mov_b32 s2, 0
.LBB22_1958:
	s_delay_alu instid0(SALU_CYCLE_1)
	s_and_not1_b32 vcc_lo, exec_lo, s2
	s_cbranch_vccnz .LBB22_1963
; %bb.1959:
	s_cmp_gt_i32 s0, 0
	s_mov_b32 s0, -1
	s_cbranch_scc0 .LBB22_1961
; %bb.1960:
	s_wait_xcnt 0x0
	v_cvt_i32_f32_e32 v1, v8
	s_mov_b32 s0, 0
	global_store_b8 v[6:7], v1, off
.LBB22_1961:
	s_and_not1_b32 vcc_lo, exec_lo, s0
	s_cbranch_vccnz .LBB22_1963
; %bb.1962:
	s_wait_xcnt 0x0
	v_trunc_f32_e32 v1, v8
	s_delay_alu instid0(VALU_DEP_1) | instskip(NEXT) | instid1(VALU_DEP_1)
	v_mul_f32_e64 v3, 0x2f800000, |v1|
	v_floor_f32_e32 v3, v3
	s_delay_alu instid0(VALU_DEP_1) | instskip(SKIP_1) | instid1(VALU_DEP_2)
	v_fma_f32 v3, 0xcf800000, v3, |v1|
	v_ashrrev_i32_e32 v1, 31, v1
	v_cvt_u32_f32_e32 v3, v3
	s_delay_alu instid0(VALU_DEP_1) | instskip(NEXT) | instid1(VALU_DEP_1)
	v_xor_b32_e32 v3, v3, v1
	v_sub_nc_u32_e32 v1, v3, v1
	global_store_b8 v[6:7], v1, off
.LBB22_1963:
	s_mov_b32 s7, -1
.LBB22_1964:
	s_delay_alu instid0(SALU_CYCLE_1)
	s_and_not1_b32 vcc_lo, exec_lo, s7
	s_cbranch_vccnz .LBB22_2279
; %bb.1965:
	v_mov_b32_e32 v5, 0
	s_and_b32 s2, 0xffff, s1
	s_delay_alu instid0(SALU_CYCLE_1) | instskip(NEXT) | instid1(VALU_DEP_1)
	s_cmp_lt_i32 s2, 11
	v_add_nc_u64_e32 v[4:5], s[4:5], v[4:5]
	s_cbranch_scc1 .LBB22_2043
; %bb.1966:
	s_mov_b32 s10, -1
	s_mov_b32 s6, 0
	s_cmp_gt_i32 s2, 25
	s_mov_b32 s7, 0
	s_mov_b32 s0, 0
	s_cbranch_scc0 .LBB22_1999
; %bb.1967:
	s_cmp_gt_i32 s2, 28
	s_cbranch_scc0 .LBB22_1982
; %bb.1968:
	s_cmp_gt_i32 s2, 43
	;; [unrolled: 3-line block ×3, first 2 shown]
	s_cbranch_scc0 .LBB22_1972
; %bb.1970:
	s_mov_b32 s0, -1
	s_mov_b32 s10, 0
	s_cmp_eq_u32 s2, 46
	s_cbranch_scc0 .LBB22_1972
; %bb.1971:
	s_wait_xcnt 0x0
	v_bfe_u32 v1, v10, 16, 1
	v_cmp_o_f32_e32 vcc_lo, v10, v10
	s_mov_b32 s0, 0
	s_mov_b32 s7, -1
	s_delay_alu instid0(VALU_DEP_2) | instskip(NEXT) | instid1(VALU_DEP_1)
	v_add3_u32 v1, v10, v1, 0x7fff
	v_lshrrev_b32_e32 v1, 16, v1
	s_delay_alu instid0(VALU_DEP_1)
	v_cndmask_b32_e32 v1, 0x7fc0, v1, vcc_lo
	global_store_b32 v[4:5], v1, off
.LBB22_1972:
	s_and_b32 vcc_lo, exec_lo, s10
	s_cbranch_vccz .LBB22_1977
; %bb.1973:
	s_cmp_eq_u32 s2, 44
	s_mov_b32 s0, -1
	s_cbranch_scc0 .LBB22_1977
; %bb.1974:
	s_wait_xcnt 0x0
	v_bfe_u32 v3, v10, 23, 8
	v_mov_b32_e32 v1, 0xff
	s_mov_b32 s7, exec_lo
	s_delay_alu instid0(VALU_DEP_2)
	v_cmpx_ne_u32_e32 0xff, v3
	s_cbranch_execz .LBB22_1976
; %bb.1975:
	v_and_b32_e32 v1, 0x400000, v10
	v_and_or_b32 v3, 0x3fffff, v10, v3
	s_delay_alu instid0(VALU_DEP_2) | instskip(NEXT) | instid1(VALU_DEP_2)
	v_cmp_ne_u32_e32 vcc_lo, 0, v1
	v_cmp_ne_u32_e64 s0, 0, v3
	v_lshrrev_b32_e32 v1, 23, v10
	s_and_b32 s0, vcc_lo, s0
	s_delay_alu instid0(SALU_CYCLE_1) | instskip(NEXT) | instid1(VALU_DEP_1)
	v_cndmask_b32_e64 v3, 0, 1, s0
	v_add_nc_u32_e32 v1, v1, v3
.LBB22_1976:
	s_or_b32 exec_lo, exec_lo, s7
	s_mov_b32 s0, 0
	s_mov_b32 s7, -1
	global_store_b8 v[4:5], v1, off
.LBB22_1977:
	s_mov_b32 s10, 0
.LBB22_1978:
	s_delay_alu instid0(SALU_CYCLE_1)
	s_and_b32 vcc_lo, exec_lo, s10
	s_cbranch_vccz .LBB22_1981
; %bb.1979:
	s_cmp_eq_u32 s2, 29
	s_mov_b32 s0, -1
	s_cbranch_scc0 .LBB22_1981
; %bb.1980:
	s_wait_xcnt 0x0
	v_trunc_f32_e32 v1, v10
	s_mov_b32 s0, 0
	s_mov_b32 s7, -1
	s_delay_alu instid0(VALU_DEP_1) | instskip(NEXT) | instid1(VALU_DEP_1)
	v_mul_f32_e32 v3, 0x2f800000, v1
	v_floor_f32_e32 v3, v3
	s_delay_alu instid0(VALU_DEP_1) | instskip(SKIP_1) | instid1(VALU_DEP_2)
	v_fmamk_f32 v1, v3, 0xcf800000, v1
	v_cvt_u32_f32_e32 v7, v3
	v_cvt_u32_f32_e32 v6, v1
	global_store_b64 v[4:5], v[6:7], off
.LBB22_1981:
	s_mov_b32 s10, 0
.LBB22_1982:
	s_delay_alu instid0(SALU_CYCLE_1)
	s_and_b32 vcc_lo, exec_lo, s10
	s_cbranch_vccz .LBB22_1998
; %bb.1983:
	s_cmp_lt_i32 s2, 27
	s_mov_b32 s7, -1
	s_cbranch_scc1 .LBB22_1989
; %bb.1984:
	s_cmp_gt_i32 s2, 27
	s_cbranch_scc0 .LBB22_1986
; %bb.1985:
	s_wait_xcnt 0x0
	v_cvt_u32_f32_e32 v1, v10
	s_mov_b32 s7, 0
	global_store_b32 v[4:5], v1, off
.LBB22_1986:
	s_and_not1_b32 vcc_lo, exec_lo, s7
	s_cbranch_vccnz .LBB22_1988
; %bb.1987:
	s_wait_xcnt 0x0
	v_cvt_u32_f32_e32 v1, v10
	global_store_b16 v[4:5], v1, off
.LBB22_1988:
	s_mov_b32 s7, 0
.LBB22_1989:
	s_delay_alu instid0(SALU_CYCLE_1)
	s_and_not1_b32 vcc_lo, exec_lo, s7
	s_cbranch_vccnz .LBB22_1997
; %bb.1990:
	s_wait_xcnt 0x0
	v_and_b32_e32 v1, 0x7fffffff, v10
	v_mov_b32_e32 v3, 0x80
	s_mov_b32 s7, exec_lo
	s_delay_alu instid0(VALU_DEP_2)
	v_cmpx_gt_u32_e32 0x43800000, v1
	s_cbranch_execz .LBB22_1996
; %bb.1991:
	v_cmp_lt_u32_e32 vcc_lo, 0x3bffffff, v1
	s_mov_b32 s10, 0
                                        ; implicit-def: $vgpr1
	s_and_saveexec_b32 s11, vcc_lo
	s_delay_alu instid0(SALU_CYCLE_1)
	s_xor_b32 s11, exec_lo, s11
	s_cbranch_execz .LBB22_2287
; %bb.1992:
	v_bfe_u32 v1, v10, 20, 1
	s_mov_b32 s10, exec_lo
	s_delay_alu instid0(VALU_DEP_1) | instskip(NEXT) | instid1(VALU_DEP_1)
	v_add3_u32 v1, v10, v1, 0x487ffff
	v_lshrrev_b32_e32 v1, 20, v1
	s_and_not1_saveexec_b32 s11, s11
	s_cbranch_execnz .LBB22_2288
.LBB22_1993:
	s_or_b32 exec_lo, exec_lo, s11
	v_mov_b32_e32 v3, 0
	s_and_saveexec_b32 s11, s10
.LBB22_1994:
	v_lshrrev_b32_e32 v3, 24, v10
	s_delay_alu instid0(VALU_DEP_1)
	v_and_or_b32 v3, 0x80, v3, v1
.LBB22_1995:
	s_or_b32 exec_lo, exec_lo, s11
.LBB22_1996:
	s_delay_alu instid0(SALU_CYCLE_1)
	s_or_b32 exec_lo, exec_lo, s7
	global_store_b8 v[4:5], v3, off
.LBB22_1997:
	s_mov_b32 s7, -1
.LBB22_1998:
	s_mov_b32 s10, 0
.LBB22_1999:
	s_delay_alu instid0(SALU_CYCLE_1)
	s_and_b32 vcc_lo, exec_lo, s10
	s_cbranch_vccz .LBB22_2039
; %bb.2000:
	s_cmp_gt_i32 s2, 22
	s_mov_b32 s6, -1
	s_cbranch_scc0 .LBB22_2032
; %bb.2001:
	s_cmp_lt_i32 s2, 24
	s_cbranch_scc1 .LBB22_2021
; %bb.2002:
	s_cmp_gt_i32 s2, 24
	s_cbranch_scc0 .LBB22_2010
; %bb.2003:
	s_wait_xcnt 0x0
	v_and_b32_e32 v1, 0x7fffffff, v10
	v_mov_b32_e32 v3, 0x80
	s_mov_b32 s6, exec_lo
	s_delay_alu instid0(VALU_DEP_2)
	v_cmpx_gt_u32_e32 0x47800000, v1
	s_cbranch_execz .LBB22_2009
; %bb.2004:
	v_cmp_lt_u32_e32 vcc_lo, 0x37ffffff, v1
	s_mov_b32 s7, 0
                                        ; implicit-def: $vgpr1
	s_and_saveexec_b32 s10, vcc_lo
	s_delay_alu instid0(SALU_CYCLE_1)
	s_xor_b32 s10, exec_lo, s10
	s_cbranch_execz .LBB22_2290
; %bb.2005:
	v_bfe_u32 v1, v10, 21, 1
	s_mov_b32 s7, exec_lo
	s_delay_alu instid0(VALU_DEP_1) | instskip(NEXT) | instid1(VALU_DEP_1)
	v_add3_u32 v1, v10, v1, 0x88fffff
	v_lshrrev_b32_e32 v1, 21, v1
	s_and_not1_saveexec_b32 s10, s10
	s_cbranch_execnz .LBB22_2291
.LBB22_2006:
	s_or_b32 exec_lo, exec_lo, s10
	v_mov_b32_e32 v3, 0
	s_and_saveexec_b32 s10, s7
.LBB22_2007:
	v_lshrrev_b32_e32 v3, 24, v10
	s_delay_alu instid0(VALU_DEP_1)
	v_and_or_b32 v3, 0x80, v3, v1
.LBB22_2008:
	s_or_b32 exec_lo, exec_lo, s10
.LBB22_2009:
	s_delay_alu instid0(SALU_CYCLE_1)
	s_or_b32 exec_lo, exec_lo, s6
	s_mov_b32 s6, 0
	global_store_b8 v[4:5], v3, off
.LBB22_2010:
	s_and_b32 vcc_lo, exec_lo, s6
	s_cbranch_vccz .LBB22_2020
; %bb.2011:
	s_wait_xcnt 0x0
	v_and_b32_e32 v3, 0x7fffffff, v10
	s_mov_b32 s6, exec_lo
                                        ; implicit-def: $vgpr1
	s_delay_alu instid0(VALU_DEP_1)
	v_cmpx_gt_u32_e32 0x43f00000, v3
	s_xor_b32 s6, exec_lo, s6
	s_cbranch_execz .LBB22_2017
; %bb.2012:
	s_mov_b32 s7, exec_lo
                                        ; implicit-def: $vgpr1
	v_cmpx_lt_u32_e32 0x3c7fffff, v3
	s_xor_b32 s7, exec_lo, s7
; %bb.2013:
	v_bfe_u32 v1, v10, 20, 1
	s_delay_alu instid0(VALU_DEP_1) | instskip(NEXT) | instid1(VALU_DEP_1)
	v_add3_u32 v1, v10, v1, 0x407ffff
	v_and_b32_e32 v3, 0xff00000, v1
	v_lshrrev_b32_e32 v1, 20, v1
	s_delay_alu instid0(VALU_DEP_2) | instskip(NEXT) | instid1(VALU_DEP_2)
	v_cmp_ne_u32_e32 vcc_lo, 0x7f00000, v3
	v_cndmask_b32_e32 v1, 0x7e, v1, vcc_lo
; %bb.2014:
	s_and_not1_saveexec_b32 s7, s7
; %bb.2015:
	v_add_f32_e64 v1, 0x46800000, |v10|
; %bb.2016:
	s_or_b32 exec_lo, exec_lo, s7
                                        ; implicit-def: $vgpr3
.LBB22_2017:
	s_and_not1_saveexec_b32 s6, s6
; %bb.2018:
	v_mov_b32_e32 v1, 0x7f
	v_cmp_lt_u32_e32 vcc_lo, 0x7f800000, v3
	s_delay_alu instid0(VALU_DEP_2)
	v_cndmask_b32_e32 v1, 0x7e, v1, vcc_lo
; %bb.2019:
	s_or_b32 exec_lo, exec_lo, s6
	v_lshrrev_b32_e32 v3, 24, v10
	s_delay_alu instid0(VALU_DEP_1)
	v_and_or_b32 v1, 0x80, v3, v1
	global_store_b8 v[4:5], v1, off
.LBB22_2020:
	s_mov_b32 s6, 0
.LBB22_2021:
	s_delay_alu instid0(SALU_CYCLE_1)
	s_and_not1_b32 vcc_lo, exec_lo, s6
	s_cbranch_vccnz .LBB22_2031
; %bb.2022:
	s_wait_xcnt 0x0
	v_and_b32_e32 v3, 0x7fffffff, v10
	s_mov_b32 s6, exec_lo
                                        ; implicit-def: $vgpr1
	s_delay_alu instid0(VALU_DEP_1)
	v_cmpx_gt_u32_e32 0x47800000, v3
	s_xor_b32 s6, exec_lo, s6
	s_cbranch_execz .LBB22_2028
; %bb.2023:
	s_mov_b32 s7, exec_lo
                                        ; implicit-def: $vgpr1
	v_cmpx_lt_u32_e32 0x387fffff, v3
	s_xor_b32 s7, exec_lo, s7
; %bb.2024:
	v_bfe_u32 v1, v10, 21, 1
	s_delay_alu instid0(VALU_DEP_1) | instskip(NEXT) | instid1(VALU_DEP_1)
	v_add3_u32 v1, v10, v1, 0x80fffff
	v_lshrrev_b32_e32 v1, 21, v1
; %bb.2025:
	s_and_not1_saveexec_b32 s7, s7
; %bb.2026:
	v_add_f32_e64 v1, 0x43000000, |v10|
; %bb.2027:
	s_or_b32 exec_lo, exec_lo, s7
                                        ; implicit-def: $vgpr3
.LBB22_2028:
	s_and_not1_saveexec_b32 s6, s6
; %bb.2029:
	v_mov_b32_e32 v1, 0x7f
	v_cmp_lt_u32_e32 vcc_lo, 0x7f800000, v3
	s_delay_alu instid0(VALU_DEP_2)
	v_cndmask_b32_e32 v1, 0x7c, v1, vcc_lo
; %bb.2030:
	s_or_b32 exec_lo, exec_lo, s6
	v_lshrrev_b32_e32 v3, 24, v10
	s_delay_alu instid0(VALU_DEP_1)
	v_and_or_b32 v1, 0x80, v3, v1
	global_store_b8 v[4:5], v1, off
.LBB22_2031:
	s_mov_b32 s6, 0
	s_mov_b32 s7, -1
.LBB22_2032:
	s_and_not1_b32 vcc_lo, exec_lo, s6
	s_mov_b32 s6, 0
	s_cbranch_vccnz .LBB22_2039
; %bb.2033:
	s_cmp_gt_i32 s2, 14
	s_mov_b32 s6, -1
	s_cbranch_scc0 .LBB22_2037
; %bb.2034:
	s_cmp_eq_u32 s2, 15
	s_mov_b32 s0, -1
	s_cbranch_scc0 .LBB22_2036
; %bb.2035:
	s_wait_xcnt 0x0
	v_bfe_u32 v1, v10, 16, 1
	v_cmp_o_f32_e32 vcc_lo, v10, v10
	s_mov_b32 s0, 0
	s_mov_b32 s7, -1
	s_delay_alu instid0(VALU_DEP_2) | instskip(NEXT) | instid1(VALU_DEP_1)
	v_add3_u32 v1, v10, v1, 0x7fff
	v_lshrrev_b32_e32 v1, 16, v1
	s_delay_alu instid0(VALU_DEP_1)
	v_cndmask_b32_e32 v1, 0x7fc0, v1, vcc_lo
	global_store_b16 v[4:5], v1, off
.LBB22_2036:
	s_mov_b32 s6, 0
.LBB22_2037:
	s_delay_alu instid0(SALU_CYCLE_1)
	s_and_b32 vcc_lo, exec_lo, s6
	s_mov_b32 s6, 0
	s_cbranch_vccz .LBB22_2039
; %bb.2038:
	s_cmp_lg_u32 s2, 11
	s_mov_b32 s6, -1
	s_cselect_b32 s0, -1, 0
.LBB22_2039:
	s_delay_alu instid0(SALU_CYCLE_1)
	s_and_b32 vcc_lo, exec_lo, s0
	s_cbranch_vccnz .LBB22_2289
; %bb.2040:
	s_and_not1_b32 vcc_lo, exec_lo, s6
	s_cbranch_vccnz .LBB22_2042
.LBB22_2041:
	v_cmp_neq_f32_e32 vcc_lo, 0, v10
	s_mov_b32 s7, -1
	s_wait_xcnt 0x0
	v_cndmask_b32_e64 v1, 0, 1, vcc_lo
	global_store_b8 v[4:5], v1, off
.LBB22_2042:
	s_mov_b32 s0, 0
	s_branch .LBB22_2044
.LBB22_2043:
	s_mov_b32 s0, -1
	s_mov_b32 s7, 0
.LBB22_2044:
	s_and_b32 vcc_lo, exec_lo, s0
	s_cbranch_vccz .LBB22_2083
; %bb.2045:
	s_cmp_lt_i32 s2, 5
	s_mov_b32 s0, -1
	s_cbranch_scc1 .LBB22_2066
; %bb.2046:
	s_cmp_lt_i32 s2, 8
	s_cbranch_scc1 .LBB22_2056
; %bb.2047:
	s_cmp_lt_i32 s2, 9
	s_cbranch_scc1 .LBB22_2053
; %bb.2048:
	s_cmp_gt_i32 s2, 9
	s_cbranch_scc0 .LBB22_2050
; %bb.2049:
	s_wait_xcnt 0x0
	v_cvt_f64_f32_e32 v[6:7], v10
	v_mov_b32_e32 v8, 0
	s_mov_b32 s0, 0
	s_delay_alu instid0(VALU_DEP_1)
	v_mov_b32_e32 v9, v8
	global_store_b128 v[4:5], v[6:9], off
.LBB22_2050:
	s_and_not1_b32 vcc_lo, exec_lo, s0
	s_cbranch_vccnz .LBB22_2052
; %bb.2051:
	v_mov_b32_e32 v11, 0
	global_store_b64 v[4:5], v[10:11], off
.LBB22_2052:
	s_mov_b32 s0, 0
.LBB22_2053:
	s_delay_alu instid0(SALU_CYCLE_1)
	s_and_not1_b32 vcc_lo, exec_lo, s0
	s_cbranch_vccnz .LBB22_2055
; %bb.2054:
	s_wait_xcnt 0x0
	v_cvt_f16_f32_e32 v1, v10
	s_delay_alu instid0(VALU_DEP_1)
	v_and_b32_e32 v1, 0xffff, v1
	global_store_b32 v[4:5], v1, off
.LBB22_2055:
	s_mov_b32 s0, 0
.LBB22_2056:
	s_delay_alu instid0(SALU_CYCLE_1)
	s_and_not1_b32 vcc_lo, exec_lo, s0
	s_cbranch_vccnz .LBB22_2065
; %bb.2057:
	s_cmp_lt_i32 s2, 6
	s_mov_b32 s0, -1
	s_cbranch_scc1 .LBB22_2063
; %bb.2058:
	s_cmp_gt_i32 s2, 6
	s_cbranch_scc0 .LBB22_2060
; %bb.2059:
	s_wait_xcnt 0x0
	v_cvt_f64_f32_e32 v[6:7], v10
	s_mov_b32 s0, 0
	global_store_b64 v[4:5], v[6:7], off
.LBB22_2060:
	s_and_not1_b32 vcc_lo, exec_lo, s0
	s_cbranch_vccnz .LBB22_2062
; %bb.2061:
	global_store_b32 v[4:5], v10, off
.LBB22_2062:
	s_mov_b32 s0, 0
.LBB22_2063:
	s_delay_alu instid0(SALU_CYCLE_1)
	s_and_not1_b32 vcc_lo, exec_lo, s0
	s_cbranch_vccnz .LBB22_2065
; %bb.2064:
	s_wait_xcnt 0x0
	v_cvt_f16_f32_e32 v1, v10
	global_store_b16 v[4:5], v1, off
.LBB22_2065:
	s_mov_b32 s0, 0
.LBB22_2066:
	s_delay_alu instid0(SALU_CYCLE_1)
	s_and_not1_b32 vcc_lo, exec_lo, s0
	s_cbranch_vccnz .LBB22_2082
; %bb.2067:
	s_cmp_lt_i32 s2, 2
	s_mov_b32 s0, -1
	s_cbranch_scc1 .LBB22_2077
; %bb.2068:
	s_cmp_lt_i32 s2, 3
	s_cbranch_scc1 .LBB22_2074
; %bb.2069:
	s_cmp_gt_i32 s2, 3
	s_cbranch_scc0 .LBB22_2071
; %bb.2070:
	s_wait_xcnt 0x0
	v_trunc_f32_e32 v1, v10
	s_mov_b32 s0, 0
	s_delay_alu instid0(VALU_DEP_1) | instskip(SKIP_1) | instid1(VALU_DEP_2)
	v_mul_f32_e64 v3, 0x2f800000, |v1|
	v_ashrrev_i32_e32 v6, 31, v1
	v_floor_f32_e32 v3, v3
	s_delay_alu instid0(VALU_DEP_1) | instskip(SKIP_1) | instid1(VALU_DEP_2)
	v_fma_f32 v7, 0xcf800000, v3, |v1|
	v_cvt_u32_f32_e32 v1, v3
	v_cvt_u32_f32_e32 v3, v7
	s_delay_alu instid0(VALU_DEP_2) | instskip(NEXT) | instid1(VALU_DEP_2)
	v_dual_mov_b32 v7, v6 :: v_dual_bitop2_b32 v9, v1, v6 bitop3:0x14
	v_xor_b32_e32 v8, v3, v6
	s_delay_alu instid0(VALU_DEP_1)
	v_sub_nc_u64_e32 v[6:7], v[8:9], v[6:7]
	global_store_b64 v[4:5], v[6:7], off
.LBB22_2071:
	s_and_not1_b32 vcc_lo, exec_lo, s0
	s_cbranch_vccnz .LBB22_2073
; %bb.2072:
	s_wait_xcnt 0x0
	v_cvt_i32_f32_e32 v1, v10
	global_store_b32 v[4:5], v1, off
.LBB22_2073:
	s_mov_b32 s0, 0
.LBB22_2074:
	s_delay_alu instid0(SALU_CYCLE_1)
	s_and_not1_b32 vcc_lo, exec_lo, s0
	s_cbranch_vccnz .LBB22_2076
; %bb.2075:
	s_wait_xcnt 0x0
	v_cvt_i32_f32_e32 v1, v10
	global_store_b16 v[4:5], v1, off
.LBB22_2076:
	s_mov_b32 s0, 0
.LBB22_2077:
	s_delay_alu instid0(SALU_CYCLE_1)
	s_and_not1_b32 vcc_lo, exec_lo, s0
	s_cbranch_vccnz .LBB22_2082
; %bb.2078:
	s_cmp_gt_i32 s2, 0
	s_mov_b32 s0, -1
	s_cbranch_scc0 .LBB22_2080
; %bb.2079:
	s_wait_xcnt 0x0
	v_cvt_i32_f32_e32 v1, v10
	s_mov_b32 s0, 0
	global_store_b8 v[4:5], v1, off
.LBB22_2080:
	s_and_not1_b32 vcc_lo, exec_lo, s0
	s_cbranch_vccnz .LBB22_2082
; %bb.2081:
	s_wait_xcnt 0x0
	v_trunc_f32_e32 v1, v10
	s_delay_alu instid0(VALU_DEP_1) | instskip(NEXT) | instid1(VALU_DEP_1)
	v_mul_f32_e64 v3, 0x2f800000, |v1|
	v_floor_f32_e32 v3, v3
	s_delay_alu instid0(VALU_DEP_1) | instskip(SKIP_1) | instid1(VALU_DEP_2)
	v_fma_f32 v3, 0xcf800000, v3, |v1|
	v_ashrrev_i32_e32 v1, 31, v1
	v_cvt_u32_f32_e32 v3, v3
	s_delay_alu instid0(VALU_DEP_1) | instskip(NEXT) | instid1(VALU_DEP_1)
	v_xor_b32_e32 v3, v3, v1
	v_sub_nc_u32_e32 v1, v3, v1
	global_store_b8 v[4:5], v1, off
.LBB22_2082:
	s_mov_b32 s7, -1
.LBB22_2083:
	s_delay_alu instid0(SALU_CYCLE_1)
	s_and_not1_b32 vcc_lo, exec_lo, s7
	s_cbranch_vccnz .LBB22_2279
; %bb.2084:
	s_wait_xcnt 0x0
	v_mov_b32_e32 v3, 0
	s_cmp_lt_i32 s2, 11
	s_delay_alu instid0(VALU_DEP_1)
	v_add_nc_u64_e32 v[2:3], s[4:5], v[2:3]
	s_cbranch_scc1 .LBB22_2162
; %bb.2085:
	s_mov_b32 s10, -1
	s_mov_b32 s6, 0
	s_cmp_gt_i32 s2, 25
	s_mov_b32 s7, 0
	s_mov_b32 s0, 0
	s_cbranch_scc0 .LBB22_2118
; %bb.2086:
	s_cmp_gt_i32 s2, 28
	s_cbranch_scc0 .LBB22_2101
; %bb.2087:
	s_cmp_gt_i32 s2, 43
	;; [unrolled: 3-line block ×3, first 2 shown]
	s_cbranch_scc0 .LBB22_2091
; %bb.2089:
	s_mov_b32 s0, -1
	s_mov_b32 s10, 0
	s_cmp_eq_u32 s2, 46
	s_cbranch_scc0 .LBB22_2091
; %bb.2090:
	v_bfe_u32 v1, v14, 16, 1
	v_cmp_o_f32_e32 vcc_lo, v14, v14
	s_mov_b32 s0, 0
	s_mov_b32 s7, -1
	s_delay_alu instid0(VALU_DEP_2) | instskip(NEXT) | instid1(VALU_DEP_1)
	v_add3_u32 v1, v14, v1, 0x7fff
	v_lshrrev_b32_e32 v1, 16, v1
	s_delay_alu instid0(VALU_DEP_1)
	v_cndmask_b32_e32 v1, 0x7fc0, v1, vcc_lo
	global_store_b32 v[2:3], v1, off
.LBB22_2091:
	s_and_b32 vcc_lo, exec_lo, s10
	s_cbranch_vccz .LBB22_2096
; %bb.2092:
	s_cmp_eq_u32 s2, 44
	s_mov_b32 s0, -1
	s_cbranch_scc0 .LBB22_2096
; %bb.2093:
	v_bfe_u32 v4, v14, 23, 8
	s_wait_xcnt 0x0
	v_mov_b32_e32 v1, 0xff
	s_mov_b32 s7, exec_lo
	s_delay_alu instid0(VALU_DEP_2)
	v_cmpx_ne_u32_e32 0xff, v4
	s_cbranch_execz .LBB22_2095
; %bb.2094:
	v_and_b32_e32 v1, 0x400000, v14
	v_and_or_b32 v4, 0x3fffff, v14, v4
	s_delay_alu instid0(VALU_DEP_2) | instskip(NEXT) | instid1(VALU_DEP_2)
	v_cmp_ne_u32_e32 vcc_lo, 0, v1
	v_cmp_ne_u32_e64 s0, 0, v4
	v_lshrrev_b32_e32 v1, 23, v14
	s_and_b32 s0, vcc_lo, s0
	s_delay_alu instid0(SALU_CYCLE_1) | instskip(NEXT) | instid1(VALU_DEP_1)
	v_cndmask_b32_e64 v4, 0, 1, s0
	v_add_nc_u32_e32 v1, v1, v4
.LBB22_2095:
	s_or_b32 exec_lo, exec_lo, s7
	s_mov_b32 s0, 0
	s_mov_b32 s7, -1
	global_store_b8 v[2:3], v1, off
.LBB22_2096:
	s_mov_b32 s10, 0
.LBB22_2097:
	s_delay_alu instid0(SALU_CYCLE_1)
	s_and_b32 vcc_lo, exec_lo, s10
	s_cbranch_vccz .LBB22_2100
; %bb.2098:
	s_cmp_eq_u32 s2, 29
	s_mov_b32 s0, -1
	s_cbranch_scc0 .LBB22_2100
; %bb.2099:
	s_wait_xcnt 0x0
	v_trunc_f32_e32 v1, v14
	s_mov_b32 s0, 0
	s_mov_b32 s7, -1
	s_delay_alu instid0(VALU_DEP_1) | instskip(NEXT) | instid1(VALU_DEP_1)
	v_mul_f32_e32 v4, 0x2f800000, v1
	v_floor_f32_e32 v4, v4
	s_delay_alu instid0(VALU_DEP_1) | instskip(SKIP_1) | instid1(VALU_DEP_2)
	v_fmamk_f32 v1, v4, 0xcf800000, v1
	v_cvt_u32_f32_e32 v5, v4
	v_cvt_u32_f32_e32 v4, v1
	global_store_b64 v[2:3], v[4:5], off
.LBB22_2100:
	s_mov_b32 s10, 0
.LBB22_2101:
	s_delay_alu instid0(SALU_CYCLE_1)
	s_and_b32 vcc_lo, exec_lo, s10
	s_cbranch_vccz .LBB22_2117
; %bb.2102:
	s_cmp_lt_i32 s2, 27
	s_mov_b32 s7, -1
	s_cbranch_scc1 .LBB22_2108
; %bb.2103:
	s_wait_xcnt 0x0
	v_cvt_u32_f32_e32 v1, v14
	s_cmp_gt_i32 s2, 27
	s_cbranch_scc0 .LBB22_2105
; %bb.2104:
	s_mov_b32 s7, 0
	global_store_b32 v[2:3], v1, off
.LBB22_2105:
	s_and_not1_b32 vcc_lo, exec_lo, s7
	s_cbranch_vccnz .LBB22_2107
; %bb.2106:
	global_store_b16 v[2:3], v1, off
.LBB22_2107:
	s_mov_b32 s7, 0
.LBB22_2108:
	s_delay_alu instid0(SALU_CYCLE_1)
	s_and_not1_b32 vcc_lo, exec_lo, s7
	s_cbranch_vccnz .LBB22_2116
; %bb.2109:
	s_wait_xcnt 0x0
	v_and_b32_e32 v1, 0x7fffffff, v14
	v_mov_b32_e32 v4, 0x80
	s_mov_b32 s7, exec_lo
	s_delay_alu instid0(VALU_DEP_2)
	v_cmpx_gt_u32_e32 0x43800000, v1
	s_cbranch_execz .LBB22_2115
; %bb.2110:
	v_cmp_lt_u32_e32 vcc_lo, 0x3bffffff, v1
	s_mov_b32 s10, 0
                                        ; implicit-def: $vgpr1
	s_and_saveexec_b32 s11, vcc_lo
	s_delay_alu instid0(SALU_CYCLE_1)
	s_xor_b32 s11, exec_lo, s11
	s_cbranch_execz .LBB22_2292
; %bb.2111:
	v_bfe_u32 v1, v14, 20, 1
	s_mov_b32 s10, exec_lo
	s_delay_alu instid0(VALU_DEP_1) | instskip(NEXT) | instid1(VALU_DEP_1)
	v_add3_u32 v1, v14, v1, 0x487ffff
	v_lshrrev_b32_e32 v1, 20, v1
	s_and_not1_saveexec_b32 s11, s11
	s_cbranch_execnz .LBB22_2293
.LBB22_2112:
	s_or_b32 exec_lo, exec_lo, s11
	v_mov_b32_e32 v4, 0
	s_and_saveexec_b32 s11, s10
.LBB22_2113:
	v_lshrrev_b32_e32 v4, 24, v14
	s_delay_alu instid0(VALU_DEP_1)
	v_and_or_b32 v4, 0x80, v4, v1
.LBB22_2114:
	s_or_b32 exec_lo, exec_lo, s11
.LBB22_2115:
	s_delay_alu instid0(SALU_CYCLE_1)
	s_or_b32 exec_lo, exec_lo, s7
	global_store_b8 v[2:3], v4, off
.LBB22_2116:
	s_mov_b32 s7, -1
.LBB22_2117:
	s_mov_b32 s10, 0
.LBB22_2118:
	s_delay_alu instid0(SALU_CYCLE_1)
	s_and_b32 vcc_lo, exec_lo, s10
	s_cbranch_vccz .LBB22_2158
; %bb.2119:
	s_cmp_gt_i32 s2, 22
	s_mov_b32 s6, -1
	s_cbranch_scc0 .LBB22_2151
; %bb.2120:
	s_cmp_lt_i32 s2, 24
	s_cbranch_scc1 .LBB22_2140
; %bb.2121:
	s_cmp_gt_i32 s2, 24
	s_cbranch_scc0 .LBB22_2129
; %bb.2122:
	s_wait_xcnt 0x0
	v_and_b32_e32 v1, 0x7fffffff, v14
	v_mov_b32_e32 v4, 0x80
	s_mov_b32 s6, exec_lo
	s_delay_alu instid0(VALU_DEP_2)
	v_cmpx_gt_u32_e32 0x47800000, v1
	s_cbranch_execz .LBB22_2128
; %bb.2123:
	v_cmp_lt_u32_e32 vcc_lo, 0x37ffffff, v1
	s_mov_b32 s7, 0
                                        ; implicit-def: $vgpr1
	s_and_saveexec_b32 s10, vcc_lo
	s_delay_alu instid0(SALU_CYCLE_1)
	s_xor_b32 s10, exec_lo, s10
	s_cbranch_execz .LBB22_2295
; %bb.2124:
	v_bfe_u32 v1, v14, 21, 1
	s_mov_b32 s7, exec_lo
	s_delay_alu instid0(VALU_DEP_1) | instskip(NEXT) | instid1(VALU_DEP_1)
	v_add3_u32 v1, v14, v1, 0x88fffff
	v_lshrrev_b32_e32 v1, 21, v1
	s_and_not1_saveexec_b32 s10, s10
	s_cbranch_execnz .LBB22_2296
.LBB22_2125:
	s_or_b32 exec_lo, exec_lo, s10
	v_mov_b32_e32 v4, 0
	s_and_saveexec_b32 s10, s7
.LBB22_2126:
	v_lshrrev_b32_e32 v4, 24, v14
	s_delay_alu instid0(VALU_DEP_1)
	v_and_or_b32 v4, 0x80, v4, v1
.LBB22_2127:
	s_or_b32 exec_lo, exec_lo, s10
.LBB22_2128:
	s_delay_alu instid0(SALU_CYCLE_1)
	s_or_b32 exec_lo, exec_lo, s6
	s_mov_b32 s6, 0
	global_store_b8 v[2:3], v4, off
.LBB22_2129:
	s_and_b32 vcc_lo, exec_lo, s6
	s_cbranch_vccz .LBB22_2139
; %bb.2130:
	s_wait_xcnt 0x0
	v_and_b32_e32 v4, 0x7fffffff, v14
	s_mov_b32 s6, exec_lo
                                        ; implicit-def: $vgpr1
	s_delay_alu instid0(VALU_DEP_1)
	v_cmpx_gt_u32_e32 0x43f00000, v4
	s_xor_b32 s6, exec_lo, s6
	s_cbranch_execz .LBB22_2136
; %bb.2131:
	s_mov_b32 s7, exec_lo
                                        ; implicit-def: $vgpr1
	v_cmpx_lt_u32_e32 0x3c7fffff, v4
	s_xor_b32 s7, exec_lo, s7
; %bb.2132:
	v_bfe_u32 v1, v14, 20, 1
	s_delay_alu instid0(VALU_DEP_1) | instskip(NEXT) | instid1(VALU_DEP_1)
	v_add3_u32 v1, v14, v1, 0x407ffff
	v_and_b32_e32 v4, 0xff00000, v1
	v_lshrrev_b32_e32 v1, 20, v1
	s_delay_alu instid0(VALU_DEP_2) | instskip(NEXT) | instid1(VALU_DEP_2)
	v_cmp_ne_u32_e32 vcc_lo, 0x7f00000, v4
	v_cndmask_b32_e32 v1, 0x7e, v1, vcc_lo
; %bb.2133:
	s_and_not1_saveexec_b32 s7, s7
; %bb.2134:
	v_add_f32_e64 v1, 0x46800000, |v14|
; %bb.2135:
	s_or_b32 exec_lo, exec_lo, s7
                                        ; implicit-def: $vgpr4
.LBB22_2136:
	s_and_not1_saveexec_b32 s6, s6
; %bb.2137:
	v_mov_b32_e32 v1, 0x7f
	v_cmp_lt_u32_e32 vcc_lo, 0x7f800000, v4
	s_delay_alu instid0(VALU_DEP_2)
	v_cndmask_b32_e32 v1, 0x7e, v1, vcc_lo
; %bb.2138:
	s_or_b32 exec_lo, exec_lo, s6
	v_lshrrev_b32_e32 v4, 24, v14
	s_delay_alu instid0(VALU_DEP_1)
	v_and_or_b32 v1, 0x80, v4, v1
	global_store_b8 v[2:3], v1, off
.LBB22_2139:
	s_mov_b32 s6, 0
.LBB22_2140:
	s_delay_alu instid0(SALU_CYCLE_1)
	s_and_not1_b32 vcc_lo, exec_lo, s6
	s_cbranch_vccnz .LBB22_2150
; %bb.2141:
	s_wait_xcnt 0x0
	v_and_b32_e32 v4, 0x7fffffff, v14
	s_mov_b32 s6, exec_lo
                                        ; implicit-def: $vgpr1
	s_delay_alu instid0(VALU_DEP_1)
	v_cmpx_gt_u32_e32 0x47800000, v4
	s_xor_b32 s6, exec_lo, s6
	s_cbranch_execz .LBB22_2147
; %bb.2142:
	s_mov_b32 s7, exec_lo
                                        ; implicit-def: $vgpr1
	v_cmpx_lt_u32_e32 0x387fffff, v4
	s_xor_b32 s7, exec_lo, s7
; %bb.2143:
	v_bfe_u32 v1, v14, 21, 1
	s_delay_alu instid0(VALU_DEP_1) | instskip(NEXT) | instid1(VALU_DEP_1)
	v_add3_u32 v1, v14, v1, 0x80fffff
	v_lshrrev_b32_e32 v1, 21, v1
; %bb.2144:
	s_and_not1_saveexec_b32 s7, s7
; %bb.2145:
	v_add_f32_e64 v1, 0x43000000, |v14|
; %bb.2146:
	s_or_b32 exec_lo, exec_lo, s7
                                        ; implicit-def: $vgpr4
.LBB22_2147:
	s_and_not1_saveexec_b32 s6, s6
; %bb.2148:
	v_mov_b32_e32 v1, 0x7f
	v_cmp_lt_u32_e32 vcc_lo, 0x7f800000, v4
	s_delay_alu instid0(VALU_DEP_2)
	v_cndmask_b32_e32 v1, 0x7c, v1, vcc_lo
; %bb.2149:
	s_or_b32 exec_lo, exec_lo, s6
	v_lshrrev_b32_e32 v4, 24, v14
	s_delay_alu instid0(VALU_DEP_1)
	v_and_or_b32 v1, 0x80, v4, v1
	global_store_b8 v[2:3], v1, off
.LBB22_2150:
	s_mov_b32 s6, 0
	s_mov_b32 s7, -1
.LBB22_2151:
	s_and_not1_b32 vcc_lo, exec_lo, s6
	s_mov_b32 s6, 0
	s_cbranch_vccnz .LBB22_2158
; %bb.2152:
	s_cmp_gt_i32 s2, 14
	s_mov_b32 s6, -1
	s_cbranch_scc0 .LBB22_2156
; %bb.2153:
	s_cmp_eq_u32 s2, 15
	s_mov_b32 s0, -1
	s_cbranch_scc0 .LBB22_2155
; %bb.2154:
	s_wait_xcnt 0x0
	v_bfe_u32 v1, v14, 16, 1
	v_cmp_o_f32_e32 vcc_lo, v14, v14
	s_mov_b32 s0, 0
	s_mov_b32 s7, -1
	s_delay_alu instid0(VALU_DEP_2) | instskip(NEXT) | instid1(VALU_DEP_1)
	v_add3_u32 v1, v14, v1, 0x7fff
	v_lshrrev_b32_e32 v1, 16, v1
	s_delay_alu instid0(VALU_DEP_1)
	v_cndmask_b32_e32 v1, 0x7fc0, v1, vcc_lo
	global_store_b16 v[2:3], v1, off
.LBB22_2155:
	s_mov_b32 s6, 0
.LBB22_2156:
	s_delay_alu instid0(SALU_CYCLE_1)
	s_and_b32 vcc_lo, exec_lo, s6
	s_mov_b32 s6, 0
	s_cbranch_vccz .LBB22_2158
; %bb.2157:
	s_cmp_lg_u32 s2, 11
	s_mov_b32 s6, -1
	s_cselect_b32 s0, -1, 0
.LBB22_2158:
	s_delay_alu instid0(SALU_CYCLE_1)
	s_and_b32 vcc_lo, exec_lo, s0
	s_cbranch_vccnz .LBB22_2294
; %bb.2159:
	s_and_not1_b32 vcc_lo, exec_lo, s6
	s_cbranch_vccnz .LBB22_2161
.LBB22_2160:
	v_cmp_neq_f32_e32 vcc_lo, 0, v14
	s_mov_b32 s7, -1
	s_wait_xcnt 0x0
	v_cndmask_b32_e64 v1, 0, 1, vcc_lo
	global_store_b8 v[2:3], v1, off
.LBB22_2161:
	s_mov_b32 s0, 0
	s_branch .LBB22_2163
.LBB22_2162:
	s_mov_b32 s0, -1
	s_mov_b32 s7, 0
.LBB22_2163:
	s_and_b32 vcc_lo, exec_lo, s0
	s_cbranch_vccz .LBB22_2202
; %bb.2164:
	s_cmp_lt_i32 s2, 5
	s_mov_b32 s0, -1
	s_cbranch_scc1 .LBB22_2185
; %bb.2165:
	s_cmp_lt_i32 s2, 8
	s_cbranch_scc1 .LBB22_2175
; %bb.2166:
	s_cmp_lt_i32 s2, 9
	s_cbranch_scc1 .LBB22_2172
; %bb.2167:
	s_cmp_gt_i32 s2, 9
	s_cbranch_scc0 .LBB22_2169
; %bb.2168:
	s_wait_xcnt 0x0
	v_cvt_f64_f32_e32 v[4:5], v14
	v_mov_b32_e32 v6, 0
	s_mov_b32 s0, 0
	s_delay_alu instid0(VALU_DEP_1)
	v_mov_b32_e32 v7, v6
	global_store_b128 v[2:3], v[4:7], off
.LBB22_2169:
	s_and_not1_b32 vcc_lo, exec_lo, s0
	s_cbranch_vccnz .LBB22_2171
; %bb.2170:
	v_mov_b32_e32 v15, 0
	global_store_b64 v[2:3], v[14:15], off
.LBB22_2171:
	s_mov_b32 s0, 0
.LBB22_2172:
	s_delay_alu instid0(SALU_CYCLE_1)
	s_and_not1_b32 vcc_lo, exec_lo, s0
	s_cbranch_vccnz .LBB22_2174
; %bb.2173:
	s_wait_xcnt 0x0
	v_cvt_f16_f32_e32 v1, v14
	s_delay_alu instid0(VALU_DEP_1)
	v_and_b32_e32 v1, 0xffff, v1
	global_store_b32 v[2:3], v1, off
.LBB22_2174:
	s_mov_b32 s0, 0
.LBB22_2175:
	s_delay_alu instid0(SALU_CYCLE_1)
	s_and_not1_b32 vcc_lo, exec_lo, s0
	s_cbranch_vccnz .LBB22_2184
; %bb.2176:
	s_cmp_lt_i32 s2, 6
	s_mov_b32 s0, -1
	s_cbranch_scc1 .LBB22_2182
; %bb.2177:
	s_cmp_gt_i32 s2, 6
	s_cbranch_scc0 .LBB22_2179
; %bb.2178:
	s_wait_xcnt 0x0
	v_cvt_f64_f32_e32 v[4:5], v14
	s_mov_b32 s0, 0
	global_store_b64 v[2:3], v[4:5], off
.LBB22_2179:
	s_and_not1_b32 vcc_lo, exec_lo, s0
	s_cbranch_vccnz .LBB22_2181
; %bb.2180:
	global_store_b32 v[2:3], v14, off
.LBB22_2181:
	s_mov_b32 s0, 0
.LBB22_2182:
	s_delay_alu instid0(SALU_CYCLE_1)
	s_and_not1_b32 vcc_lo, exec_lo, s0
	s_cbranch_vccnz .LBB22_2184
; %bb.2183:
	s_wait_xcnt 0x0
	v_cvt_f16_f32_e32 v1, v14
	global_store_b16 v[2:3], v1, off
.LBB22_2184:
	s_mov_b32 s0, 0
.LBB22_2185:
	s_delay_alu instid0(SALU_CYCLE_1)
	s_and_not1_b32 vcc_lo, exec_lo, s0
	s_cbranch_vccnz .LBB22_2201
; %bb.2186:
	s_cmp_lt_i32 s2, 2
	s_mov_b32 s0, -1
	s_cbranch_scc1 .LBB22_2196
; %bb.2187:
	s_cmp_lt_i32 s2, 3
	s_cbranch_scc1 .LBB22_2193
; %bb.2188:
	s_cmp_gt_i32 s2, 3
	s_cbranch_scc0 .LBB22_2190
; %bb.2189:
	s_wait_xcnt 0x0
	v_trunc_f32_e32 v1, v14
	s_mov_b32 s0, 0
	s_delay_alu instid0(VALU_DEP_1) | instskip(NEXT) | instid1(VALU_DEP_1)
	v_mul_f32_e64 v4, 0x2f800000, |v1|
	v_floor_f32_e32 v5, v4
	v_ashrrev_i32_e32 v4, 31, v1
	s_delay_alu instid0(VALU_DEP_2) | instskip(SKIP_1) | instid1(VALU_DEP_3)
	v_fma_f32 v6, 0xcf800000, v5, |v1|
	v_cvt_u32_f32_e32 v1, v5
	v_mov_b32_e32 v5, v4
	s_delay_alu instid0(VALU_DEP_3) | instskip(NEXT) | instid1(VALU_DEP_3)
	v_cvt_u32_f32_e32 v6, v6
	v_xor_b32_e32 v7, v1, v4
	s_delay_alu instid0(VALU_DEP_2) | instskip(NEXT) | instid1(VALU_DEP_1)
	v_xor_b32_e32 v6, v6, v4
	v_sub_nc_u64_e32 v[4:5], v[6:7], v[4:5]
	global_store_b64 v[2:3], v[4:5], off
.LBB22_2190:
	s_and_not1_b32 vcc_lo, exec_lo, s0
	s_cbranch_vccnz .LBB22_2192
; %bb.2191:
	s_wait_xcnt 0x0
	v_cvt_i32_f32_e32 v1, v14
	global_store_b32 v[2:3], v1, off
.LBB22_2192:
	s_mov_b32 s0, 0
.LBB22_2193:
	s_delay_alu instid0(SALU_CYCLE_1)
	s_and_not1_b32 vcc_lo, exec_lo, s0
	s_cbranch_vccnz .LBB22_2195
; %bb.2194:
	s_wait_xcnt 0x0
	v_cvt_i32_f32_e32 v1, v14
	global_store_b16 v[2:3], v1, off
.LBB22_2195:
	s_mov_b32 s0, 0
.LBB22_2196:
	s_delay_alu instid0(SALU_CYCLE_1)
	s_and_not1_b32 vcc_lo, exec_lo, s0
	s_cbranch_vccnz .LBB22_2201
; %bb.2197:
	s_cmp_gt_i32 s2, 0
	s_mov_b32 s0, -1
	s_cbranch_scc0 .LBB22_2199
; %bb.2198:
	s_wait_xcnt 0x0
	v_cvt_i32_f32_e32 v1, v14
	s_mov_b32 s0, 0
	global_store_b8 v[2:3], v1, off
.LBB22_2199:
	s_and_not1_b32 vcc_lo, exec_lo, s0
	s_cbranch_vccnz .LBB22_2201
; %bb.2200:
	s_wait_xcnt 0x0
	v_trunc_f32_e32 v1, v14
	s_delay_alu instid0(VALU_DEP_1) | instskip(NEXT) | instid1(VALU_DEP_1)
	v_mul_f32_e64 v4, 0x2f800000, |v1|
	v_floor_f32_e32 v4, v4
	s_delay_alu instid0(VALU_DEP_1) | instskip(SKIP_1) | instid1(VALU_DEP_2)
	v_fma_f32 v4, 0xcf800000, v4, |v1|
	v_ashrrev_i32_e32 v1, 31, v1
	v_cvt_u32_f32_e32 v4, v4
	s_delay_alu instid0(VALU_DEP_1) | instskip(NEXT) | instid1(VALU_DEP_1)
	v_xor_b32_e32 v4, v4, v1
	v_sub_nc_u32_e32 v1, v4, v1
	global_store_b8 v[2:3], v1, off
.LBB22_2201:
	s_mov_b32 s7, -1
.LBB22_2202:
	s_delay_alu instid0(SALU_CYCLE_1)
	s_and_not1_b32 vcc_lo, exec_lo, s7
	s_cbranch_vccnz .LBB22_2279
; %bb.2203:
	s_wait_xcnt 0x0
	v_mov_b32_e32 v1, 0
	s_cmp_lt_i32 s2, 11
	s_delay_alu instid0(VALU_DEP_1)
	v_add_nc_u64_e32 v[2:3], s[4:5], v[0:1]
	s_cbranch_scc1 .LBB22_2280
; %bb.2204:
	s_mov_b32 s5, -1
	s_mov_b32 s4, 0
	s_cmp_gt_i32 s2, 25
	s_mov_b32 s0, 0
	s_cbranch_scc0 .LBB22_2237
; %bb.2205:
	s_cmp_gt_i32 s2, 28
	s_cbranch_scc0 .LBB22_2221
; %bb.2206:
	s_cmp_gt_i32 s2, 43
	;; [unrolled: 3-line block ×3, first 2 shown]
	s_cbranch_scc0 .LBB22_2211
; %bb.2208:
	s_cmp_eq_u32 s2, 46
	s_mov_b32 s0, -1
	s_cbranch_scc0 .LBB22_2210
; %bb.2209:
	v_bfe_u32 v0, v12, 16, 1
	v_cmp_o_f32_e32 vcc_lo, v12, v12
	s_mov_b32 s0, 0
	s_delay_alu instid0(VALU_DEP_2) | instskip(NEXT) | instid1(VALU_DEP_1)
	v_add3_u32 v0, v12, v0, 0x7fff
	v_lshrrev_b32_e32 v0, 16, v0
	s_delay_alu instid0(VALU_DEP_1)
	v_cndmask_b32_e32 v0, 0x7fc0, v0, vcc_lo
	global_store_b32 v[2:3], v0, off
.LBB22_2210:
	s_mov_b32 s5, 0
.LBB22_2211:
	s_delay_alu instid0(SALU_CYCLE_1)
	s_and_b32 vcc_lo, exec_lo, s5
	s_cbranch_vccz .LBB22_2216
; %bb.2212:
	s_cmp_eq_u32 s2, 44
	s_mov_b32 s0, -1
	s_cbranch_scc0 .LBB22_2216
; %bb.2213:
	v_bfe_u32 v1, v12, 23, 8
	s_wait_xcnt 0x0
	v_mov_b32_e32 v0, 0xff
	s_mov_b32 s5, exec_lo
	s_delay_alu instid0(VALU_DEP_2)
	v_cmpx_ne_u32_e32 0xff, v1
	s_cbranch_execz .LBB22_2215
; %bb.2214:
	v_and_b32_e32 v0, 0x400000, v12
	v_and_or_b32 v1, 0x3fffff, v12, v1
	s_delay_alu instid0(VALU_DEP_2) | instskip(NEXT) | instid1(VALU_DEP_2)
	v_cmp_ne_u32_e32 vcc_lo, 0, v0
	v_cmp_ne_u32_e64 s0, 0, v1
	v_lshrrev_b32_e32 v0, 23, v12
	s_and_b32 s0, vcc_lo, s0
	s_delay_alu instid0(SALU_CYCLE_1) | instskip(NEXT) | instid1(VALU_DEP_1)
	v_cndmask_b32_e64 v1, 0, 1, s0
	v_add_nc_u32_e32 v0, v0, v1
.LBB22_2215:
	s_or_b32 exec_lo, exec_lo, s5
	s_mov_b32 s0, 0
	global_store_b8 v[2:3], v0, off
.LBB22_2216:
	s_mov_b32 s5, 0
.LBB22_2217:
	s_delay_alu instid0(SALU_CYCLE_1)
	s_and_b32 vcc_lo, exec_lo, s5
	s_cbranch_vccz .LBB22_2220
; %bb.2218:
	s_cmp_eq_u32 s2, 29
	s_mov_b32 s0, -1
	s_cbranch_scc0 .LBB22_2220
; %bb.2219:
	s_wait_xcnt 0x0
	v_trunc_f32_e32 v0, v12
	s_mov_b32 s0, 0
	s_delay_alu instid0(VALU_DEP_1) | instskip(NEXT) | instid1(VALU_DEP_1)
	v_mul_f32_e32 v1, 0x2f800000, v0
	v_floor_f32_e32 v1, v1
	s_delay_alu instid0(VALU_DEP_1) | instskip(SKIP_1) | instid1(VALU_DEP_2)
	v_fmamk_f32 v0, v1, 0xcf800000, v0
	v_cvt_u32_f32_e32 v1, v1
	v_cvt_u32_f32_e32 v0, v0
	global_store_b64 v[2:3], v[0:1], off
.LBB22_2220:
	s_mov_b32 s5, 0
.LBB22_2221:
	s_delay_alu instid0(SALU_CYCLE_1)
	s_and_b32 vcc_lo, exec_lo, s5
	s_cbranch_vccz .LBB22_2236
; %bb.2222:
	s_cmp_lt_i32 s2, 27
	s_mov_b32 s5, -1
	s_cbranch_scc1 .LBB22_2228
; %bb.2223:
	s_cmp_gt_i32 s2, 27
	s_cbranch_scc0 .LBB22_2225
; %bb.2224:
	s_wait_xcnt 0x0
	v_cvt_u32_f32_e32 v0, v12
	s_mov_b32 s5, 0
	global_store_b32 v[2:3], v0, off
.LBB22_2225:
	s_and_not1_b32 vcc_lo, exec_lo, s5
	s_cbranch_vccnz .LBB22_2227
; %bb.2226:
	s_wait_xcnt 0x0
	v_cvt_u32_f32_e32 v0, v12
	global_store_b16 v[2:3], v0, off
.LBB22_2227:
	s_mov_b32 s5, 0
.LBB22_2228:
	s_delay_alu instid0(SALU_CYCLE_1)
	s_and_not1_b32 vcc_lo, exec_lo, s5
	s_cbranch_vccnz .LBB22_2236
; %bb.2229:
	s_wait_xcnt 0x0
	v_and_b32_e32 v0, 0x7fffffff, v12
	v_mov_b32_e32 v1, 0x80
	s_mov_b32 s5, exec_lo
	s_delay_alu instid0(VALU_DEP_2)
	v_cmpx_gt_u32_e32 0x43800000, v0
	s_cbranch_execz .LBB22_2235
; %bb.2230:
	v_cmp_lt_u32_e32 vcc_lo, 0x3bffffff, v0
	s_mov_b32 s6, 0
                                        ; implicit-def: $vgpr0
	s_and_saveexec_b32 s7, vcc_lo
	s_delay_alu instid0(SALU_CYCLE_1)
	s_xor_b32 s7, exec_lo, s7
	s_cbranch_execz .LBB22_2297
; %bb.2231:
	v_bfe_u32 v0, v12, 20, 1
	s_mov_b32 s6, exec_lo
	s_delay_alu instid0(VALU_DEP_1) | instskip(NEXT) | instid1(VALU_DEP_1)
	v_add3_u32 v0, v12, v0, 0x487ffff
	v_lshrrev_b32_e32 v0, 20, v0
	s_and_not1_saveexec_b32 s7, s7
	s_cbranch_execnz .LBB22_2298
.LBB22_2232:
	s_or_b32 exec_lo, exec_lo, s7
	v_mov_b32_e32 v1, 0
	s_and_saveexec_b32 s7, s6
.LBB22_2233:
	v_lshrrev_b32_e32 v1, 24, v12
	s_delay_alu instid0(VALU_DEP_1)
	v_and_or_b32 v1, 0x80, v1, v0
.LBB22_2234:
	s_or_b32 exec_lo, exec_lo, s7
.LBB22_2235:
	s_delay_alu instid0(SALU_CYCLE_1)
	s_or_b32 exec_lo, exec_lo, s5
	global_store_b8 v[2:3], v1, off
.LBB22_2236:
	s_mov_b32 s5, 0
.LBB22_2237:
	s_delay_alu instid0(SALU_CYCLE_1)
	s_and_b32 vcc_lo, exec_lo, s5
	s_cbranch_vccz .LBB22_2277
; %bb.2238:
	s_cmp_gt_i32 s2, 22
	s_mov_b32 s4, -1
	s_cbranch_scc0 .LBB22_2270
; %bb.2239:
	s_cmp_lt_i32 s2, 24
	s_cbranch_scc1 .LBB22_2259
; %bb.2240:
	s_cmp_gt_i32 s2, 24
	s_cbranch_scc0 .LBB22_2248
; %bb.2241:
	s_wait_xcnt 0x0
	v_and_b32_e32 v0, 0x7fffffff, v12
	v_mov_b32_e32 v1, 0x80
	s_mov_b32 s4, exec_lo
	s_delay_alu instid0(VALU_DEP_2)
	v_cmpx_gt_u32_e32 0x47800000, v0
	s_cbranch_execz .LBB22_2247
; %bb.2242:
	v_cmp_lt_u32_e32 vcc_lo, 0x37ffffff, v0
	s_mov_b32 s5, 0
                                        ; implicit-def: $vgpr0
	s_and_saveexec_b32 s6, vcc_lo
	s_delay_alu instid0(SALU_CYCLE_1)
	s_xor_b32 s6, exec_lo, s6
	s_cbranch_execz .LBB22_2300
; %bb.2243:
	v_bfe_u32 v0, v12, 21, 1
	s_mov_b32 s5, exec_lo
	s_delay_alu instid0(VALU_DEP_1) | instskip(NEXT) | instid1(VALU_DEP_1)
	v_add3_u32 v0, v12, v0, 0x88fffff
	v_lshrrev_b32_e32 v0, 21, v0
	s_and_not1_saveexec_b32 s6, s6
	s_cbranch_execnz .LBB22_2301
.LBB22_2244:
	s_or_b32 exec_lo, exec_lo, s6
	v_mov_b32_e32 v1, 0
	s_and_saveexec_b32 s6, s5
.LBB22_2245:
	v_lshrrev_b32_e32 v1, 24, v12
	s_delay_alu instid0(VALU_DEP_1)
	v_and_or_b32 v1, 0x80, v1, v0
.LBB22_2246:
	s_or_b32 exec_lo, exec_lo, s6
.LBB22_2247:
	s_delay_alu instid0(SALU_CYCLE_1)
	s_or_b32 exec_lo, exec_lo, s4
	s_mov_b32 s4, 0
	global_store_b8 v[2:3], v1, off
.LBB22_2248:
	s_and_b32 vcc_lo, exec_lo, s4
	s_cbranch_vccz .LBB22_2258
; %bb.2249:
	s_wait_xcnt 0x0
	v_and_b32_e32 v1, 0x7fffffff, v12
	s_mov_b32 s4, exec_lo
                                        ; implicit-def: $vgpr0
	s_delay_alu instid0(VALU_DEP_1)
	v_cmpx_gt_u32_e32 0x43f00000, v1
	s_xor_b32 s4, exec_lo, s4
	s_cbranch_execz .LBB22_2255
; %bb.2250:
	s_mov_b32 s5, exec_lo
                                        ; implicit-def: $vgpr0
	v_cmpx_lt_u32_e32 0x3c7fffff, v1
	s_xor_b32 s5, exec_lo, s5
; %bb.2251:
	v_bfe_u32 v0, v12, 20, 1
	s_delay_alu instid0(VALU_DEP_1) | instskip(NEXT) | instid1(VALU_DEP_1)
	v_add3_u32 v0, v12, v0, 0x407ffff
	v_and_b32_e32 v1, 0xff00000, v0
	v_lshrrev_b32_e32 v0, 20, v0
	s_delay_alu instid0(VALU_DEP_2) | instskip(NEXT) | instid1(VALU_DEP_2)
	v_cmp_ne_u32_e32 vcc_lo, 0x7f00000, v1
	v_cndmask_b32_e32 v0, 0x7e, v0, vcc_lo
; %bb.2252:
	s_and_not1_saveexec_b32 s5, s5
; %bb.2253:
	v_add_f32_e64 v0, 0x46800000, |v12|
; %bb.2254:
	s_or_b32 exec_lo, exec_lo, s5
                                        ; implicit-def: $vgpr1
.LBB22_2255:
	s_and_not1_saveexec_b32 s4, s4
; %bb.2256:
	v_mov_b32_e32 v0, 0x7f
	v_cmp_lt_u32_e32 vcc_lo, 0x7f800000, v1
	s_delay_alu instid0(VALU_DEP_2)
	v_cndmask_b32_e32 v0, 0x7e, v0, vcc_lo
; %bb.2257:
	s_or_b32 exec_lo, exec_lo, s4
	v_lshrrev_b32_e32 v1, 24, v12
	s_delay_alu instid0(VALU_DEP_1)
	v_and_or_b32 v0, 0x80, v1, v0
	global_store_b8 v[2:3], v0, off
.LBB22_2258:
	s_mov_b32 s4, 0
.LBB22_2259:
	s_delay_alu instid0(SALU_CYCLE_1)
	s_and_not1_b32 vcc_lo, exec_lo, s4
	s_cbranch_vccnz .LBB22_2269
; %bb.2260:
	s_wait_xcnt 0x0
	v_and_b32_e32 v1, 0x7fffffff, v12
	s_mov_b32 s4, exec_lo
                                        ; implicit-def: $vgpr0
	s_delay_alu instid0(VALU_DEP_1)
	v_cmpx_gt_u32_e32 0x47800000, v1
	s_xor_b32 s4, exec_lo, s4
	s_cbranch_execz .LBB22_2266
; %bb.2261:
	s_mov_b32 s5, exec_lo
                                        ; implicit-def: $vgpr0
	v_cmpx_lt_u32_e32 0x387fffff, v1
	s_xor_b32 s5, exec_lo, s5
; %bb.2262:
	v_bfe_u32 v0, v12, 21, 1
	s_delay_alu instid0(VALU_DEP_1) | instskip(NEXT) | instid1(VALU_DEP_1)
	v_add3_u32 v0, v12, v0, 0x80fffff
	v_lshrrev_b32_e32 v0, 21, v0
; %bb.2263:
	s_and_not1_saveexec_b32 s5, s5
; %bb.2264:
	v_add_f32_e64 v0, 0x43000000, |v12|
; %bb.2265:
	s_or_b32 exec_lo, exec_lo, s5
                                        ; implicit-def: $vgpr1
.LBB22_2266:
	s_and_not1_saveexec_b32 s4, s4
; %bb.2267:
	v_mov_b32_e32 v0, 0x7f
	v_cmp_lt_u32_e32 vcc_lo, 0x7f800000, v1
	s_delay_alu instid0(VALU_DEP_2)
	v_cndmask_b32_e32 v0, 0x7c, v0, vcc_lo
; %bb.2268:
	s_or_b32 exec_lo, exec_lo, s4
	v_lshrrev_b32_e32 v1, 24, v12
	s_delay_alu instid0(VALU_DEP_1)
	v_and_or_b32 v0, 0x80, v1, v0
	global_store_b8 v[2:3], v0, off
.LBB22_2269:
	s_mov_b32 s4, 0
.LBB22_2270:
	s_delay_alu instid0(SALU_CYCLE_1)
	s_and_not1_b32 vcc_lo, exec_lo, s4
	s_mov_b32 s4, 0
	s_cbranch_vccnz .LBB22_2277
; %bb.2271:
	s_cmp_gt_i32 s2, 14
	s_mov_b32 s4, -1
	s_cbranch_scc0 .LBB22_2275
; %bb.2272:
	s_cmp_eq_u32 s2, 15
	s_mov_b32 s0, -1
	s_cbranch_scc0 .LBB22_2274
; %bb.2273:
	s_wait_xcnt 0x0
	v_bfe_u32 v0, v12, 16, 1
	v_cmp_o_f32_e32 vcc_lo, v12, v12
	s_mov_b32 s0, 0
	s_delay_alu instid0(VALU_DEP_2) | instskip(NEXT) | instid1(VALU_DEP_1)
	v_add3_u32 v0, v12, v0, 0x7fff
	v_lshrrev_b32_e32 v0, 16, v0
	s_delay_alu instid0(VALU_DEP_1)
	v_cndmask_b32_e32 v0, 0x7fc0, v0, vcc_lo
	global_store_b16 v[2:3], v0, off
.LBB22_2274:
	s_mov_b32 s4, 0
.LBB22_2275:
	s_delay_alu instid0(SALU_CYCLE_1)
	s_and_b32 vcc_lo, exec_lo, s4
	s_mov_b32 s4, 0
	s_cbranch_vccz .LBB22_2277
; %bb.2276:
	s_cmp_lg_u32 s2, 11
	s_mov_b32 s4, -1
	s_cselect_b32 s0, -1, 0
.LBB22_2277:
	s_delay_alu instid0(SALU_CYCLE_1)
	s_and_b32 vcc_lo, exec_lo, s0
	s_cbranch_vccnz .LBB22_2299
.LBB22_2278:
	s_mov_b32 s0, 0
	s_branch .LBB22_1795
.LBB22_2279:
	s_mov_b32 s0, 0
	s_mov_b32 s4, 0
                                        ; implicit-def: $vgpr2_vgpr3
                                        ; implicit-def: $sgpr1
	s_branch .LBB22_1795
.LBB22_2280:
	s_mov_b32 s4, 0
	s_mov_b32 s0, -1
	s_branch .LBB22_1795
.LBB22_2281:
	s_or_b32 s3, s3, exec_lo
	s_trap 2
	s_cbranch_execz .LBB22_1733
	s_branch .LBB22_1734
.LBB22_2282:
	s_and_not1_saveexec_b32 s11, s11
	s_cbranch_execz .LBB22_1874
.LBB22_2283:
	v_add_f32_e64 v1, 0x46000000, |v8|
	s_and_not1_b32 s10, s10, exec_lo
	s_delay_alu instid0(VALU_DEP_1) | instskip(NEXT) | instid1(VALU_DEP_1)
	v_and_b32_e32 v1, 0xff, v1
	v_cmp_ne_u32_e32 vcc_lo, 0, v1
	s_and_b32 s12, vcc_lo, exec_lo
	s_delay_alu instid0(SALU_CYCLE_1)
	s_or_b32 s10, s10, s12
	s_or_b32 exec_lo, exec_lo, s11
	v_mov_b32_e32 v3, 0
	s_and_saveexec_b32 s11, s10
	s_cbranch_execnz .LBB22_1875
	s_branch .LBB22_1876
.LBB22_2284:
	s_or_b32 s3, s3, exec_lo
	s_trap 2
	s_cbranch_execz .LBB22_1922
	s_branch .LBB22_1923
.LBB22_2285:
	s_and_not1_saveexec_b32 s10, s10
	s_cbranch_execz .LBB22_1887
.LBB22_2286:
	v_add_f32_e64 v1, 0x42800000, |v8|
	s_and_not1_b32 s7, s7, exec_lo
	s_delay_alu instid0(VALU_DEP_1) | instskip(NEXT) | instid1(VALU_DEP_1)
	v_and_b32_e32 v1, 0xff, v1
	v_cmp_ne_u32_e32 vcc_lo, 0, v1
	s_and_b32 s11, vcc_lo, exec_lo
	s_delay_alu instid0(SALU_CYCLE_1)
	s_or_b32 s7, s7, s11
	s_or_b32 exec_lo, exec_lo, s10
	v_mov_b32_e32 v3, 0
	s_and_saveexec_b32 s10, s7
	s_cbranch_execnz .LBB22_1888
	s_branch .LBB22_1889
.LBB22_2287:
	s_and_not1_saveexec_b32 s11, s11
	s_cbranch_execz .LBB22_1993
.LBB22_2288:
	v_add_f32_e64 v1, 0x46000000, |v10|
	s_and_not1_b32 s10, s10, exec_lo
	s_delay_alu instid0(VALU_DEP_1) | instskip(NEXT) | instid1(VALU_DEP_1)
	v_and_b32_e32 v1, 0xff, v1
	v_cmp_ne_u32_e32 vcc_lo, 0, v1
	s_and_b32 s12, vcc_lo, exec_lo
	s_delay_alu instid0(SALU_CYCLE_1)
	s_or_b32 s10, s10, s12
	s_or_b32 exec_lo, exec_lo, s11
	v_mov_b32_e32 v3, 0
	s_and_saveexec_b32 s11, s10
	s_cbranch_execnz .LBB22_1994
	s_branch .LBB22_1995
.LBB22_2289:
	s_or_b32 s3, s3, exec_lo
	s_trap 2
	s_cbranch_execz .LBB22_2041
	s_branch .LBB22_2042
.LBB22_2290:
	s_and_not1_saveexec_b32 s10, s10
	s_cbranch_execz .LBB22_2006
.LBB22_2291:
	v_add_f32_e64 v1, 0x42800000, |v10|
	s_and_not1_b32 s7, s7, exec_lo
	s_delay_alu instid0(VALU_DEP_1) | instskip(NEXT) | instid1(VALU_DEP_1)
	v_and_b32_e32 v1, 0xff, v1
	v_cmp_ne_u32_e32 vcc_lo, 0, v1
	s_and_b32 s11, vcc_lo, exec_lo
	s_delay_alu instid0(SALU_CYCLE_1)
	s_or_b32 s7, s7, s11
	s_or_b32 exec_lo, exec_lo, s10
	v_mov_b32_e32 v3, 0
	s_and_saveexec_b32 s10, s7
	s_cbranch_execnz .LBB22_2007
	s_branch .LBB22_2008
.LBB22_2292:
	s_and_not1_saveexec_b32 s11, s11
	s_cbranch_execz .LBB22_2112
.LBB22_2293:
	v_add_f32_e64 v1, 0x46000000, |v14|
	s_and_not1_b32 s10, s10, exec_lo
	s_delay_alu instid0(VALU_DEP_1) | instskip(NEXT) | instid1(VALU_DEP_1)
	v_and_b32_e32 v1, 0xff, v1
	v_cmp_ne_u32_e32 vcc_lo, 0, v1
	s_and_b32 s12, vcc_lo, exec_lo
	s_delay_alu instid0(SALU_CYCLE_1)
	s_or_b32 s10, s10, s12
	s_or_b32 exec_lo, exec_lo, s11
	v_mov_b32_e32 v4, 0
	s_and_saveexec_b32 s11, s10
	s_cbranch_execnz .LBB22_2113
	s_branch .LBB22_2114
.LBB22_2294:
	s_or_b32 s3, s3, exec_lo
	s_trap 2
	s_cbranch_execz .LBB22_2160
	s_branch .LBB22_2161
.LBB22_2295:
	s_and_not1_saveexec_b32 s10, s10
	s_cbranch_execz .LBB22_2125
.LBB22_2296:
	v_add_f32_e64 v1, 0x42800000, |v14|
	s_and_not1_b32 s7, s7, exec_lo
	s_delay_alu instid0(VALU_DEP_1) | instskip(NEXT) | instid1(VALU_DEP_1)
	v_and_b32_e32 v1, 0xff, v1
	v_cmp_ne_u32_e32 vcc_lo, 0, v1
	s_and_b32 s11, vcc_lo, exec_lo
	s_delay_alu instid0(SALU_CYCLE_1)
	s_or_b32 s7, s7, s11
	s_or_b32 exec_lo, exec_lo, s10
	v_mov_b32_e32 v4, 0
	s_and_saveexec_b32 s10, s7
	s_cbranch_execnz .LBB22_2126
	s_branch .LBB22_2127
.LBB22_2297:
	s_and_not1_saveexec_b32 s7, s7
	s_cbranch_execz .LBB22_2232
.LBB22_2298:
	v_add_f32_e64 v0, 0x46000000, |v12|
	s_and_not1_b32 s6, s6, exec_lo
	s_delay_alu instid0(VALU_DEP_1) | instskip(NEXT) | instid1(VALU_DEP_1)
	v_and_b32_e32 v0, 0xff, v0
	v_cmp_ne_u32_e32 vcc_lo, 0, v0
	s_and_b32 s10, vcc_lo, exec_lo
	s_delay_alu instid0(SALU_CYCLE_1)
	s_or_b32 s6, s6, s10
	s_or_b32 exec_lo, exec_lo, s7
	v_mov_b32_e32 v1, 0
	s_and_saveexec_b32 s7, s6
	s_cbranch_execnz .LBB22_2233
	s_branch .LBB22_2234
.LBB22_2299:
	s_mov_b32 s4, 0
	s_or_b32 s3, s3, exec_lo
	s_trap 2
	s_branch .LBB22_2278
.LBB22_2300:
	s_and_not1_saveexec_b32 s6, s6
	s_cbranch_execz .LBB22_2244
.LBB22_2301:
	v_add_f32_e64 v0, 0x42800000, |v12|
	s_and_not1_b32 s5, s5, exec_lo
	s_delay_alu instid0(VALU_DEP_1) | instskip(NEXT) | instid1(VALU_DEP_1)
	v_and_b32_e32 v0, 0xff, v0
	v_cmp_ne_u32_e32 vcc_lo, 0, v0
	s_and_b32 s7, vcc_lo, exec_lo
	s_delay_alu instid0(SALU_CYCLE_1)
	s_or_b32 s5, s5, s7
	s_or_b32 exec_lo, exec_lo, s6
	v_mov_b32_e32 v1, 0
	s_and_saveexec_b32 s6, s5
	s_cbranch_execnz .LBB22_2245
	s_branch .LBB22_2246
	.section	.rodata,"a",@progbits
	.p2align	6, 0x0
	.amdhsa_kernel _ZN2at6native32elementwise_kernel_manual_unrollILi128ELi4EZNS0_15gpu_kernel_implIZZZNS0_12_GLOBAL__N_121bessel_y1_kernel_cudaERNS_18TensorIteratorBaseEENKUlvE_clEvENKUlvE0_clEvEUlfE_EEvS5_RKT_EUlibE0_EEviT1_
		.amdhsa_group_segment_fixed_size 0
		.amdhsa_private_segment_fixed_size 0
		.amdhsa_kernarg_size 360
		.amdhsa_user_sgpr_count 2
		.amdhsa_user_sgpr_dispatch_ptr 0
		.amdhsa_user_sgpr_queue_ptr 0
		.amdhsa_user_sgpr_kernarg_segment_ptr 1
		.amdhsa_user_sgpr_dispatch_id 0
		.amdhsa_user_sgpr_kernarg_preload_length 0
		.amdhsa_user_sgpr_kernarg_preload_offset 0
		.amdhsa_user_sgpr_private_segment_size 0
		.amdhsa_wavefront_size32 1
		.amdhsa_uses_dynamic_stack 0
		.amdhsa_enable_private_segment 0
		.amdhsa_system_sgpr_workgroup_id_x 1
		.amdhsa_system_sgpr_workgroup_id_y 0
		.amdhsa_system_sgpr_workgroup_id_z 0
		.amdhsa_system_sgpr_workgroup_info 0
		.amdhsa_system_vgpr_workitem_id 0
		.amdhsa_next_free_vgpr 38
		.amdhsa_next_free_sgpr 68
		.amdhsa_named_barrier_count 0
		.amdhsa_reserve_vcc 1
		.amdhsa_float_round_mode_32 0
		.amdhsa_float_round_mode_16_64 0
		.amdhsa_float_denorm_mode_32 3
		.amdhsa_float_denorm_mode_16_64 3
		.amdhsa_fp16_overflow 0
		.amdhsa_memory_ordered 1
		.amdhsa_forward_progress 1
		.amdhsa_inst_pref_size 255
		.amdhsa_round_robin_scheduling 0
		.amdhsa_exception_fp_ieee_invalid_op 0
		.amdhsa_exception_fp_denorm_src 0
		.amdhsa_exception_fp_ieee_div_zero 0
		.amdhsa_exception_fp_ieee_overflow 0
		.amdhsa_exception_fp_ieee_underflow 0
		.amdhsa_exception_fp_ieee_inexact 0
		.amdhsa_exception_int_div_zero 0
	.end_amdhsa_kernel
	.section	.text._ZN2at6native32elementwise_kernel_manual_unrollILi128ELi4EZNS0_15gpu_kernel_implIZZZNS0_12_GLOBAL__N_121bessel_y1_kernel_cudaERNS_18TensorIteratorBaseEENKUlvE_clEvENKUlvE0_clEvEUlfE_EEvS5_RKT_EUlibE0_EEviT1_,"axG",@progbits,_ZN2at6native32elementwise_kernel_manual_unrollILi128ELi4EZNS0_15gpu_kernel_implIZZZNS0_12_GLOBAL__N_121bessel_y1_kernel_cudaERNS_18TensorIteratorBaseEENKUlvE_clEvENKUlvE0_clEvEUlfE_EEvS5_RKT_EUlibE0_EEviT1_,comdat
.Lfunc_end22:
	.size	_ZN2at6native32elementwise_kernel_manual_unrollILi128ELi4EZNS0_15gpu_kernel_implIZZZNS0_12_GLOBAL__N_121bessel_y1_kernel_cudaERNS_18TensorIteratorBaseEENKUlvE_clEvENKUlvE0_clEvEUlfE_EEvS5_RKT_EUlibE0_EEviT1_, .Lfunc_end22-_ZN2at6native32elementwise_kernel_manual_unrollILi128ELi4EZNS0_15gpu_kernel_implIZZZNS0_12_GLOBAL__N_121bessel_y1_kernel_cudaERNS_18TensorIteratorBaseEENKUlvE_clEvENKUlvE0_clEvEUlfE_EEvS5_RKT_EUlibE0_EEviT1_
                                        ; -- End function
	.set _ZN2at6native32elementwise_kernel_manual_unrollILi128ELi4EZNS0_15gpu_kernel_implIZZZNS0_12_GLOBAL__N_121bessel_y1_kernel_cudaERNS_18TensorIteratorBaseEENKUlvE_clEvENKUlvE0_clEvEUlfE_EEvS5_RKT_EUlibE0_EEviT1_.num_vgpr, 38
	.set _ZN2at6native32elementwise_kernel_manual_unrollILi128ELi4EZNS0_15gpu_kernel_implIZZZNS0_12_GLOBAL__N_121bessel_y1_kernel_cudaERNS_18TensorIteratorBaseEENKUlvE_clEvENKUlvE0_clEvEUlfE_EEvS5_RKT_EUlibE0_EEviT1_.num_agpr, 0
	.set _ZN2at6native32elementwise_kernel_manual_unrollILi128ELi4EZNS0_15gpu_kernel_implIZZZNS0_12_GLOBAL__N_121bessel_y1_kernel_cudaERNS_18TensorIteratorBaseEENKUlvE_clEvENKUlvE0_clEvEUlfE_EEvS5_RKT_EUlibE0_EEviT1_.numbered_sgpr, 68
	.set _ZN2at6native32elementwise_kernel_manual_unrollILi128ELi4EZNS0_15gpu_kernel_implIZZZNS0_12_GLOBAL__N_121bessel_y1_kernel_cudaERNS_18TensorIteratorBaseEENKUlvE_clEvENKUlvE0_clEvEUlfE_EEvS5_RKT_EUlibE0_EEviT1_.num_named_barrier, 0
	.set _ZN2at6native32elementwise_kernel_manual_unrollILi128ELi4EZNS0_15gpu_kernel_implIZZZNS0_12_GLOBAL__N_121bessel_y1_kernel_cudaERNS_18TensorIteratorBaseEENKUlvE_clEvENKUlvE0_clEvEUlfE_EEvS5_RKT_EUlibE0_EEviT1_.private_seg_size, 0
	.set _ZN2at6native32elementwise_kernel_manual_unrollILi128ELi4EZNS0_15gpu_kernel_implIZZZNS0_12_GLOBAL__N_121bessel_y1_kernel_cudaERNS_18TensorIteratorBaseEENKUlvE_clEvENKUlvE0_clEvEUlfE_EEvS5_RKT_EUlibE0_EEviT1_.uses_vcc, 1
	.set _ZN2at6native32elementwise_kernel_manual_unrollILi128ELi4EZNS0_15gpu_kernel_implIZZZNS0_12_GLOBAL__N_121bessel_y1_kernel_cudaERNS_18TensorIteratorBaseEENKUlvE_clEvENKUlvE0_clEvEUlfE_EEvS5_RKT_EUlibE0_EEviT1_.uses_flat_scratch, 0
	.set _ZN2at6native32elementwise_kernel_manual_unrollILi128ELi4EZNS0_15gpu_kernel_implIZZZNS0_12_GLOBAL__N_121bessel_y1_kernel_cudaERNS_18TensorIteratorBaseEENKUlvE_clEvENKUlvE0_clEvEUlfE_EEvS5_RKT_EUlibE0_EEviT1_.has_dyn_sized_stack, 0
	.set _ZN2at6native32elementwise_kernel_manual_unrollILi128ELi4EZNS0_15gpu_kernel_implIZZZNS0_12_GLOBAL__N_121bessel_y1_kernel_cudaERNS_18TensorIteratorBaseEENKUlvE_clEvENKUlvE0_clEvEUlfE_EEvS5_RKT_EUlibE0_EEviT1_.has_recursion, 0
	.set _ZN2at6native32elementwise_kernel_manual_unrollILi128ELi4EZNS0_15gpu_kernel_implIZZZNS0_12_GLOBAL__N_121bessel_y1_kernel_cudaERNS_18TensorIteratorBaseEENKUlvE_clEvENKUlvE0_clEvEUlfE_EEvS5_RKT_EUlibE0_EEviT1_.has_indirect_call, 0
	.section	.AMDGPU.csdata,"",@progbits
; Kernel info:
; codeLenInByte = 71424
; TotalNumSgprs: 70
; NumVgprs: 38
; ScratchSize: 0
; MemoryBound: 1
; FloatMode: 240
; IeeeMode: 1
; LDSByteSize: 0 bytes/workgroup (compile time only)
; SGPRBlocks: 0
; VGPRBlocks: 2
; NumSGPRsForWavesPerEU: 70
; NumVGPRsForWavesPerEU: 38
; NamedBarCnt: 0
; Occupancy: 16
; WaveLimiterHint : 1
; COMPUTE_PGM_RSRC2:SCRATCH_EN: 0
; COMPUTE_PGM_RSRC2:USER_SGPR: 2
; COMPUTE_PGM_RSRC2:TRAP_HANDLER: 0
; COMPUTE_PGM_RSRC2:TGID_X_EN: 1
; COMPUTE_PGM_RSRC2:TGID_Y_EN: 0
; COMPUTE_PGM_RSRC2:TGID_Z_EN: 0
; COMPUTE_PGM_RSRC2:TIDIG_COMP_CNT: 0
	.text
	.p2alignl 7, 3214868480
	.fill 96, 4, 3214868480
	.section	.AMDGPU.gpr_maximums,"",@progbits
	.set amdgpu.max_num_vgpr, 101
	.set amdgpu.max_num_agpr, 0
	.set amdgpu.max_num_sgpr, 32
	.text
	.type	__hip_cuid_87b98a020b0e1166,@object ; @__hip_cuid_87b98a020b0e1166
	.section	.bss,"aw",@nobits
	.globl	__hip_cuid_87b98a020b0e1166
__hip_cuid_87b98a020b0e1166:
	.byte	0                               ; 0x0
	.size	__hip_cuid_87b98a020b0e1166, 1

	.ident	"AMD clang version 22.0.0git (https://github.com/RadeonOpenCompute/llvm-project roc-7.2.4 26084 f58b06dce1f9c15707c5f808fd002e18c2accf7e)"
	.section	".note.GNU-stack","",@progbits
	.addrsig
	.addrsig_sym __hip_cuid_87b98a020b0e1166
	.amdgpu_metadata
---
amdhsa.kernels:
  - .args:
      - .offset:         0
        .size:           4
        .value_kind:     by_value
      - .offset:         4
        .size:           1
        .value_kind:     by_value
      - .offset:         8
        .size:           16
        .value_kind:     by_value
    .group_segment_fixed_size: 0
    .kernarg_segment_align: 8
    .kernarg_segment_size: 24
    .language:       OpenCL C
    .language_version:
      - 2
      - 0
    .max_flat_workgroup_size: 256
    .name:           _ZN2at6native29vectorized_elementwise_kernelILi16EZZZNS0_12_GLOBAL__N_121bessel_y1_kernel_cudaERNS_18TensorIteratorBaseEENKUlvE_clEvENKUlvE_clEvEUldE_St5arrayIPcLm2EEEEviT0_T1_
    .private_segment_fixed_size: 0
    .sgpr_count:     35
    .sgpr_spill_count: 0
    .symbol:         _ZN2at6native29vectorized_elementwise_kernelILi16EZZZNS0_12_GLOBAL__N_121bessel_y1_kernel_cudaERNS_18TensorIteratorBaseEENKUlvE_clEvENKUlvE_clEvEUldE_St5arrayIPcLm2EEEEviT0_T1_.kd
    .uniform_work_group_size: 1
    .uses_dynamic_stack: false
    .vgpr_count:     101
    .vgpr_spill_count: 0
    .wavefront_size: 32
  - .args:
      - .offset:         0
        .size:           4
        .value_kind:     by_value
      - .offset:         4
        .size:           1
        .value_kind:     by_value
      - .offset:         8
        .size:           16
        .value_kind:     by_value
    .group_segment_fixed_size: 0
    .kernarg_segment_align: 8
    .kernarg_segment_size: 24
    .language:       OpenCL C
    .language_version:
      - 2
      - 0
    .max_flat_workgroup_size: 256
    .name:           _ZN2at6native29vectorized_elementwise_kernelILi8EZZZNS0_12_GLOBAL__N_121bessel_y1_kernel_cudaERNS_18TensorIteratorBaseEENKUlvE_clEvENKUlvE_clEvEUldE_St5arrayIPcLm2EEEEviT0_T1_
    .private_segment_fixed_size: 0
    .sgpr_count:     35
    .sgpr_spill_count: 0
    .symbol:         _ZN2at6native29vectorized_elementwise_kernelILi8EZZZNS0_12_GLOBAL__N_121bessel_y1_kernel_cudaERNS_18TensorIteratorBaseEENKUlvE_clEvENKUlvE_clEvEUldE_St5arrayIPcLm2EEEEviT0_T1_.kd
    .uniform_work_group_size: 1
    .uses_dynamic_stack: false
    .vgpr_count:     101
    .vgpr_spill_count: 0
    .wavefront_size: 32
  - .args:
      - .offset:         0
        .size:           4
        .value_kind:     by_value
      - .offset:         4
        .size:           1
        .value_kind:     by_value
      - .offset:         8
        .size:           16
        .value_kind:     by_value
    .group_segment_fixed_size: 0
    .kernarg_segment_align: 8
    .kernarg_segment_size: 24
    .language:       OpenCL C
    .language_version:
      - 2
      - 0
    .max_flat_workgroup_size: 256
    .name:           _ZN2at6native29vectorized_elementwise_kernelILi4EZZZNS0_12_GLOBAL__N_121bessel_y1_kernel_cudaERNS_18TensorIteratorBaseEENKUlvE_clEvENKUlvE_clEvEUldE_St5arrayIPcLm2EEEEviT0_T1_
    .private_segment_fixed_size: 0
    .sgpr_count:     35
    .sgpr_spill_count: 0
    .symbol:         _ZN2at6native29vectorized_elementwise_kernelILi4EZZZNS0_12_GLOBAL__N_121bessel_y1_kernel_cudaERNS_18TensorIteratorBaseEENKUlvE_clEvENKUlvE_clEvEUldE_St5arrayIPcLm2EEEEviT0_T1_.kd
    .uniform_work_group_size: 1
    .uses_dynamic_stack: false
    .vgpr_count:     101
    .vgpr_spill_count: 0
    .wavefront_size: 32
  - .args:
      - .offset:         0
        .size:           4
        .value_kind:     by_value
      - .offset:         4
        .size:           1
        .value_kind:     by_value
      - .offset:         8
        .size:           16
        .value_kind:     by_value
    .group_segment_fixed_size: 0
    .kernarg_segment_align: 8
    .kernarg_segment_size: 24
    .language:       OpenCL C
    .language_version:
      - 2
      - 0
    .max_flat_workgroup_size: 256
    .name:           _ZN2at6native29vectorized_elementwise_kernelILi2EZZZNS0_12_GLOBAL__N_121bessel_y1_kernel_cudaERNS_18TensorIteratorBaseEENKUlvE_clEvENKUlvE_clEvEUldE_St5arrayIPcLm2EEEEviT0_T1_
    .private_segment_fixed_size: 0
    .sgpr_count:     35
    .sgpr_spill_count: 0
    .symbol:         _ZN2at6native29vectorized_elementwise_kernelILi2EZZZNS0_12_GLOBAL__N_121bessel_y1_kernel_cudaERNS_18TensorIteratorBaseEENKUlvE_clEvENKUlvE_clEvEUldE_St5arrayIPcLm2EEEEviT0_T1_.kd
    .uniform_work_group_size: 1
    .uses_dynamic_stack: false
    .vgpr_count:     101
    .vgpr_spill_count: 0
    .wavefront_size: 32
  - .args:
      - .offset:         0
        .size:           4
        .value_kind:     by_value
      - .offset:         4
        .size:           1
        .value_kind:     by_value
      - .offset:         8
        .size:           16
        .value_kind:     by_value
      - .offset:         24
        .size:           1
        .value_kind:     by_value
      - .offset:         25
        .size:           1
        .value_kind:     by_value
      - .offset:         26
        .size:           1
        .value_kind:     by_value
      - .offset:         27
        .size:           1
        .value_kind:     by_value
    .group_segment_fixed_size: 0
    .kernarg_segment_align: 8
    .kernarg_segment_size: 28
    .language:       OpenCL C
    .language_version:
      - 2
      - 0
    .max_flat_workgroup_size: 256
    .name:           _ZN2at6native27unrolled_elementwise_kernelIZZZNS0_12_GLOBAL__N_121bessel_y1_kernel_cudaERNS_18TensorIteratorBaseEENKUlvE_clEvENKUlvE_clEvEUldE_St5arrayIPcLm2EELi4E23TrivialOffsetCalculatorILi1EjESC_NS0_6memory15LoadWithoutCastENSD_16StoreWithoutCastEEEviT_T0_T2_T3_T4_T5_
    .private_segment_fixed_size: 0
    .sgpr_count:     35
    .sgpr_spill_count: 0
    .symbol:         _ZN2at6native27unrolled_elementwise_kernelIZZZNS0_12_GLOBAL__N_121bessel_y1_kernel_cudaERNS_18TensorIteratorBaseEENKUlvE_clEvENKUlvE_clEvEUldE_St5arrayIPcLm2EELi4E23TrivialOffsetCalculatorILi1EjESC_NS0_6memory15LoadWithoutCastENSD_16StoreWithoutCastEEEviT_T0_T2_T3_T4_T5_.kd
    .uniform_work_group_size: 1
    .uses_dynamic_stack: false
    .vgpr_count:     101
    .vgpr_spill_count: 0
    .wavefront_size: 32
  - .args:
      - .offset:         0
        .size:           4
        .value_kind:     by_value
      - .offset:         8
        .size:           352
        .value_kind:     by_value
    .group_segment_fixed_size: 0
    .kernarg_segment_align: 8
    .kernarg_segment_size: 360
    .language:       OpenCL C
    .language_version:
      - 2
      - 0
    .max_flat_workgroup_size: 128
    .name:           _ZN2at6native32elementwise_kernel_manual_unrollILi128ELi4EZNS0_22gpu_kernel_impl_nocastIZZZNS0_12_GLOBAL__N_121bessel_y1_kernel_cudaERNS_18TensorIteratorBaseEENKUlvE_clEvENKUlvE_clEvEUldE_EEvS5_RKT_EUlibE_EEviT1_
    .private_segment_fixed_size: 0
    .sgpr_count:     62
    .sgpr_spill_count: 0
    .symbol:         _ZN2at6native32elementwise_kernel_manual_unrollILi128ELi4EZNS0_22gpu_kernel_impl_nocastIZZZNS0_12_GLOBAL__N_121bessel_y1_kernel_cudaERNS_18TensorIteratorBaseEENKUlvE_clEvENKUlvE_clEvEUldE_EEvS5_RKT_EUlibE_EEviT1_.kd
    .uniform_work_group_size: 1
    .uses_dynamic_stack: false
    .vgpr_count:     90
    .vgpr_spill_count: 0
    .wavefront_size: 32
  - .args:
      - .offset:         0
        .size:           4
        .value_kind:     by_value
      - .offset:         8
        .size:           32
        .value_kind:     by_value
    .group_segment_fixed_size: 0
    .kernarg_segment_align: 8
    .kernarg_segment_size: 40
    .language:       OpenCL C
    .language_version:
      - 2
      - 0
    .max_flat_workgroup_size: 128
    .name:           _ZN2at6native32elementwise_kernel_manual_unrollILi128ELi4EZNS0_15gpu_kernel_implIZZZNS0_12_GLOBAL__N_121bessel_y1_kernel_cudaERNS_18TensorIteratorBaseEENKUlvE_clEvENKUlvE_clEvEUldE_EEvS5_RKT_EUlibE_EEviT1_
    .private_segment_fixed_size: 0
    .sgpr_count:     35
    .sgpr_spill_count: 0
    .symbol:         _ZN2at6native32elementwise_kernel_manual_unrollILi128ELi4EZNS0_15gpu_kernel_implIZZZNS0_12_GLOBAL__N_121bessel_y1_kernel_cudaERNS_18TensorIteratorBaseEENKUlvE_clEvENKUlvE_clEvEUldE_EEvS5_RKT_EUlibE_EEviT1_.kd
    .uniform_work_group_size: 1
    .uses_dynamic_stack: false
    .vgpr_count:     84
    .vgpr_spill_count: 0
    .wavefront_size: 32
  - .args:
      - .offset:         0
        .size:           4
        .value_kind:     by_value
      - .offset:         8
        .size:           352
        .value_kind:     by_value
    .group_segment_fixed_size: 0
    .kernarg_segment_align: 8
    .kernarg_segment_size: 360
    .language:       OpenCL C
    .language_version:
      - 2
      - 0
    .max_flat_workgroup_size: 128
    .name:           _ZN2at6native32elementwise_kernel_manual_unrollILi128ELi4EZNS0_15gpu_kernel_implIZZZNS0_12_GLOBAL__N_121bessel_y1_kernel_cudaERNS_18TensorIteratorBaseEENKUlvE_clEvENKUlvE_clEvEUldE_EEvS5_RKT_EUlibE0_EEviT1_
    .private_segment_fixed_size: 0
    .sgpr_count:     74
    .sgpr_spill_count: 0
    .symbol:         _ZN2at6native32elementwise_kernel_manual_unrollILi128ELi4EZNS0_15gpu_kernel_implIZZZNS0_12_GLOBAL__N_121bessel_y1_kernel_cudaERNS_18TensorIteratorBaseEENKUlvE_clEvENKUlvE_clEvEUldE_EEvS5_RKT_EUlibE0_EEviT1_.kd
    .uniform_work_group_size: 1
    .uses_dynamic_stack: false
    .vgpr_count:     84
    .vgpr_spill_count: 0
    .wavefront_size: 32
  - .args:
      - .offset:         0
        .size:           4
        .value_kind:     by_value
      - .offset:         4
        .size:           1
        .value_kind:     by_value
      - .offset:         8
        .size:           16
        .value_kind:     by_value
    .group_segment_fixed_size: 0
    .kernarg_segment_align: 8
    .kernarg_segment_size: 24
    .language:       OpenCL C
    .language_version:
      - 2
      - 0
    .max_flat_workgroup_size: 256
    .name:           _ZN2at6native29vectorized_elementwise_kernelILi16EZZZNS0_12_GLOBAL__N_121bessel_y1_kernel_cudaERNS_18TensorIteratorBaseEENKUlvE_clEvENKUlvE0_clEvEUlfE_St5arrayIPcLm2EEEEviT0_T1_
    .private_segment_fixed_size: 0
    .sgpr_count:     35
    .sgpr_spill_count: 0
    .symbol:         _ZN2at6native29vectorized_elementwise_kernelILi16EZZZNS0_12_GLOBAL__N_121bessel_y1_kernel_cudaERNS_18TensorIteratorBaseEENKUlvE_clEvENKUlvE0_clEvEUlfE_St5arrayIPcLm2EEEEviT0_T1_.kd
    .uniform_work_group_size: 1
    .uses_dynamic_stack: false
    .vgpr_count:     50
    .vgpr_spill_count: 0
    .wavefront_size: 32
  - .args:
      - .offset:         0
        .size:           4
        .value_kind:     by_value
      - .offset:         4
        .size:           1
        .value_kind:     by_value
      - .offset:         8
        .size:           16
        .value_kind:     by_value
    .group_segment_fixed_size: 0
    .kernarg_segment_align: 8
    .kernarg_segment_size: 24
    .language:       OpenCL C
    .language_version:
      - 2
      - 0
    .max_flat_workgroup_size: 256
    .name:           _ZN2at6native29vectorized_elementwise_kernelILi8EZZZNS0_12_GLOBAL__N_121bessel_y1_kernel_cudaERNS_18TensorIteratorBaseEENKUlvE_clEvENKUlvE0_clEvEUlfE_St5arrayIPcLm2EEEEviT0_T1_
    .private_segment_fixed_size: 0
    .sgpr_count:     35
    .sgpr_spill_count: 0
    .symbol:         _ZN2at6native29vectorized_elementwise_kernelILi8EZZZNS0_12_GLOBAL__N_121bessel_y1_kernel_cudaERNS_18TensorIteratorBaseEENKUlvE_clEvENKUlvE0_clEvEUlfE_St5arrayIPcLm2EEEEviT0_T1_.kd
    .uniform_work_group_size: 1
    .uses_dynamic_stack: false
    .vgpr_count:     50
    .vgpr_spill_count: 0
    .wavefront_size: 32
  - .args:
      - .offset:         0
        .size:           4
        .value_kind:     by_value
      - .offset:         4
        .size:           1
        .value_kind:     by_value
      - .offset:         8
        .size:           16
        .value_kind:     by_value
    .group_segment_fixed_size: 0
    .kernarg_segment_align: 8
    .kernarg_segment_size: 24
    .language:       OpenCL C
    .language_version:
      - 2
      - 0
    .max_flat_workgroup_size: 256
    .name:           _ZN2at6native29vectorized_elementwise_kernelILi4EZZZNS0_12_GLOBAL__N_121bessel_y1_kernel_cudaERNS_18TensorIteratorBaseEENKUlvE_clEvENKUlvE0_clEvEUlfE_St5arrayIPcLm2EEEEviT0_T1_
    .private_segment_fixed_size: 0
    .sgpr_count:     35
    .sgpr_spill_count: 0
    .symbol:         _ZN2at6native29vectorized_elementwise_kernelILi4EZZZNS0_12_GLOBAL__N_121bessel_y1_kernel_cudaERNS_18TensorIteratorBaseEENKUlvE_clEvENKUlvE0_clEvEUlfE_St5arrayIPcLm2EEEEviT0_T1_.kd
    .uniform_work_group_size: 1
    .uses_dynamic_stack: false
    .vgpr_count:     50
    .vgpr_spill_count: 0
    .wavefront_size: 32
  - .args:
      - .offset:         0
        .size:           4
        .value_kind:     by_value
      - .offset:         4
        .size:           1
        .value_kind:     by_value
      - .offset:         8
        .size:           16
        .value_kind:     by_value
    .group_segment_fixed_size: 0
    .kernarg_segment_align: 8
    .kernarg_segment_size: 24
    .language:       OpenCL C
    .language_version:
      - 2
      - 0
    .max_flat_workgroup_size: 256
    .name:           _ZN2at6native29vectorized_elementwise_kernelILi2EZZZNS0_12_GLOBAL__N_121bessel_y1_kernel_cudaERNS_18TensorIteratorBaseEENKUlvE_clEvENKUlvE0_clEvEUlfE_St5arrayIPcLm2EEEEviT0_T1_
    .private_segment_fixed_size: 0
    .sgpr_count:     35
    .sgpr_spill_count: 0
    .symbol:         _ZN2at6native29vectorized_elementwise_kernelILi2EZZZNS0_12_GLOBAL__N_121bessel_y1_kernel_cudaERNS_18TensorIteratorBaseEENKUlvE_clEvENKUlvE0_clEvEUlfE_St5arrayIPcLm2EEEEviT0_T1_.kd
    .uniform_work_group_size: 1
    .uses_dynamic_stack: false
    .vgpr_count:     50
    .vgpr_spill_count: 0
    .wavefront_size: 32
  - .args:
      - .offset:         0
        .size:           4
        .value_kind:     by_value
      - .offset:         4
        .size:           1
        .value_kind:     by_value
      - .offset:         8
        .size:           16
        .value_kind:     by_value
      - .offset:         24
        .size:           1
        .value_kind:     by_value
      - .offset:         25
        .size:           1
        .value_kind:     by_value
      - .offset:         26
        .size:           1
        .value_kind:     by_value
      - .offset:         27
        .size:           1
        .value_kind:     by_value
    .group_segment_fixed_size: 0
    .kernarg_segment_align: 8
    .kernarg_segment_size: 28
    .language:       OpenCL C
    .language_version:
      - 2
      - 0
    .max_flat_workgroup_size: 256
    .name:           _ZN2at6native27unrolled_elementwise_kernelIZZZNS0_12_GLOBAL__N_121bessel_y1_kernel_cudaERNS_18TensorIteratorBaseEENKUlvE_clEvENKUlvE0_clEvEUlfE_St5arrayIPcLm2EELi4E23TrivialOffsetCalculatorILi1EjESC_NS0_6memory15LoadWithoutCastENSD_16StoreWithoutCastEEEviT_T0_T2_T3_T4_T5_
    .private_segment_fixed_size: 0
    .sgpr_count:     35
    .sgpr_spill_count: 0
    .symbol:         _ZN2at6native27unrolled_elementwise_kernelIZZZNS0_12_GLOBAL__N_121bessel_y1_kernel_cudaERNS_18TensorIteratorBaseEENKUlvE_clEvENKUlvE0_clEvEUlfE_St5arrayIPcLm2EELi4E23TrivialOffsetCalculatorILi1EjESC_NS0_6memory15LoadWithoutCastENSD_16StoreWithoutCastEEEviT_T0_T2_T3_T4_T5_.kd
    .uniform_work_group_size: 1
    .uses_dynamic_stack: false
    .vgpr_count:     50
    .vgpr_spill_count: 0
    .wavefront_size: 32
  - .args:
      - .offset:         0
        .size:           4
        .value_kind:     by_value
      - .offset:         8
        .size:           352
        .value_kind:     by_value
    .group_segment_fixed_size: 0
    .kernarg_segment_align: 8
    .kernarg_segment_size: 360
    .language:       OpenCL C
    .language_version:
      - 2
      - 0
    .max_flat_workgroup_size: 128
    .name:           _ZN2at6native32elementwise_kernel_manual_unrollILi128ELi4EZNS0_22gpu_kernel_impl_nocastIZZZNS0_12_GLOBAL__N_121bessel_y1_kernel_cudaERNS_18TensorIteratorBaseEENKUlvE_clEvENKUlvE0_clEvEUlfE_EEvS5_RKT_EUlibE_EEviT1_
    .private_segment_fixed_size: 0
    .sgpr_count:     62
    .sgpr_spill_count: 0
    .symbol:         _ZN2at6native32elementwise_kernel_manual_unrollILi128ELi4EZNS0_22gpu_kernel_impl_nocastIZZZNS0_12_GLOBAL__N_121bessel_y1_kernel_cudaERNS_18TensorIteratorBaseEENKUlvE_clEvENKUlvE0_clEvEUlfE_EEvS5_RKT_EUlibE_EEviT1_.kd
    .uniform_work_group_size: 1
    .uses_dynamic_stack: false
    .vgpr_count:     38
    .vgpr_spill_count: 0
    .wavefront_size: 32
  - .args:
      - .offset:         0
        .size:           4
        .value_kind:     by_value
      - .offset:         8
        .size:           32
        .value_kind:     by_value
    .group_segment_fixed_size: 0
    .kernarg_segment_align: 8
    .kernarg_segment_size: 40
    .language:       OpenCL C
    .language_version:
      - 2
      - 0
    .max_flat_workgroup_size: 128
    .name:           _ZN2at6native32elementwise_kernel_manual_unrollILi128ELi4EZNS0_15gpu_kernel_implIZZZNS0_12_GLOBAL__N_121bessel_y1_kernel_cudaERNS_18TensorIteratorBaseEENKUlvE_clEvENKUlvE0_clEvEUlfE_EEvS5_RKT_EUlibE_EEviT1_
    .private_segment_fixed_size: 0
    .sgpr_count:     35
    .sgpr_spill_count: 0
    .symbol:         _ZN2at6native32elementwise_kernel_manual_unrollILi128ELi4EZNS0_15gpu_kernel_implIZZZNS0_12_GLOBAL__N_121bessel_y1_kernel_cudaERNS_18TensorIteratorBaseEENKUlvE_clEvENKUlvE0_clEvEUlfE_EEvS5_RKT_EUlibE_EEviT1_.kd
    .uniform_work_group_size: 1
    .uses_dynamic_stack: false
    .vgpr_count:     38
    .vgpr_spill_count: 0
    .wavefront_size: 32
  - .args:
      - .offset:         0
        .size:           4
        .value_kind:     by_value
      - .offset:         8
        .size:           352
        .value_kind:     by_value
    .group_segment_fixed_size: 0
    .kernarg_segment_align: 8
    .kernarg_segment_size: 360
    .language:       OpenCL C
    .language_version:
      - 2
      - 0
    .max_flat_workgroup_size: 128
    .name:           _ZN2at6native32elementwise_kernel_manual_unrollILi128ELi4EZNS0_15gpu_kernel_implIZZZNS0_12_GLOBAL__N_121bessel_y1_kernel_cudaERNS_18TensorIteratorBaseEENKUlvE_clEvENKUlvE0_clEvEUlfE_EEvS5_RKT_EUlibE0_EEviT1_
    .private_segment_fixed_size: 0
    .sgpr_count:     70
    .sgpr_spill_count: 0
    .symbol:         _ZN2at6native32elementwise_kernel_manual_unrollILi128ELi4EZNS0_15gpu_kernel_implIZZZNS0_12_GLOBAL__N_121bessel_y1_kernel_cudaERNS_18TensorIteratorBaseEENKUlvE_clEvENKUlvE0_clEvEUlfE_EEvS5_RKT_EUlibE0_EEviT1_.kd
    .uniform_work_group_size: 1
    .uses_dynamic_stack: false
    .vgpr_count:     38
    .vgpr_spill_count: 0
    .wavefront_size: 32
amdhsa.target:   amdgcn-amd-amdhsa--gfx1250
amdhsa.version:
  - 1
  - 2
...

	.end_amdgpu_metadata
